;; amdgpu-corpus repo=ROCm/rocSPARSE kind=compiled arch=gfx1100 opt=O3
	.text
	.amdgcn_target "amdgcn-amd-amdhsa--gfx1100"
	.amdhsa_code_object_version 6
	.section	.text._ZN9rocsparseL23csrsm_solve_copy_y_to_BILj1024EfEEvlPT0_lPKS1_,"axG",@progbits,_ZN9rocsparseL23csrsm_solve_copy_y_to_BILj1024EfEEvlPT0_lPKS1_,comdat
	.globl	_ZN9rocsparseL23csrsm_solve_copy_y_to_BILj1024EfEEvlPT0_lPKS1_ ; -- Begin function _ZN9rocsparseL23csrsm_solve_copy_y_to_BILj1024EfEEvlPT0_lPKS1_
	.p2align	8
	.type	_ZN9rocsparseL23csrsm_solve_copy_y_to_BILj1024EfEEvlPT0_lPKS1_,@function
_ZN9rocsparseL23csrsm_solve_copy_y_to_BILj1024EfEEvlPT0_lPKS1_: ; @_ZN9rocsparseL23csrsm_solve_copy_y_to_BILj1024EfEEvlPT0_lPKS1_
; %bb.0:
	s_load_b256 s[0:7], s[0:1], 0x0
	v_lshl_or_b32 v0, s15, 10, v0
	v_mov_b32_e32 v1, 0
	s_waitcnt lgkmcnt(0)
	s_delay_alu instid0(VALU_DEP_1)
	v_cmp_gt_u64_e32 vcc_lo, s[0:1], v[0:1]
	s_and_saveexec_b32 s0, vcc_lo
	s_cbranch_execz .LBB0_2
; %bb.1:
	v_lshlrev_b64 v[1:2], 2, v[0:1]
	s_delay_alu instid0(VALU_DEP_1) | instskip(NEXT) | instid1(VALU_DEP_2)
	v_add_co_u32 v1, vcc_lo, s6, v1
	v_add_co_ci_u32_e32 v2, vcc_lo, s7, v2, vcc_lo
	global_load_b32 v5, v[1:2], off
	v_mad_u64_u32 v[1:2], null, v0, s4, 0
	s_delay_alu instid0(VALU_DEP_1) | instskip(NEXT) | instid1(VALU_DEP_1)
	v_mad_u64_u32 v[3:4], null, v0, s5, v[2:3]
	v_mov_b32_e32 v2, v3
	s_delay_alu instid0(VALU_DEP_1) | instskip(NEXT) | instid1(VALU_DEP_1)
	v_lshlrev_b64 v[0:1], 2, v[1:2]
	v_add_co_u32 v0, vcc_lo, s2, v0
	s_delay_alu instid0(VALU_DEP_2)
	v_add_co_ci_u32_e32 v1, vcc_lo, s3, v1, vcc_lo
	s_waitcnt vmcnt(0)
	global_store_b32 v[0:1], v5, off
.LBB0_2:
	s_nop 0
	s_sendmsg sendmsg(MSG_DEALLOC_VGPRS)
	s_endpgm
	.section	.rodata,"a",@progbits
	.p2align	6, 0x0
	.amdhsa_kernel _ZN9rocsparseL23csrsm_solve_copy_y_to_BILj1024EfEEvlPT0_lPKS1_
		.amdhsa_group_segment_fixed_size 0
		.amdhsa_private_segment_fixed_size 0
		.amdhsa_kernarg_size 32
		.amdhsa_user_sgpr_count 15
		.amdhsa_user_sgpr_dispatch_ptr 0
		.amdhsa_user_sgpr_queue_ptr 0
		.amdhsa_user_sgpr_kernarg_segment_ptr 1
		.amdhsa_user_sgpr_dispatch_id 0
		.amdhsa_user_sgpr_private_segment_size 0
		.amdhsa_wavefront_size32 1
		.amdhsa_uses_dynamic_stack 0
		.amdhsa_enable_private_segment 0
		.amdhsa_system_sgpr_workgroup_id_x 1
		.amdhsa_system_sgpr_workgroup_id_y 0
		.amdhsa_system_sgpr_workgroup_id_z 0
		.amdhsa_system_sgpr_workgroup_info 0
		.amdhsa_system_vgpr_workitem_id 0
		.amdhsa_next_free_vgpr 6
		.amdhsa_next_free_sgpr 16
		.amdhsa_reserve_vcc 1
		.amdhsa_float_round_mode_32 0
		.amdhsa_float_round_mode_16_64 0
		.amdhsa_float_denorm_mode_32 3
		.amdhsa_float_denorm_mode_16_64 3
		.amdhsa_dx10_clamp 1
		.amdhsa_ieee_mode 1
		.amdhsa_fp16_overflow 0
		.amdhsa_workgroup_processor_mode 1
		.amdhsa_memory_ordered 1
		.amdhsa_forward_progress 0
		.amdhsa_shared_vgpr_count 0
		.amdhsa_exception_fp_ieee_invalid_op 0
		.amdhsa_exception_fp_denorm_src 0
		.amdhsa_exception_fp_ieee_div_zero 0
		.amdhsa_exception_fp_ieee_overflow 0
		.amdhsa_exception_fp_ieee_underflow 0
		.amdhsa_exception_fp_ieee_inexact 0
		.amdhsa_exception_int_div_zero 0
	.end_amdhsa_kernel
	.section	.text._ZN9rocsparseL23csrsm_solve_copy_y_to_BILj1024EfEEvlPT0_lPKS1_,"axG",@progbits,_ZN9rocsparseL23csrsm_solve_copy_y_to_BILj1024EfEEvlPT0_lPKS1_,comdat
.Lfunc_end0:
	.size	_ZN9rocsparseL23csrsm_solve_copy_y_to_BILj1024EfEEvlPT0_lPKS1_, .Lfunc_end0-_ZN9rocsparseL23csrsm_solve_copy_y_to_BILj1024EfEEvlPT0_lPKS1_
                                        ; -- End function
	.section	.AMDGPU.csdata,"",@progbits
; Kernel info:
; codeLenInByte = 148
; NumSgprs: 18
; NumVgprs: 6
; ScratchSize: 0
; MemoryBound: 0
; FloatMode: 240
; IeeeMode: 1
; LDSByteSize: 0 bytes/workgroup (compile time only)
; SGPRBlocks: 2
; VGPRBlocks: 0
; NumSGPRsForWavesPerEU: 18
; NumVGPRsForWavesPerEU: 6
; Occupancy: 16
; WaveLimiterHint : 0
; COMPUTE_PGM_RSRC2:SCRATCH_EN: 0
; COMPUTE_PGM_RSRC2:USER_SGPR: 15
; COMPUTE_PGM_RSRC2:TRAP_HANDLER: 0
; COMPUTE_PGM_RSRC2:TGID_X_EN: 1
; COMPUTE_PGM_RSRC2:TGID_Y_EN: 0
; COMPUTE_PGM_RSRC2:TGID_Z_EN: 0
; COMPUTE_PGM_RSRC2:TIDIG_COMP_CNT: 0
	.section	.text._ZN9rocsparseL5csrsmILj64ELj64ELb1EiifEEv20rocsparse_operation_T3_S2_NS_24const_host_device_scalarIT4_EEPKT2_PKS2_PKS4_PS4_lPiSA_PS2_21rocsparse_index_base_20rocsparse_fill_mode_20rocsparse_diag_type_b,"axG",@progbits,_ZN9rocsparseL5csrsmILj64ELj64ELb1EiifEEv20rocsparse_operation_T3_S2_NS_24const_host_device_scalarIT4_EEPKT2_PKS2_PKS4_PS4_lPiSA_PS2_21rocsparse_index_base_20rocsparse_fill_mode_20rocsparse_diag_type_b,comdat
	.globl	_ZN9rocsparseL5csrsmILj64ELj64ELb1EiifEEv20rocsparse_operation_T3_S2_NS_24const_host_device_scalarIT4_EEPKT2_PKS2_PKS4_PS4_lPiSA_PS2_21rocsparse_index_base_20rocsparse_fill_mode_20rocsparse_diag_type_b ; -- Begin function _ZN9rocsparseL5csrsmILj64ELj64ELb1EiifEEv20rocsparse_operation_T3_S2_NS_24const_host_device_scalarIT4_EEPKT2_PKS2_PKS4_PS4_lPiSA_PS2_21rocsparse_index_base_20rocsparse_fill_mode_20rocsparse_diag_type_b
	.p2align	8
	.type	_ZN9rocsparseL5csrsmILj64ELj64ELb1EiifEEv20rocsparse_operation_T3_S2_NS_24const_host_device_scalarIT4_EEPKT2_PKS2_PKS4_PS4_lPiSA_PS2_21rocsparse_index_base_20rocsparse_fill_mode_20rocsparse_diag_type_b,@function
_ZN9rocsparseL5csrsmILj64ELj64ELb1EiifEEv20rocsparse_operation_T3_S2_NS_24const_host_device_scalarIT4_EEPKT2_PKS2_PKS4_PS4_lPiSA_PS2_21rocsparse_index_base_20rocsparse_fill_mode_20rocsparse_diag_type_b: ; @_ZN9rocsparseL5csrsmILj64ELj64ELb1EiifEEv20rocsparse_operation_T3_S2_NS_24const_host_device_scalarIT4_EEPKT2_PKS2_PKS4_PS4_lPiSA_PS2_21rocsparse_index_base_20rocsparse_fill_mode_20rocsparse_diag_type_b
; %bb.0:
	s_clause 0x3
	s_load_b128 s[4:7], s[0:1], 0x58
	s_load_b64 s[2:3], s[0:1], 0x48
	s_load_b128 s[16:19], s[0:1], 0x10
	s_load_b64 s[12:13], s[0:1], 0x30
	s_waitcnt lgkmcnt(0)
	s_bitcmp1_b32 s7, 0
	s_cselect_b32 s7, -1, 0
	s_delay_alu instid0(SALU_CYCLE_1)
	s_and_b32 vcc_lo, exec_lo, s7
	s_cbranch_vccnz .LBB1_2
; %bb.1:
	s_load_b32 s16, s[16:17], 0x0
.LBB1_2:
	s_load_b64 s[24:25], s[0:1], 0x4
	v_mov_b32_e32 v7, 0
	s_waitcnt lgkmcnt(0)
	v_cvt_f32_u32_e32 v1, s24
	s_sub_i32 s8, 0, s24
	s_delay_alu instid0(VALU_DEP_1) | instskip(SKIP_2) | instid1(VALU_DEP_1)
	v_rcp_iflag_f32_e32 v1, v1
	s_waitcnt_depctr 0xfff
	v_mul_f32_e32 v1, 0x4f7ffffe, v1
	v_cvt_u32_f32_e32 v1, v1
	s_delay_alu instid0(VALU_DEP_1) | instskip(NEXT) | instid1(VALU_DEP_1)
	v_readfirstlane_b32 s7, v1
	s_mul_i32 s8, s8, s7
	s_delay_alu instid0(SALU_CYCLE_1) | instskip(NEXT) | instid1(SALU_CYCLE_1)
	s_mul_hi_u32 s8, s7, s8
	s_add_i32 s7, s7, s8
	s_delay_alu instid0(SALU_CYCLE_1) | instskip(NEXT) | instid1(SALU_CYCLE_1)
	s_mul_hi_u32 s7, s15, s7
	s_mul_i32 s8, s7, s24
	s_add_i32 s9, s7, 1
	s_sub_i32 s8, s15, s8
	s_delay_alu instid0(SALU_CYCLE_1)
	s_sub_i32 s10, s8, s24
	s_cmp_ge_u32 s8, s24
	s_cselect_b32 s7, s9, s7
	s_cselect_b32 s8, s10, s8
	s_add_i32 s9, s7, 1
	s_cmp_ge_u32 s8, s24
	s_cselect_b32 s14, s9, s7
	s_delay_alu instid0(SALU_CYCLE_1) | instskip(SKIP_2) | instid1(SALU_CYCLE_1)
	s_mul_i32 s7, s14, s24
	v_lshl_or_b32 v1, s14, 6, v0
	s_sub_i32 s8, s15, s7
	s_ashr_i32 s9, s8, 31
	s_delay_alu instid0(VALU_DEP_1) | instskip(SKIP_1) | instid1(SALU_CYCLE_1)
	v_ashrrev_i32_e32 v2, 31, v1
	s_lshl_b64 s[8:9], s[8:9], 2
	s_add_u32 s2, s2, s8
	s_addc_u32 s3, s3, s9
	s_load_b32 s20, s[2:3], 0x0
	s_load_b128 s[8:11], s[0:1], 0x38
	s_waitcnt lgkmcnt(0)
	s_ashr_i32 s21, s20, 31
	s_delay_alu instid0(SALU_CYCLE_1)
	s_lshl_b64 s[2:3], s[20:21], 2
	s_mul_i32 s14, s21, s8
	s_add_u32 s2, s18, s2
	s_addc_u32 s3, s19, s3
	s_mul_i32 s18, s20, s8
	s_load_b64 s[22:23], s[2:3], 0x0
	s_mul_i32 s2, s20, s9
	s_mul_hi_u32 s3, s20, s8
	s_delay_alu instid0(SALU_CYCLE_1) | instskip(SKIP_2) | instid1(VALU_DEP_1)
	s_add_i32 s3, s3, s2
	v_cmp_gt_i32_e64 s2, s25, v1
	s_add_i32 s19, s3, s14
	s_and_saveexec_b32 s3, s2
	s_cbranch_execz .LBB1_4
; %bb.3:
	v_add_co_u32 v3, vcc_lo, s18, v1
	v_add_co_ci_u32_e32 v4, vcc_lo, s19, v2, vcc_lo
	s_delay_alu instid0(VALU_DEP_1) | instskip(NEXT) | instid1(VALU_DEP_1)
	v_lshlrev_b64 v[3:4], 2, v[3:4]
	v_add_co_u32 v3, vcc_lo, s12, v3
	s_delay_alu instid0(VALU_DEP_2)
	v_add_co_ci_u32_e32 v4, vcc_lo, s13, v4, vcc_lo
	global_load_b32 v3, v[3:4], off
	s_waitcnt vmcnt(0)
	v_mul_f32_e32 v7, s16, v3
.LBB1_4:
	s_or_b32 exec_lo, exec_lo, s3
	v_lshlrev_b64 v[1:2], 2, v[1:2]
	v_mov_b32_e32 v9, 1.0
	v_cmp_eq_u32_e64 s3, 0, v0
	s_waitcnt lgkmcnt(0)
	s_cmp_ge_i32 s22, s23
	s_delay_alu instid0(VALU_DEP_3)
	v_add_co_u32 v3, vcc_lo, s12, v1
	v_add_co_ci_u32_e32 v4, vcc_lo, s13, v2, vcc_lo
	s_cbranch_scc1 .LBB1_45
; %bb.5:
	s_clause 0x1
	s_load_b64 s[16:17], s[0:1], 0x50
	s_load_b128 s[12:15], s[0:1], 0x20
	v_dual_mov_b32 v8, 1.0 :: v_dual_lshlrev_b32 v5, 2, v0
	s_sub_i32 s21, s22, s4
	s_sub_i32 s24, s23, s4
	s_cmp_lg_u32 s6, 0
	s_delay_alu instid0(VALU_DEP_1)
	v_or_b32_e32 v6, 0x100, v5
	s_cselect_b32 s25, -1, 0
	v_cmp_ne_u32_e64 s0, 0, v0
	s_add_i32 s26, s20, s4
	v_mov_b32_e32 v2, 0
	s_cmp_eq_u32 s6, 0
	s_mov_b32 s27, s21
	s_cselect_b32 s1, -1, 0
	s_branch .LBB1_7
.LBB1_6:                                ;   in Loop: Header=BB1_7 Depth=1
	s_add_i32 s27, s27, 1
	s_delay_alu instid0(SALU_CYCLE_1)
	s_cmp_ge_i32 s27, s24
	s_cselect_b32 s22, -1, 0
	v_dual_mov_b32 v7, v10 :: v_dual_mov_b32 v8, v9
	s_and_not1_b32 vcc_lo, exec_lo, s22
	s_cbranch_vccz .LBB1_46
.LBB1_7:                                ; =>This Loop Header: Depth=1
                                        ;     Child Loop BB1_43 Depth 2
                                        ;       Child Loop BB1_44 Depth 3
	s_sub_i32 s22, s27, s21
	s_delay_alu instid0(SALU_CYCLE_1) | instskip(NEXT) | instid1(SALU_CYCLE_1)
	s_and_b32 s22, s22, 63
	s_cmp_lg_u32 s22, 0
	s_cbranch_scc1 .LBB1_11
; %bb.8:                                ;   in Loop: Header=BB1_7 Depth=1
	s_sub_i32 s23, s24, s27
	v_mov_b32_e32 v1, -1
	v_cmp_gt_u32_e32 vcc_lo, s23, v0
	v_mov_b32_e32 v9, -1.0
	s_and_saveexec_b32 s23, vcc_lo
	s_cbranch_execz .LBB1_10
; %bb.9:                                ;   in Loop: Header=BB1_7 Depth=1
	v_add_nc_u32_e32 v1, s27, v0
	s_delay_alu instid0(VALU_DEP_1) | instskip(SKIP_1) | instid1(VALU_DEP_1)
	v_lshlrev_b64 v[9:10], 2, v[1:2]
	s_waitcnt lgkmcnt(0)
	v_add_co_u32 v11, vcc_lo, s12, v9
	s_delay_alu instid0(VALU_DEP_2)
	v_add_co_ci_u32_e32 v12, vcc_lo, s13, v10, vcc_lo
	v_add_co_u32 v9, vcc_lo, s14, v9
	v_add_co_ci_u32_e32 v10, vcc_lo, s15, v10, vcc_lo
	global_load_b32 v1, v[11:12], off
	global_load_b32 v9, v[9:10], off
	s_waitcnt vmcnt(1)
	v_subrev_nc_u32_e32 v1, s4, v1
.LBB1_10:                               ;   in Loop: Header=BB1_7 Depth=1
	s_or_b32 exec_lo, exec_lo, s23
	ds_store_b32 v5, v1
	s_waitcnt vmcnt(0)
	ds_store_b32 v6, v9
.LBB1_11:                               ;   in Loop: Header=BB1_7 Depth=1
	s_lshl_b32 s22, s22, 2
	s_waitcnt lgkmcnt(0)
	v_mov_b32_e32 v1, s22
	s_waitcnt_vscnt null, 0x0
	s_barrier
	buffer_gl0_inv
	ds_load_2addr_stride64_b32 v[9:10], v1 offset1:1
	s_waitcnt lgkmcnt(0)
	v_readfirstlane_b32 s28, v9
	v_cmp_neq_f32_e32 vcc_lo, 0, v10
	s_delay_alu instid0(VALU_DEP_2) | instskip(SKIP_1) | instid1(SALU_CYCLE_1)
	s_cmp_lg_u32 s28, s20
	s_cselect_b32 s22, -1, 0
	s_or_b32 s22, s25, s22
	s_delay_alu instid0(SALU_CYCLE_1) | instskip(SKIP_2) | instid1(SALU_CYCLE_1)
	s_or_b32 vcc_lo, vcc_lo, s22
	v_cndmask_b32_e32 v1, 1.0, v10, vcc_lo
	s_or_b32 s22, s0, vcc_lo
	s_xor_b32 s23, s22, -1
	s_delay_alu instid0(SALU_CYCLE_1)
	s_and_saveexec_b32 s22, s23
	s_cbranch_execz .LBB1_15
; %bb.12:                               ;   in Loop: Header=BB1_7 Depth=1
	v_mbcnt_lo_u32_b32 v1, exec_lo, 0
	s_mov_b32 s23, exec_lo
	s_delay_alu instid0(VALU_DEP_1)
	v_cmpx_eq_u32_e32 0, v1
	s_cbranch_execz .LBB1_14
; %bb.13:                               ;   in Loop: Header=BB1_7 Depth=1
	v_mov_b32_e32 v1, s26
	global_atomic_min_i32 v2, v1, s[16:17]
.LBB1_14:                               ;   in Loop: Header=BB1_7 Depth=1
	s_or_b32 exec_lo, exec_lo, s23
	v_mov_b32_e32 v1, 1.0
.LBB1_15:                               ;   in Loop: Header=BB1_7 Depth=1
	s_or_b32 exec_lo, exec_lo, s22
	s_cmp_lt_i32 s5, 1
	s_mov_b32 s22, 0
	s_cbranch_scc1 .LBB1_20
; %bb.16:                               ;   in Loop: Header=BB1_7 Depth=1
	s_cmp_eq_u32 s5, 1
	s_cbranch_scc0 .LBB1_21
; %bb.17:                               ;   in Loop: Header=BB1_7 Depth=1
	v_mov_b32_e32 v9, v8
	s_cmp_ge_i32 s28, s20
	s_mov_b32 s23, 0
	s_cbranch_scc0 .LBB1_23
; %bb.18:                               ;   in Loop: Header=BB1_7 Depth=1
	s_cmp_eq_u32 s28, s20
	s_cbranch_scc0 .LBB1_22
; %bb.19:                               ;   in Loop: Header=BB1_7 Depth=1
	v_div_scale_f32 v9, null, v1, v1, 1.0
	s_delay_alu instid0(VALU_DEP_1) | instskip(SKIP_2) | instid1(VALU_DEP_1)
	v_rcp_f32_e32 v10, v9
	s_waitcnt_depctr 0xfff
	v_fma_f32 v11, -v9, v10, 1.0
	v_fmac_f32_e32 v10, v11, v10
	v_div_scale_f32 v11, vcc_lo, 1.0, v1, 1.0
	s_delay_alu instid0(VALU_DEP_1) | instskip(NEXT) | instid1(VALU_DEP_1)
	v_mul_f32_e32 v12, v11, v10
	v_fma_f32 v13, -v9, v12, v11
	s_delay_alu instid0(VALU_DEP_1) | instskip(NEXT) | instid1(VALU_DEP_1)
	v_fmac_f32_e32 v12, v13, v10
	v_fma_f32 v9, -v9, v12, v11
	s_delay_alu instid0(VALU_DEP_1) | instskip(NEXT) | instid1(VALU_DEP_1)
	v_div_fmas_f32 v9, v9, v10, v12
	v_div_fixup_f32 v9, v9, v1, 1.0
	s_delay_alu instid0(VALU_DEP_1)
	v_cndmask_b32_e64 v9, v8, v9, s1
	s_branch .LBB1_23
.LBB1_20:                               ;   in Loop: Header=BB1_7 Depth=1
	s_mov_b32 s23, 0
                                        ; implicit-def: $vgpr10
                                        ; implicit-def: $vgpr9
                                        ; implicit-def: $sgpr29
	s_cbranch_execnz .LBB1_24
	s_branch .LBB1_26
.LBB1_21:                               ;   in Loop: Header=BB1_7 Depth=1
	s_mov_b32 s23, -1
                                        ; implicit-def: $vgpr10
                                        ; implicit-def: $vgpr9
                                        ; implicit-def: $sgpr29
	s_branch .LBB1_26
.LBB1_22:                               ;   in Loop: Header=BB1_7 Depth=1
	s_mov_b32 s23, -1
                                        ; implicit-def: $vgpr9
.LBB1_23:                               ;   in Loop: Header=BB1_7 Depth=1
	v_mov_b32_e32 v10, v7
	s_mov_b32 s29, 4
	s_branch .LBB1_26
.LBB1_24:                               ;   in Loop: Header=BB1_7 Depth=1
	s_cmp_eq_u32 s5, 0
	s_cbranch_scc1 .LBB1_30
; %bb.25:                               ;   in Loop: Header=BB1_7 Depth=1
	s_mov_b32 s23, -1
                                        ; implicit-def: $vgpr10
                                        ; implicit-def: $vgpr9
                                        ; implicit-def: $sgpr29
.LBB1_26:                               ;   in Loop: Header=BB1_7 Depth=1
	s_delay_alu instid0(SALU_CYCLE_1)
	s_and_b32 vcc_lo, exec_lo, s23
	s_cbranch_vccnz .LBB1_33
.LBB1_27:                               ;   in Loop: Header=BB1_7 Depth=1
	s_and_b32 vcc_lo, exec_lo, s22
	s_cbranch_vccnz .LBB1_38
.LBB1_28:                               ;   in Loop: Header=BB1_7 Depth=1
	s_cmp_gt_i32 s29, 3
	s_mov_b32 s22, -1
	s_cbranch_scc1 .LBB1_39
.LBB1_29:                               ;   in Loop: Header=BB1_7 Depth=1
	s_cmp_eq_u32 s29, 0
	s_cselect_b32 s23, -1, 0
	s_delay_alu instid0(SALU_CYCLE_1)
	s_and_not1_b32 vcc_lo, exec_lo, s23
	s_cbranch_vccz .LBB1_6
	s_branch .LBB1_40
.LBB1_30:                               ;   in Loop: Header=BB1_7 Depth=1
	s_cmp_le_i32 s28, s20
	s_mov_b32 s23, 0
	s_cbranch_scc0 .LBB1_32
; %bb.31:                               ;   in Loop: Header=BB1_7 Depth=1
	s_cmp_lg_u32 s28, s20
	s_mov_b32 s22, -1
	s_cselect_b32 s23, -1, 0
.LBB1_32:                               ;   in Loop: Header=BB1_7 Depth=1
	v_dual_mov_b32 v10, v7 :: v_dual_mov_b32 v9, v8
	s_mov_b32 s29, 2
	s_and_b32 vcc_lo, exec_lo, s23
	s_cbranch_vccz .LBB1_27
.LBB1_33:                               ;   in Loop: Header=BB1_7 Depth=1
	s_and_saveexec_b32 s29, s3
	s_cbranch_execz .LBB1_35
; %bb.34:                               ;   in Loop: Header=BB1_7 Depth=1
	s_add_i32 s22, s28, s7
	s_delay_alu instid0(SALU_CYCLE_1) | instskip(NEXT) | instid1(SALU_CYCLE_1)
	s_ashr_i32 s23, s22, 31
	s_lshl_b64 s[22:23], s[22:23], 2
	s_delay_alu instid0(SALU_CYCLE_1)
	s_add_u32 s22, s10, s22
	s_addc_u32 s23, s11, s23
	global_load_b32 v9, v2, s[22:23] glc
	s_waitcnt vmcnt(0)
	v_cmp_ne_u32_e32 vcc_lo, 0, v9
	s_cbranch_vccz .LBB1_41
.LBB1_35:                               ;   in Loop: Header=BB1_7 Depth=1
	s_or_b32 exec_lo, exec_lo, s29
	v_mov_b32_e32 v10, 0
	s_waitcnt_vscnt null, 0x0
	s_barrier
	buffer_gl0_inv
	buffer_gl1_inv
	buffer_gl0_inv
	s_and_saveexec_b32 s22, s2
	s_cbranch_execz .LBB1_37
; %bb.36:                               ;   in Loop: Header=BB1_7 Depth=1
	s_mul_i32 s23, s28, s9
	s_mul_hi_u32 s29, s28, s8
	s_ashr_i32 s30, s28, 31
	s_add_i32 s23, s29, s23
	s_mul_i32 s30, s30, s8
	s_mul_i32 s28, s28, s8
	s_add_i32 s29, s23, s30
	s_delay_alu instid0(SALU_CYCLE_1) | instskip(NEXT) | instid1(SALU_CYCLE_1)
	s_lshl_b64 s[28:29], s[28:29], 2
	v_add_co_u32 v9, vcc_lo, v3, s28
	v_add_co_ci_u32_e32 v10, vcc_lo, s29, v4, vcc_lo
	global_load_b32 v9, v[9:10], off
	s_waitcnt vmcnt(0)
	v_fma_f32 v10, -v1, v9, v7
.LBB1_37:                               ;   in Loop: Header=BB1_7 Depth=1
	s_or_b32 exec_lo, exec_lo, s22
	v_mov_b32_e32 v9, v8
	s_mov_b32 s29, 0
	s_branch .LBB1_28
.LBB1_38:                               ;   in Loop: Header=BB1_7 Depth=1
	v_div_scale_f32 v9, null, v1, v1, 1.0
	v_div_scale_f32 v12, vcc_lo, 1.0, v1, 1.0
	s_mov_b32 s29, 2
	s_delay_alu instid0(VALU_DEP_2) | instskip(SKIP_2) | instid1(VALU_DEP_1)
	v_rcp_f32_e32 v10, v9
	s_waitcnt_depctr 0xfff
	v_fma_f32 v11, -v9, v10, 1.0
	v_fmac_f32_e32 v10, v11, v10
	s_delay_alu instid0(VALU_DEP_1) | instskip(NEXT) | instid1(VALU_DEP_1)
	v_mul_f32_e32 v11, v12, v10
	v_fma_f32 v13, -v9, v11, v12
	s_delay_alu instid0(VALU_DEP_1) | instskip(NEXT) | instid1(VALU_DEP_1)
	v_fmac_f32_e32 v11, v13, v10
	v_fma_f32 v9, -v9, v11, v12
	s_delay_alu instid0(VALU_DEP_1) | instskip(SKIP_1) | instid1(VALU_DEP_2)
	v_div_fmas_f32 v9, v9, v10, v11
	v_mov_b32_e32 v10, v7
	v_div_fixup_f32 v1, v9, v1, 1.0
	s_delay_alu instid0(VALU_DEP_1)
	v_cndmask_b32_e64 v9, v8, v1, s1
	s_cmp_gt_i32 s29, 3
	s_mov_b32 s22, -1
	s_cbranch_scc0 .LBB1_29
.LBB1_39:                               ;   in Loop: Header=BB1_7 Depth=1
	s_branch .LBB1_6
.LBB1_40:                               ;   in Loop: Header=BB1_7 Depth=1
                                        ; implicit-def: $sgpr27
	v_dual_mov_b32 v7, v10 :: v_dual_mov_b32 v8, v9
	s_and_not1_b32 vcc_lo, exec_lo, s22
	s_cbranch_vccnz .LBB1_7
	s_branch .LBB1_46
.LBB1_41:                               ;   in Loop: Header=BB1_7 Depth=1
	s_mov_b32 s30, 0
	s_branch .LBB1_43
	.p2align	6
.LBB1_42:                               ;   in Loop: Header=BB1_43 Depth=2
	global_load_b32 v9, v2, s[22:23] glc
	s_cmpk_lt_u32 s30, 0xf43
	s_cselect_b32 s31, -1, 0
	s_delay_alu instid0(SALU_CYCLE_1)
	s_cmp_lg_u32 s31, 0
	s_addc_u32 s30, s30, 0
	s_waitcnt vmcnt(0)
	v_cmp_ne_u32_e32 vcc_lo, 0, v9
	s_cbranch_vccnz .LBB1_35
.LBB1_43:                               ;   Parent Loop BB1_7 Depth=1
                                        ; =>  This Loop Header: Depth=2
                                        ;       Child Loop BB1_44 Depth 3
	s_cmp_eq_u32 s30, 0
	s_mov_b32 s31, s30
	s_cbranch_scc1 .LBB1_42
.LBB1_44:                               ;   Parent Loop BB1_7 Depth=1
                                        ;     Parent Loop BB1_43 Depth=2
                                        ; =>    This Inner Loop Header: Depth=3
	s_add_i32 s31, s31, -1
	s_sleep 1
	s_cmp_eq_u32 s31, 0
	s_cbranch_scc0 .LBB1_44
	s_branch .LBB1_42
.LBB1_45:
	v_mov_b32_e32 v10, v7
.LBB1_46:
	s_and_saveexec_b32 s0, s2
	s_cbranch_execz .LBB1_48
; %bb.47:
	s_delay_alu instid0(VALU_DEP_1) | instskip(SKIP_3) | instid1(VALU_DEP_1)
	v_mul_f32_e32 v1, v9, v10
	s_cmp_eq_u32 s6, 0
	s_cselect_b32 vcc_lo, -1, 0
	s_lshl_b64 s[2:3], s[18:19], 2
	v_cndmask_b32_e32 v5, v10, v1, vcc_lo
	v_add_co_u32 v1, vcc_lo, v3, s2
	v_add_co_ci_u32_e32 v2, vcc_lo, s3, v4, vcc_lo
	global_store_b32 v[1:2], v5, off
.LBB1_48:
	s_or_b32 exec_lo, exec_lo, s0
	s_waitcnt_vscnt null, 0x0
	buffer_gl1_inv
	buffer_gl0_inv
	s_barrier
	buffer_gl0_inv
	s_mov_b32 s0, exec_lo
	v_cmpx_eq_u32_e32 0, v0
	s_cbranch_execz .LBB1_50
; %bb.49:
	s_add_i32 s0, s20, s7
	v_dual_mov_b32 v0, 0 :: v_dual_mov_b32 v1, 1
	s_ashr_i32 s1, s0, 31
	s_delay_alu instid0(SALU_CYCLE_1) | instskip(NEXT) | instid1(SALU_CYCLE_1)
	s_lshl_b64 s[0:1], s[0:1], 2
	s_add_u32 s0, s10, s0
	s_addc_u32 s1, s11, s1
	global_store_b32 v0, v1, s[0:1]
.LBB1_50:
	s_nop 0
	s_sendmsg sendmsg(MSG_DEALLOC_VGPRS)
	s_endpgm
	.section	.rodata,"a",@progbits
	.p2align	6, 0x0
	.amdhsa_kernel _ZN9rocsparseL5csrsmILj64ELj64ELb1EiifEEv20rocsparse_operation_T3_S2_NS_24const_host_device_scalarIT4_EEPKT2_PKS2_PKS4_PS4_lPiSA_PS2_21rocsparse_index_base_20rocsparse_fill_mode_20rocsparse_diag_type_b
		.amdhsa_group_segment_fixed_size 512
		.amdhsa_private_segment_fixed_size 0
		.amdhsa_kernarg_size 104
		.amdhsa_user_sgpr_count 15
		.amdhsa_user_sgpr_dispatch_ptr 0
		.amdhsa_user_sgpr_queue_ptr 0
		.amdhsa_user_sgpr_kernarg_segment_ptr 1
		.amdhsa_user_sgpr_dispatch_id 0
		.amdhsa_user_sgpr_private_segment_size 0
		.amdhsa_wavefront_size32 1
		.amdhsa_uses_dynamic_stack 0
		.amdhsa_enable_private_segment 0
		.amdhsa_system_sgpr_workgroup_id_x 1
		.amdhsa_system_sgpr_workgroup_id_y 0
		.amdhsa_system_sgpr_workgroup_id_z 0
		.amdhsa_system_sgpr_workgroup_info 0
		.amdhsa_system_vgpr_workitem_id 0
		.amdhsa_next_free_vgpr 14
		.amdhsa_next_free_sgpr 32
		.amdhsa_reserve_vcc 1
		.amdhsa_float_round_mode_32 0
		.amdhsa_float_round_mode_16_64 0
		.amdhsa_float_denorm_mode_32 3
		.amdhsa_float_denorm_mode_16_64 3
		.amdhsa_dx10_clamp 1
		.amdhsa_ieee_mode 1
		.amdhsa_fp16_overflow 0
		.amdhsa_workgroup_processor_mode 1
		.amdhsa_memory_ordered 1
		.amdhsa_forward_progress 0
		.amdhsa_shared_vgpr_count 0
		.amdhsa_exception_fp_ieee_invalid_op 0
		.amdhsa_exception_fp_denorm_src 0
		.amdhsa_exception_fp_ieee_div_zero 0
		.amdhsa_exception_fp_ieee_overflow 0
		.amdhsa_exception_fp_ieee_underflow 0
		.amdhsa_exception_fp_ieee_inexact 0
		.amdhsa_exception_int_div_zero 0
	.end_amdhsa_kernel
	.section	.text._ZN9rocsparseL5csrsmILj64ELj64ELb1EiifEEv20rocsparse_operation_T3_S2_NS_24const_host_device_scalarIT4_EEPKT2_PKS2_PKS4_PS4_lPiSA_PS2_21rocsparse_index_base_20rocsparse_fill_mode_20rocsparse_diag_type_b,"axG",@progbits,_ZN9rocsparseL5csrsmILj64ELj64ELb1EiifEEv20rocsparse_operation_T3_S2_NS_24const_host_device_scalarIT4_EEPKT2_PKS2_PKS4_PS4_lPiSA_PS2_21rocsparse_index_base_20rocsparse_fill_mode_20rocsparse_diag_type_b,comdat
.Lfunc_end1:
	.size	_ZN9rocsparseL5csrsmILj64ELj64ELb1EiifEEv20rocsparse_operation_T3_S2_NS_24const_host_device_scalarIT4_EEPKT2_PKS2_PKS4_PS4_lPiSA_PS2_21rocsparse_index_base_20rocsparse_fill_mode_20rocsparse_diag_type_b, .Lfunc_end1-_ZN9rocsparseL5csrsmILj64ELj64ELb1EiifEEv20rocsparse_operation_T3_S2_NS_24const_host_device_scalarIT4_EEPKT2_PKS2_PKS4_PS4_lPiSA_PS2_21rocsparse_index_base_20rocsparse_fill_mode_20rocsparse_diag_type_b
                                        ; -- End function
	.section	.AMDGPU.csdata,"",@progbits
; Kernel info:
; codeLenInByte = 1712
; NumSgprs: 34
; NumVgprs: 14
; ScratchSize: 0
; MemoryBound: 0
; FloatMode: 240
; IeeeMode: 1
; LDSByteSize: 512 bytes/workgroup (compile time only)
; SGPRBlocks: 4
; VGPRBlocks: 1
; NumSGPRsForWavesPerEU: 34
; NumVGPRsForWavesPerEU: 14
; Occupancy: 16
; WaveLimiterHint : 1
; COMPUTE_PGM_RSRC2:SCRATCH_EN: 0
; COMPUTE_PGM_RSRC2:USER_SGPR: 15
; COMPUTE_PGM_RSRC2:TRAP_HANDLER: 0
; COMPUTE_PGM_RSRC2:TGID_X_EN: 1
; COMPUTE_PGM_RSRC2:TGID_Y_EN: 0
; COMPUTE_PGM_RSRC2:TGID_Z_EN: 0
; COMPUTE_PGM_RSRC2:TIDIG_COMP_CNT: 0
	.section	.text._ZN9rocsparseL5csrsmILj64ELj64ELb0EiifEEv20rocsparse_operation_T3_S2_NS_24const_host_device_scalarIT4_EEPKT2_PKS2_PKS4_PS4_lPiSA_PS2_21rocsparse_index_base_20rocsparse_fill_mode_20rocsparse_diag_type_b,"axG",@progbits,_ZN9rocsparseL5csrsmILj64ELj64ELb0EiifEEv20rocsparse_operation_T3_S2_NS_24const_host_device_scalarIT4_EEPKT2_PKS2_PKS4_PS4_lPiSA_PS2_21rocsparse_index_base_20rocsparse_fill_mode_20rocsparse_diag_type_b,comdat
	.globl	_ZN9rocsparseL5csrsmILj64ELj64ELb0EiifEEv20rocsparse_operation_T3_S2_NS_24const_host_device_scalarIT4_EEPKT2_PKS2_PKS4_PS4_lPiSA_PS2_21rocsparse_index_base_20rocsparse_fill_mode_20rocsparse_diag_type_b ; -- Begin function _ZN9rocsparseL5csrsmILj64ELj64ELb0EiifEEv20rocsparse_operation_T3_S2_NS_24const_host_device_scalarIT4_EEPKT2_PKS2_PKS4_PS4_lPiSA_PS2_21rocsparse_index_base_20rocsparse_fill_mode_20rocsparse_diag_type_b
	.p2align	8
	.type	_ZN9rocsparseL5csrsmILj64ELj64ELb0EiifEEv20rocsparse_operation_T3_S2_NS_24const_host_device_scalarIT4_EEPKT2_PKS2_PKS4_PS4_lPiSA_PS2_21rocsparse_index_base_20rocsparse_fill_mode_20rocsparse_diag_type_b,@function
_ZN9rocsparseL5csrsmILj64ELj64ELb0EiifEEv20rocsparse_operation_T3_S2_NS_24const_host_device_scalarIT4_EEPKT2_PKS2_PKS4_PS4_lPiSA_PS2_21rocsparse_index_base_20rocsparse_fill_mode_20rocsparse_diag_type_b: ; @_ZN9rocsparseL5csrsmILj64ELj64ELb0EiifEEv20rocsparse_operation_T3_S2_NS_24const_host_device_scalarIT4_EEPKT2_PKS2_PKS4_PS4_lPiSA_PS2_21rocsparse_index_base_20rocsparse_fill_mode_20rocsparse_diag_type_b
; %bb.0:
	s_clause 0x3
	s_load_b128 s[4:7], s[0:1], 0x58
	s_load_b64 s[2:3], s[0:1], 0x48
	s_load_b128 s[16:19], s[0:1], 0x10
	s_load_b64 s[12:13], s[0:1], 0x30
	s_waitcnt lgkmcnt(0)
	s_bitcmp1_b32 s7, 0
	s_cselect_b32 s7, -1, 0
	s_delay_alu instid0(SALU_CYCLE_1)
	s_and_b32 vcc_lo, exec_lo, s7
	s_cbranch_vccnz .LBB2_2
; %bb.1:
	s_load_b32 s16, s[16:17], 0x0
.LBB2_2:
	s_load_b64 s[24:25], s[0:1], 0x4
	v_mov_b32_e32 v7, 0
	s_waitcnt lgkmcnt(0)
	v_cvt_f32_u32_e32 v1, s24
	s_sub_i32 s8, 0, s24
	s_delay_alu instid0(VALU_DEP_1) | instskip(SKIP_2) | instid1(VALU_DEP_1)
	v_rcp_iflag_f32_e32 v1, v1
	s_waitcnt_depctr 0xfff
	v_mul_f32_e32 v1, 0x4f7ffffe, v1
	v_cvt_u32_f32_e32 v1, v1
	s_delay_alu instid0(VALU_DEP_1) | instskip(NEXT) | instid1(VALU_DEP_1)
	v_readfirstlane_b32 s7, v1
	s_mul_i32 s8, s8, s7
	s_delay_alu instid0(SALU_CYCLE_1) | instskip(NEXT) | instid1(SALU_CYCLE_1)
	s_mul_hi_u32 s8, s7, s8
	s_add_i32 s7, s7, s8
	s_delay_alu instid0(SALU_CYCLE_1) | instskip(NEXT) | instid1(SALU_CYCLE_1)
	s_mul_hi_u32 s7, s15, s7
	s_mul_i32 s8, s7, s24
	s_add_i32 s9, s7, 1
	s_sub_i32 s8, s15, s8
	s_delay_alu instid0(SALU_CYCLE_1)
	s_sub_i32 s10, s8, s24
	s_cmp_ge_u32 s8, s24
	s_cselect_b32 s7, s9, s7
	s_cselect_b32 s8, s10, s8
	s_add_i32 s9, s7, 1
	s_cmp_ge_u32 s8, s24
	s_cselect_b32 s14, s9, s7
	s_delay_alu instid0(SALU_CYCLE_1) | instskip(SKIP_2) | instid1(SALU_CYCLE_1)
	s_mul_i32 s7, s14, s24
	v_lshl_or_b32 v1, s14, 6, v0
	s_sub_i32 s8, s15, s7
	s_ashr_i32 s9, s8, 31
	s_delay_alu instid0(VALU_DEP_1) | instskip(SKIP_1) | instid1(SALU_CYCLE_1)
	v_ashrrev_i32_e32 v2, 31, v1
	s_lshl_b64 s[8:9], s[8:9], 2
	s_add_u32 s2, s2, s8
	s_addc_u32 s3, s3, s9
	s_load_b32 s20, s[2:3], 0x0
	s_load_b128 s[8:11], s[0:1], 0x38
	s_waitcnt lgkmcnt(0)
	s_ashr_i32 s21, s20, 31
	s_delay_alu instid0(SALU_CYCLE_1)
	s_lshl_b64 s[2:3], s[20:21], 2
	s_mul_i32 s14, s21, s8
	s_add_u32 s2, s18, s2
	s_addc_u32 s3, s19, s3
	s_mul_i32 s18, s20, s8
	s_load_b64 s[22:23], s[2:3], 0x0
	s_mul_i32 s2, s20, s9
	s_mul_hi_u32 s3, s20, s8
	s_delay_alu instid0(SALU_CYCLE_1) | instskip(SKIP_2) | instid1(VALU_DEP_1)
	s_add_i32 s3, s3, s2
	v_cmp_gt_i32_e64 s2, s25, v1
	s_add_i32 s19, s3, s14
	s_and_saveexec_b32 s3, s2
	s_cbranch_execz .LBB2_4
; %bb.3:
	v_add_co_u32 v3, vcc_lo, s18, v1
	v_add_co_ci_u32_e32 v4, vcc_lo, s19, v2, vcc_lo
	s_delay_alu instid0(VALU_DEP_1) | instskip(NEXT) | instid1(VALU_DEP_1)
	v_lshlrev_b64 v[3:4], 2, v[3:4]
	v_add_co_u32 v3, vcc_lo, s12, v3
	s_delay_alu instid0(VALU_DEP_2)
	v_add_co_ci_u32_e32 v4, vcc_lo, s13, v4, vcc_lo
	global_load_b32 v3, v[3:4], off
	s_waitcnt vmcnt(0)
	v_mul_f32_e32 v7, s16, v3
.LBB2_4:
	s_or_b32 exec_lo, exec_lo, s3
	v_lshlrev_b64 v[1:2], 2, v[1:2]
	v_mov_b32_e32 v9, 1.0
	v_cmp_eq_u32_e64 s3, 0, v0
	s_waitcnt lgkmcnt(0)
	s_cmp_ge_i32 s22, s23
	s_delay_alu instid0(VALU_DEP_3)
	v_add_co_u32 v3, vcc_lo, s12, v1
	v_add_co_ci_u32_e32 v4, vcc_lo, s13, v2, vcc_lo
	s_cbranch_scc1 .LBB2_42
; %bb.5:
	s_clause 0x1
	s_load_b64 s[16:17], s[0:1], 0x50
	s_load_b128 s[12:15], s[0:1], 0x20
	v_dual_mov_b32 v8, 1.0 :: v_dual_lshlrev_b32 v5, 2, v0
	s_sub_i32 s21, s22, s4
	s_sub_i32 s24, s23, s4
	s_cmp_lg_u32 s6, 0
	s_delay_alu instid0(VALU_DEP_1)
	v_or_b32_e32 v6, 0x100, v5
	s_cselect_b32 s25, -1, 0
	v_cmp_ne_u32_e64 s0, 0, v0
	s_add_i32 s26, s20, s4
	v_mov_b32_e32 v2, 0
	s_cmp_eq_u32 s6, 0
	s_mov_b32 s27, s21
	s_cselect_b32 s1, -1, 0
	s_branch .LBB2_7
.LBB2_6:                                ;   in Loop: Header=BB2_7 Depth=1
	s_add_i32 s27, s27, 1
	s_delay_alu instid0(SALU_CYCLE_1)
	s_cmp_ge_i32 s27, s24
	s_cselect_b32 s22, -1, 0
	v_dual_mov_b32 v7, v10 :: v_dual_mov_b32 v8, v9
	s_and_not1_b32 vcc_lo, exec_lo, s22
	s_cbranch_vccz .LBB2_43
.LBB2_7:                                ; =>This Loop Header: Depth=1
                                        ;     Child Loop BB2_35 Depth 2
	s_sub_i32 s22, s27, s21
	s_delay_alu instid0(SALU_CYCLE_1) | instskip(NEXT) | instid1(SALU_CYCLE_1)
	s_and_b32 s22, s22, 63
	s_cmp_lg_u32 s22, 0
	s_cbranch_scc1 .LBB2_11
; %bb.8:                                ;   in Loop: Header=BB2_7 Depth=1
	s_sub_i32 s23, s24, s27
	v_mov_b32_e32 v1, -1
	v_cmp_gt_u32_e32 vcc_lo, s23, v0
	v_mov_b32_e32 v9, -1.0
	s_and_saveexec_b32 s23, vcc_lo
	s_cbranch_execz .LBB2_10
; %bb.9:                                ;   in Loop: Header=BB2_7 Depth=1
	v_add_nc_u32_e32 v1, s27, v0
	s_delay_alu instid0(VALU_DEP_1) | instskip(SKIP_1) | instid1(VALU_DEP_1)
	v_lshlrev_b64 v[9:10], 2, v[1:2]
	s_waitcnt lgkmcnt(0)
	v_add_co_u32 v11, vcc_lo, s12, v9
	s_delay_alu instid0(VALU_DEP_2)
	v_add_co_ci_u32_e32 v12, vcc_lo, s13, v10, vcc_lo
	v_add_co_u32 v9, vcc_lo, s14, v9
	v_add_co_ci_u32_e32 v10, vcc_lo, s15, v10, vcc_lo
	global_load_b32 v1, v[11:12], off
	global_load_b32 v9, v[9:10], off
	s_waitcnt vmcnt(1)
	v_subrev_nc_u32_e32 v1, s4, v1
.LBB2_10:                               ;   in Loop: Header=BB2_7 Depth=1
	s_or_b32 exec_lo, exec_lo, s23
	ds_store_b32 v5, v1
	s_waitcnt vmcnt(0)
	ds_store_b32 v6, v9
.LBB2_11:                               ;   in Loop: Header=BB2_7 Depth=1
	s_lshl_b32 s22, s22, 2
	s_waitcnt lgkmcnt(0)
	v_mov_b32_e32 v1, s22
	s_waitcnt_vscnt null, 0x0
	s_barrier
	buffer_gl0_inv
	ds_load_2addr_stride64_b32 v[9:10], v1 offset1:1
	s_waitcnt lgkmcnt(0)
	v_readfirstlane_b32 s28, v9
	v_cmp_neq_f32_e32 vcc_lo, 0, v10
	s_delay_alu instid0(VALU_DEP_2) | instskip(SKIP_1) | instid1(SALU_CYCLE_1)
	s_cmp_lg_u32 s28, s20
	s_cselect_b32 s22, -1, 0
	s_or_b32 s22, s25, s22
	s_delay_alu instid0(SALU_CYCLE_1) | instskip(SKIP_2) | instid1(SALU_CYCLE_1)
	s_or_b32 vcc_lo, vcc_lo, s22
	v_cndmask_b32_e32 v1, 1.0, v10, vcc_lo
	s_or_b32 s22, s0, vcc_lo
	s_xor_b32 s23, s22, -1
	s_delay_alu instid0(SALU_CYCLE_1)
	s_and_saveexec_b32 s22, s23
	s_cbranch_execz .LBB2_15
; %bb.12:                               ;   in Loop: Header=BB2_7 Depth=1
	v_mbcnt_lo_u32_b32 v1, exec_lo, 0
	s_mov_b32 s23, exec_lo
	s_delay_alu instid0(VALU_DEP_1)
	v_cmpx_eq_u32_e32 0, v1
	s_cbranch_execz .LBB2_14
; %bb.13:                               ;   in Loop: Header=BB2_7 Depth=1
	v_mov_b32_e32 v1, s26
	global_atomic_min_i32 v2, v1, s[16:17]
.LBB2_14:                               ;   in Loop: Header=BB2_7 Depth=1
	s_or_b32 exec_lo, exec_lo, s23
	v_mov_b32_e32 v1, 1.0
.LBB2_15:                               ;   in Loop: Header=BB2_7 Depth=1
	s_or_b32 exec_lo, exec_lo, s22
	s_cmp_lt_i32 s5, 1
	s_mov_b32 s22, 0
	s_cbranch_scc1 .LBB2_20
; %bb.16:                               ;   in Loop: Header=BB2_7 Depth=1
	s_cmp_eq_u32 s5, 1
	s_cbranch_scc0 .LBB2_21
; %bb.17:                               ;   in Loop: Header=BB2_7 Depth=1
	v_mov_b32_e32 v9, v8
	s_cmp_ge_i32 s28, s20
	s_mov_b32 s23, 0
	s_cbranch_scc0 .LBB2_23
; %bb.18:                               ;   in Loop: Header=BB2_7 Depth=1
	s_cmp_eq_u32 s28, s20
	s_cbranch_scc0 .LBB2_22
; %bb.19:                               ;   in Loop: Header=BB2_7 Depth=1
	v_div_scale_f32 v9, null, v1, v1, 1.0
	s_delay_alu instid0(VALU_DEP_1) | instskip(SKIP_2) | instid1(VALU_DEP_1)
	v_rcp_f32_e32 v10, v9
	s_waitcnt_depctr 0xfff
	v_fma_f32 v11, -v9, v10, 1.0
	v_fmac_f32_e32 v10, v11, v10
	v_div_scale_f32 v11, vcc_lo, 1.0, v1, 1.0
	s_delay_alu instid0(VALU_DEP_1) | instskip(NEXT) | instid1(VALU_DEP_1)
	v_mul_f32_e32 v12, v11, v10
	v_fma_f32 v13, -v9, v12, v11
	s_delay_alu instid0(VALU_DEP_1) | instskip(NEXT) | instid1(VALU_DEP_1)
	v_fmac_f32_e32 v12, v13, v10
	v_fma_f32 v9, -v9, v12, v11
	s_delay_alu instid0(VALU_DEP_1) | instskip(NEXT) | instid1(VALU_DEP_1)
	v_div_fmas_f32 v9, v9, v10, v12
	v_div_fixup_f32 v9, v9, v1, 1.0
	s_delay_alu instid0(VALU_DEP_1)
	v_cndmask_b32_e64 v9, v8, v9, s1
	s_branch .LBB2_23
.LBB2_20:                               ;   in Loop: Header=BB2_7 Depth=1
	s_mov_b32 s23, 0
                                        ; implicit-def: $vgpr10
                                        ; implicit-def: $vgpr9
                                        ; implicit-def: $sgpr29
	s_cbranch_execnz .LBB2_24
	s_branch .LBB2_26
.LBB2_21:                               ;   in Loop: Header=BB2_7 Depth=1
	s_mov_b32 s23, -1
                                        ; implicit-def: $vgpr10
                                        ; implicit-def: $vgpr9
                                        ; implicit-def: $sgpr29
	s_branch .LBB2_26
.LBB2_22:                               ;   in Loop: Header=BB2_7 Depth=1
	s_mov_b32 s23, -1
                                        ; implicit-def: $vgpr9
.LBB2_23:                               ;   in Loop: Header=BB2_7 Depth=1
	v_mov_b32_e32 v10, v7
	s_mov_b32 s29, 4
	s_branch .LBB2_26
.LBB2_24:                               ;   in Loop: Header=BB2_7 Depth=1
	s_cmp_eq_u32 s5, 0
	s_cbranch_scc1 .LBB2_30
; %bb.25:                               ;   in Loop: Header=BB2_7 Depth=1
	s_mov_b32 s23, -1
                                        ; implicit-def: $vgpr10
                                        ; implicit-def: $vgpr9
                                        ; implicit-def: $sgpr29
.LBB2_26:                               ;   in Loop: Header=BB2_7 Depth=1
	s_delay_alu instid0(SALU_CYCLE_1)
	s_and_b32 vcc_lo, exec_lo, s23
	s_cbranch_vccnz .LBB2_33
.LBB2_27:                               ;   in Loop: Header=BB2_7 Depth=1
	s_and_b32 vcc_lo, exec_lo, s22
	s_cbranch_vccnz .LBB2_39
.LBB2_28:                               ;   in Loop: Header=BB2_7 Depth=1
	s_cmp_gt_i32 s29, 3
	s_mov_b32 s22, -1
	s_cbranch_scc1 .LBB2_40
.LBB2_29:                               ;   in Loop: Header=BB2_7 Depth=1
	s_cmp_eq_u32 s29, 0
	s_cselect_b32 s23, -1, 0
	s_delay_alu instid0(SALU_CYCLE_1)
	s_and_not1_b32 vcc_lo, exec_lo, s23
	s_cbranch_vccz .LBB2_6
	s_branch .LBB2_41
.LBB2_30:                               ;   in Loop: Header=BB2_7 Depth=1
	s_cmp_le_i32 s28, s20
	s_mov_b32 s23, 0
	s_cbranch_scc0 .LBB2_32
; %bb.31:                               ;   in Loop: Header=BB2_7 Depth=1
	s_cmp_lg_u32 s28, s20
	s_mov_b32 s22, -1
	s_cselect_b32 s23, -1, 0
.LBB2_32:                               ;   in Loop: Header=BB2_7 Depth=1
	v_dual_mov_b32 v10, v7 :: v_dual_mov_b32 v9, v8
	s_mov_b32 s29, 2
	s_and_b32 vcc_lo, exec_lo, s23
	s_cbranch_vccz .LBB2_27
.LBB2_33:                               ;   in Loop: Header=BB2_7 Depth=1
	s_and_saveexec_b32 s29, s3
	s_cbranch_execz .LBB2_36
; %bb.34:                               ;   in Loop: Header=BB2_7 Depth=1
	s_add_i32 s22, s28, s7
	s_delay_alu instid0(SALU_CYCLE_1) | instskip(NEXT) | instid1(SALU_CYCLE_1)
	s_ashr_i32 s23, s22, 31
	s_lshl_b64 s[22:23], s[22:23], 2
	s_delay_alu instid0(SALU_CYCLE_1)
	s_add_u32 s22, s10, s22
	s_addc_u32 s23, s11, s23
	global_load_b32 v9, v2, s[22:23] glc
	s_waitcnt vmcnt(0)
	v_cmp_ne_u32_e32 vcc_lo, 0, v9
	s_cbranch_vccnz .LBB2_36
.LBB2_35:                               ;   Parent Loop BB2_7 Depth=1
                                        ; =>  This Inner Loop Header: Depth=2
	global_load_b32 v9, v2, s[22:23] glc
	s_waitcnt vmcnt(0)
	v_cmp_eq_u32_e32 vcc_lo, 0, v9
	s_cbranch_vccnz .LBB2_35
.LBB2_36:                               ;   in Loop: Header=BB2_7 Depth=1
	s_or_b32 exec_lo, exec_lo, s29
	v_mov_b32_e32 v10, 0
	s_waitcnt_vscnt null, 0x0
	s_barrier
	buffer_gl0_inv
	buffer_gl1_inv
	buffer_gl0_inv
	s_and_saveexec_b32 s22, s2
	s_cbranch_execz .LBB2_38
; %bb.37:                               ;   in Loop: Header=BB2_7 Depth=1
	s_mul_i32 s23, s28, s9
	s_mul_hi_u32 s29, s28, s8
	s_ashr_i32 s30, s28, 31
	s_add_i32 s23, s29, s23
	s_mul_i32 s30, s30, s8
	s_mul_i32 s28, s28, s8
	s_add_i32 s29, s23, s30
	s_delay_alu instid0(SALU_CYCLE_1) | instskip(NEXT) | instid1(SALU_CYCLE_1)
	s_lshl_b64 s[28:29], s[28:29], 2
	v_add_co_u32 v9, vcc_lo, v3, s28
	v_add_co_ci_u32_e32 v10, vcc_lo, s29, v4, vcc_lo
	global_load_b32 v9, v[9:10], off
	s_waitcnt vmcnt(0)
	v_fma_f32 v10, -v1, v9, v7
.LBB2_38:                               ;   in Loop: Header=BB2_7 Depth=1
	s_or_b32 exec_lo, exec_lo, s22
	v_mov_b32_e32 v9, v8
	s_mov_b32 s29, 0
	s_branch .LBB2_28
.LBB2_39:                               ;   in Loop: Header=BB2_7 Depth=1
	v_div_scale_f32 v9, null, v1, v1, 1.0
	v_div_scale_f32 v12, vcc_lo, 1.0, v1, 1.0
	s_mov_b32 s29, 2
	s_delay_alu instid0(VALU_DEP_2) | instskip(SKIP_2) | instid1(VALU_DEP_1)
	v_rcp_f32_e32 v10, v9
	s_waitcnt_depctr 0xfff
	v_fma_f32 v11, -v9, v10, 1.0
	v_fmac_f32_e32 v10, v11, v10
	s_delay_alu instid0(VALU_DEP_1) | instskip(NEXT) | instid1(VALU_DEP_1)
	v_mul_f32_e32 v11, v12, v10
	v_fma_f32 v13, -v9, v11, v12
	s_delay_alu instid0(VALU_DEP_1) | instskip(NEXT) | instid1(VALU_DEP_1)
	v_fmac_f32_e32 v11, v13, v10
	v_fma_f32 v9, -v9, v11, v12
	s_delay_alu instid0(VALU_DEP_1) | instskip(SKIP_1) | instid1(VALU_DEP_2)
	v_div_fmas_f32 v9, v9, v10, v11
	v_mov_b32_e32 v10, v7
	v_div_fixup_f32 v1, v9, v1, 1.0
	s_delay_alu instid0(VALU_DEP_1)
	v_cndmask_b32_e64 v9, v8, v1, s1
	s_cmp_gt_i32 s29, 3
	s_mov_b32 s22, -1
	s_cbranch_scc0 .LBB2_29
.LBB2_40:                               ;   in Loop: Header=BB2_7 Depth=1
	s_branch .LBB2_6
.LBB2_41:                               ;   in Loop: Header=BB2_7 Depth=1
                                        ; implicit-def: $sgpr27
	v_dual_mov_b32 v7, v10 :: v_dual_mov_b32 v8, v9
	s_and_not1_b32 vcc_lo, exec_lo, s22
	s_cbranch_vccnz .LBB2_7
	s_branch .LBB2_43
.LBB2_42:
	v_mov_b32_e32 v10, v7
.LBB2_43:
	s_and_saveexec_b32 s0, s2
	s_cbranch_execz .LBB2_45
; %bb.44:
	s_delay_alu instid0(VALU_DEP_1) | instskip(SKIP_3) | instid1(VALU_DEP_1)
	v_mul_f32_e32 v1, v9, v10
	s_cmp_eq_u32 s6, 0
	s_cselect_b32 vcc_lo, -1, 0
	s_lshl_b64 s[2:3], s[18:19], 2
	v_cndmask_b32_e32 v5, v10, v1, vcc_lo
	v_add_co_u32 v1, vcc_lo, v3, s2
	v_add_co_ci_u32_e32 v2, vcc_lo, s3, v4, vcc_lo
	global_store_b32 v[1:2], v5, off
.LBB2_45:
	s_or_b32 exec_lo, exec_lo, s0
	s_waitcnt_vscnt null, 0x0
	buffer_gl1_inv
	buffer_gl0_inv
	s_barrier
	buffer_gl0_inv
	s_mov_b32 s0, exec_lo
	v_cmpx_eq_u32_e32 0, v0
	s_cbranch_execz .LBB2_47
; %bb.46:
	s_add_i32 s0, s20, s7
	v_dual_mov_b32 v0, 0 :: v_dual_mov_b32 v1, 1
	s_ashr_i32 s1, s0, 31
	s_delay_alu instid0(SALU_CYCLE_1) | instskip(NEXT) | instid1(SALU_CYCLE_1)
	s_lshl_b64 s[0:1], s[0:1], 2
	s_add_u32 s0, s10, s0
	s_addc_u32 s1, s11, s1
	global_store_b32 v0, v1, s[0:1]
.LBB2_47:
	s_nop 0
	s_sendmsg sendmsg(MSG_DEALLOC_VGPRS)
	s_endpgm
	.section	.rodata,"a",@progbits
	.p2align	6, 0x0
	.amdhsa_kernel _ZN9rocsparseL5csrsmILj64ELj64ELb0EiifEEv20rocsparse_operation_T3_S2_NS_24const_host_device_scalarIT4_EEPKT2_PKS2_PKS4_PS4_lPiSA_PS2_21rocsparse_index_base_20rocsparse_fill_mode_20rocsparse_diag_type_b
		.amdhsa_group_segment_fixed_size 512
		.amdhsa_private_segment_fixed_size 0
		.amdhsa_kernarg_size 104
		.amdhsa_user_sgpr_count 15
		.amdhsa_user_sgpr_dispatch_ptr 0
		.amdhsa_user_sgpr_queue_ptr 0
		.amdhsa_user_sgpr_kernarg_segment_ptr 1
		.amdhsa_user_sgpr_dispatch_id 0
		.amdhsa_user_sgpr_private_segment_size 0
		.amdhsa_wavefront_size32 1
		.amdhsa_uses_dynamic_stack 0
		.amdhsa_enable_private_segment 0
		.amdhsa_system_sgpr_workgroup_id_x 1
		.amdhsa_system_sgpr_workgroup_id_y 0
		.amdhsa_system_sgpr_workgroup_id_z 0
		.amdhsa_system_sgpr_workgroup_info 0
		.amdhsa_system_vgpr_workitem_id 0
		.amdhsa_next_free_vgpr 14
		.amdhsa_next_free_sgpr 31
		.amdhsa_reserve_vcc 1
		.amdhsa_float_round_mode_32 0
		.amdhsa_float_round_mode_16_64 0
		.amdhsa_float_denorm_mode_32 3
		.amdhsa_float_denorm_mode_16_64 3
		.amdhsa_dx10_clamp 1
		.amdhsa_ieee_mode 1
		.amdhsa_fp16_overflow 0
		.amdhsa_workgroup_processor_mode 1
		.amdhsa_memory_ordered 1
		.amdhsa_forward_progress 0
		.amdhsa_shared_vgpr_count 0
		.amdhsa_exception_fp_ieee_invalid_op 0
		.amdhsa_exception_fp_denorm_src 0
		.amdhsa_exception_fp_ieee_div_zero 0
		.amdhsa_exception_fp_ieee_overflow 0
		.amdhsa_exception_fp_ieee_underflow 0
		.amdhsa_exception_fp_ieee_inexact 0
		.amdhsa_exception_int_div_zero 0
	.end_amdhsa_kernel
	.section	.text._ZN9rocsparseL5csrsmILj64ELj64ELb0EiifEEv20rocsparse_operation_T3_S2_NS_24const_host_device_scalarIT4_EEPKT2_PKS2_PKS4_PS4_lPiSA_PS2_21rocsparse_index_base_20rocsparse_fill_mode_20rocsparse_diag_type_b,"axG",@progbits,_ZN9rocsparseL5csrsmILj64ELj64ELb0EiifEEv20rocsparse_operation_T3_S2_NS_24const_host_device_scalarIT4_EEPKT2_PKS2_PKS4_PS4_lPiSA_PS2_21rocsparse_index_base_20rocsparse_fill_mode_20rocsparse_diag_type_b,comdat
.Lfunc_end2:
	.size	_ZN9rocsparseL5csrsmILj64ELj64ELb0EiifEEv20rocsparse_operation_T3_S2_NS_24const_host_device_scalarIT4_EEPKT2_PKS2_PKS4_PS4_lPiSA_PS2_21rocsparse_index_base_20rocsparse_fill_mode_20rocsparse_diag_type_b, .Lfunc_end2-_ZN9rocsparseL5csrsmILj64ELj64ELb0EiifEEv20rocsparse_operation_T3_S2_NS_24const_host_device_scalarIT4_EEPKT2_PKS2_PKS4_PS4_lPiSA_PS2_21rocsparse_index_base_20rocsparse_fill_mode_20rocsparse_diag_type_b
                                        ; -- End function
	.section	.AMDGPU.csdata,"",@progbits
; Kernel info:
; codeLenInByte = 1652
; NumSgprs: 33
; NumVgprs: 14
; ScratchSize: 0
; MemoryBound: 0
; FloatMode: 240
; IeeeMode: 1
; LDSByteSize: 512 bytes/workgroup (compile time only)
; SGPRBlocks: 4
; VGPRBlocks: 1
; NumSGPRsForWavesPerEU: 33
; NumVGPRsForWavesPerEU: 14
; Occupancy: 16
; WaveLimiterHint : 1
; COMPUTE_PGM_RSRC2:SCRATCH_EN: 0
; COMPUTE_PGM_RSRC2:USER_SGPR: 15
; COMPUTE_PGM_RSRC2:TRAP_HANDLER: 0
; COMPUTE_PGM_RSRC2:TGID_X_EN: 1
; COMPUTE_PGM_RSRC2:TGID_Y_EN: 0
; COMPUTE_PGM_RSRC2:TGID_Z_EN: 0
; COMPUTE_PGM_RSRC2:TIDIG_COMP_CNT: 0
	.section	.text._ZN9rocsparseL5csrsmILj128ELj64ELb1EiifEEv20rocsparse_operation_T3_S2_NS_24const_host_device_scalarIT4_EEPKT2_PKS2_PKS4_PS4_lPiSA_PS2_21rocsparse_index_base_20rocsparse_fill_mode_20rocsparse_diag_type_b,"axG",@progbits,_ZN9rocsparseL5csrsmILj128ELj64ELb1EiifEEv20rocsparse_operation_T3_S2_NS_24const_host_device_scalarIT4_EEPKT2_PKS2_PKS4_PS4_lPiSA_PS2_21rocsparse_index_base_20rocsparse_fill_mode_20rocsparse_diag_type_b,comdat
	.globl	_ZN9rocsparseL5csrsmILj128ELj64ELb1EiifEEv20rocsparse_operation_T3_S2_NS_24const_host_device_scalarIT4_EEPKT2_PKS2_PKS4_PS4_lPiSA_PS2_21rocsparse_index_base_20rocsparse_fill_mode_20rocsparse_diag_type_b ; -- Begin function _ZN9rocsparseL5csrsmILj128ELj64ELb1EiifEEv20rocsparse_operation_T3_S2_NS_24const_host_device_scalarIT4_EEPKT2_PKS2_PKS4_PS4_lPiSA_PS2_21rocsparse_index_base_20rocsparse_fill_mode_20rocsparse_diag_type_b
	.p2align	8
	.type	_ZN9rocsparseL5csrsmILj128ELj64ELb1EiifEEv20rocsparse_operation_T3_S2_NS_24const_host_device_scalarIT4_EEPKT2_PKS2_PKS4_PS4_lPiSA_PS2_21rocsparse_index_base_20rocsparse_fill_mode_20rocsparse_diag_type_b,@function
_ZN9rocsparseL5csrsmILj128ELj64ELb1EiifEEv20rocsparse_operation_T3_S2_NS_24const_host_device_scalarIT4_EEPKT2_PKS2_PKS4_PS4_lPiSA_PS2_21rocsparse_index_base_20rocsparse_fill_mode_20rocsparse_diag_type_b: ; @_ZN9rocsparseL5csrsmILj128ELj64ELb1EiifEEv20rocsparse_operation_T3_S2_NS_24const_host_device_scalarIT4_EEPKT2_PKS2_PKS4_PS4_lPiSA_PS2_21rocsparse_index_base_20rocsparse_fill_mode_20rocsparse_diag_type_b
; %bb.0:
	s_clause 0x3
	s_load_b128 s[4:7], s[0:1], 0x58
	s_load_b64 s[2:3], s[0:1], 0x48
	s_load_b128 s[16:19], s[0:1], 0x10
	s_load_b64 s[12:13], s[0:1], 0x30
	s_waitcnt lgkmcnt(0)
	s_bitcmp1_b32 s7, 0
	s_cselect_b32 s7, -1, 0
	s_delay_alu instid0(SALU_CYCLE_1)
	s_and_b32 vcc_lo, exec_lo, s7
	s_cbranch_vccnz .LBB3_2
; %bb.1:
	s_load_b32 s16, s[16:17], 0x0
.LBB3_2:
	s_load_b64 s[24:25], s[0:1], 0x4
	v_mov_b32_e32 v7, 0
	s_waitcnt lgkmcnt(0)
	v_cvt_f32_u32_e32 v1, s24
	s_sub_i32 s8, 0, s24
	s_delay_alu instid0(VALU_DEP_1) | instskip(SKIP_2) | instid1(VALU_DEP_1)
	v_rcp_iflag_f32_e32 v1, v1
	s_waitcnt_depctr 0xfff
	v_mul_f32_e32 v1, 0x4f7ffffe, v1
	v_cvt_u32_f32_e32 v1, v1
	s_delay_alu instid0(VALU_DEP_1) | instskip(NEXT) | instid1(VALU_DEP_1)
	v_readfirstlane_b32 s7, v1
	s_mul_i32 s8, s8, s7
	s_delay_alu instid0(SALU_CYCLE_1) | instskip(NEXT) | instid1(SALU_CYCLE_1)
	s_mul_hi_u32 s8, s7, s8
	s_add_i32 s7, s7, s8
	s_delay_alu instid0(SALU_CYCLE_1) | instskip(NEXT) | instid1(SALU_CYCLE_1)
	s_mul_hi_u32 s7, s15, s7
	s_mul_i32 s8, s7, s24
	s_add_i32 s9, s7, 1
	s_sub_i32 s8, s15, s8
	s_delay_alu instid0(SALU_CYCLE_1)
	s_sub_i32 s10, s8, s24
	s_cmp_ge_u32 s8, s24
	s_cselect_b32 s7, s9, s7
	s_cselect_b32 s8, s10, s8
	s_add_i32 s9, s7, 1
	s_cmp_ge_u32 s8, s24
	s_cselect_b32 s14, s9, s7
	s_delay_alu instid0(SALU_CYCLE_1) | instskip(SKIP_2) | instid1(SALU_CYCLE_1)
	s_mul_i32 s7, s14, s24
	v_lshl_or_b32 v1, s14, 7, v0
	s_sub_i32 s8, s15, s7
	s_ashr_i32 s9, s8, 31
	s_delay_alu instid0(VALU_DEP_1) | instskip(SKIP_1) | instid1(SALU_CYCLE_1)
	v_ashrrev_i32_e32 v2, 31, v1
	s_lshl_b64 s[8:9], s[8:9], 2
	s_add_u32 s2, s2, s8
	s_addc_u32 s3, s3, s9
	s_load_b32 s20, s[2:3], 0x0
	s_load_b128 s[8:11], s[0:1], 0x38
	s_waitcnt lgkmcnt(0)
	s_ashr_i32 s21, s20, 31
	s_delay_alu instid0(SALU_CYCLE_1)
	s_lshl_b64 s[2:3], s[20:21], 2
	s_mul_i32 s14, s21, s8
	s_add_u32 s2, s18, s2
	s_addc_u32 s3, s19, s3
	s_mul_i32 s18, s20, s8
	s_load_b64 s[22:23], s[2:3], 0x0
	s_mul_i32 s2, s20, s9
	s_mul_hi_u32 s3, s20, s8
	s_delay_alu instid0(SALU_CYCLE_1) | instskip(SKIP_2) | instid1(VALU_DEP_1)
	s_add_i32 s3, s3, s2
	v_cmp_gt_i32_e64 s2, s25, v1
	s_add_i32 s19, s3, s14
	s_and_saveexec_b32 s3, s2
	s_cbranch_execz .LBB3_4
; %bb.3:
	v_add_co_u32 v3, vcc_lo, s18, v1
	v_add_co_ci_u32_e32 v4, vcc_lo, s19, v2, vcc_lo
	s_delay_alu instid0(VALU_DEP_1) | instskip(NEXT) | instid1(VALU_DEP_1)
	v_lshlrev_b64 v[3:4], 2, v[3:4]
	v_add_co_u32 v3, vcc_lo, s12, v3
	s_delay_alu instid0(VALU_DEP_2)
	v_add_co_ci_u32_e32 v4, vcc_lo, s13, v4, vcc_lo
	global_load_b32 v3, v[3:4], off
	s_waitcnt vmcnt(0)
	v_mul_f32_e32 v7, s16, v3
.LBB3_4:
	s_or_b32 exec_lo, exec_lo, s3
	v_lshlrev_b64 v[1:2], 2, v[1:2]
	v_mov_b32_e32 v9, 1.0
	v_cmp_eq_u32_e64 s3, 0, v0
	s_waitcnt lgkmcnt(0)
	s_cmp_ge_i32 s22, s23
	s_delay_alu instid0(VALU_DEP_3)
	v_add_co_u32 v3, vcc_lo, s12, v1
	v_add_co_ci_u32_e32 v4, vcc_lo, s13, v2, vcc_lo
	s_cbranch_scc1 .LBB3_45
; %bb.5:
	s_clause 0x1
	s_load_b64 s[16:17], s[0:1], 0x50
	s_load_b128 s[12:15], s[0:1], 0x20
	v_dual_mov_b32 v8, 1.0 :: v_dual_lshlrev_b32 v5, 2, v0
	s_sub_i32 s21, s22, s4
	s_sub_i32 s24, s23, s4
	s_cmp_lg_u32 s6, 0
	s_delay_alu instid0(VALU_DEP_1)
	v_or_b32_e32 v6, 0x200, v5
	s_cselect_b32 s25, -1, 0
	v_cmp_ne_u32_e64 s0, 0, v0
	s_add_i32 s26, s20, s4
	v_mov_b32_e32 v2, 0
	s_cmp_eq_u32 s6, 0
	s_mov_b32 s27, s21
	s_cselect_b32 s1, -1, 0
	s_branch .LBB3_7
.LBB3_6:                                ;   in Loop: Header=BB3_7 Depth=1
	s_add_i32 s27, s27, 1
	s_delay_alu instid0(SALU_CYCLE_1)
	s_cmp_ge_i32 s27, s24
	s_cselect_b32 s22, -1, 0
	v_dual_mov_b32 v7, v10 :: v_dual_mov_b32 v8, v9
	s_and_not1_b32 vcc_lo, exec_lo, s22
	s_cbranch_vccz .LBB3_46
.LBB3_7:                                ; =>This Loop Header: Depth=1
                                        ;     Child Loop BB3_43 Depth 2
                                        ;       Child Loop BB3_44 Depth 3
	s_sub_i32 s22, s27, s21
	s_delay_alu instid0(SALU_CYCLE_1) | instskip(NEXT) | instid1(SALU_CYCLE_1)
	s_and_b32 s22, s22, 0x7f
	s_cmp_lg_u32 s22, 0
	s_cbranch_scc1 .LBB3_11
; %bb.8:                                ;   in Loop: Header=BB3_7 Depth=1
	s_sub_i32 s23, s24, s27
	v_mov_b32_e32 v1, -1
	v_cmp_gt_u32_e32 vcc_lo, s23, v0
	v_mov_b32_e32 v9, -1.0
	s_and_saveexec_b32 s23, vcc_lo
	s_cbranch_execz .LBB3_10
; %bb.9:                                ;   in Loop: Header=BB3_7 Depth=1
	v_add_nc_u32_e32 v1, s27, v0
	s_delay_alu instid0(VALU_DEP_1) | instskip(SKIP_1) | instid1(VALU_DEP_1)
	v_lshlrev_b64 v[9:10], 2, v[1:2]
	s_waitcnt lgkmcnt(0)
	v_add_co_u32 v11, vcc_lo, s12, v9
	s_delay_alu instid0(VALU_DEP_2)
	v_add_co_ci_u32_e32 v12, vcc_lo, s13, v10, vcc_lo
	v_add_co_u32 v9, vcc_lo, s14, v9
	v_add_co_ci_u32_e32 v10, vcc_lo, s15, v10, vcc_lo
	global_load_b32 v1, v[11:12], off
	global_load_b32 v9, v[9:10], off
	s_waitcnt vmcnt(1)
	v_subrev_nc_u32_e32 v1, s4, v1
.LBB3_10:                               ;   in Loop: Header=BB3_7 Depth=1
	s_or_b32 exec_lo, exec_lo, s23
	ds_store_b32 v5, v1
	s_waitcnt vmcnt(0)
	ds_store_b32 v6, v9
.LBB3_11:                               ;   in Loop: Header=BB3_7 Depth=1
	s_lshl_b32 s22, s22, 2
	s_waitcnt lgkmcnt(0)
	v_mov_b32_e32 v1, s22
	s_waitcnt_vscnt null, 0x0
	s_barrier
	buffer_gl0_inv
	ds_load_2addr_stride64_b32 v[9:10], v1 offset1:2
	s_waitcnt lgkmcnt(0)
	v_readfirstlane_b32 s28, v9
	v_cmp_neq_f32_e32 vcc_lo, 0, v10
	s_delay_alu instid0(VALU_DEP_2) | instskip(SKIP_1) | instid1(SALU_CYCLE_1)
	s_cmp_lg_u32 s28, s20
	s_cselect_b32 s22, -1, 0
	s_or_b32 s22, s25, s22
	s_delay_alu instid0(SALU_CYCLE_1) | instskip(SKIP_2) | instid1(SALU_CYCLE_1)
	s_or_b32 vcc_lo, vcc_lo, s22
	v_cndmask_b32_e32 v1, 1.0, v10, vcc_lo
	s_or_b32 s22, s0, vcc_lo
	s_xor_b32 s23, s22, -1
	s_delay_alu instid0(SALU_CYCLE_1)
	s_and_saveexec_b32 s22, s23
	s_cbranch_execz .LBB3_15
; %bb.12:                               ;   in Loop: Header=BB3_7 Depth=1
	v_mbcnt_lo_u32_b32 v1, exec_lo, 0
	s_mov_b32 s23, exec_lo
	s_delay_alu instid0(VALU_DEP_1)
	v_cmpx_eq_u32_e32 0, v1
	s_cbranch_execz .LBB3_14
; %bb.13:                               ;   in Loop: Header=BB3_7 Depth=1
	v_mov_b32_e32 v1, s26
	global_atomic_min_i32 v2, v1, s[16:17]
.LBB3_14:                               ;   in Loop: Header=BB3_7 Depth=1
	s_or_b32 exec_lo, exec_lo, s23
	v_mov_b32_e32 v1, 1.0
.LBB3_15:                               ;   in Loop: Header=BB3_7 Depth=1
	s_or_b32 exec_lo, exec_lo, s22
	s_cmp_lt_i32 s5, 1
	s_mov_b32 s22, 0
	s_cbranch_scc1 .LBB3_20
; %bb.16:                               ;   in Loop: Header=BB3_7 Depth=1
	s_cmp_eq_u32 s5, 1
	s_cbranch_scc0 .LBB3_21
; %bb.17:                               ;   in Loop: Header=BB3_7 Depth=1
	v_mov_b32_e32 v9, v8
	s_cmp_ge_i32 s28, s20
	s_mov_b32 s23, 0
	s_cbranch_scc0 .LBB3_23
; %bb.18:                               ;   in Loop: Header=BB3_7 Depth=1
	s_cmp_eq_u32 s28, s20
	s_cbranch_scc0 .LBB3_22
; %bb.19:                               ;   in Loop: Header=BB3_7 Depth=1
	v_div_scale_f32 v9, null, v1, v1, 1.0
	s_delay_alu instid0(VALU_DEP_1) | instskip(SKIP_2) | instid1(VALU_DEP_1)
	v_rcp_f32_e32 v10, v9
	s_waitcnt_depctr 0xfff
	v_fma_f32 v11, -v9, v10, 1.0
	v_fmac_f32_e32 v10, v11, v10
	v_div_scale_f32 v11, vcc_lo, 1.0, v1, 1.0
	s_delay_alu instid0(VALU_DEP_1) | instskip(NEXT) | instid1(VALU_DEP_1)
	v_mul_f32_e32 v12, v11, v10
	v_fma_f32 v13, -v9, v12, v11
	s_delay_alu instid0(VALU_DEP_1) | instskip(NEXT) | instid1(VALU_DEP_1)
	v_fmac_f32_e32 v12, v13, v10
	v_fma_f32 v9, -v9, v12, v11
	s_delay_alu instid0(VALU_DEP_1) | instskip(NEXT) | instid1(VALU_DEP_1)
	v_div_fmas_f32 v9, v9, v10, v12
	v_div_fixup_f32 v9, v9, v1, 1.0
	s_delay_alu instid0(VALU_DEP_1)
	v_cndmask_b32_e64 v9, v8, v9, s1
	s_branch .LBB3_23
.LBB3_20:                               ;   in Loop: Header=BB3_7 Depth=1
	s_mov_b32 s23, 0
                                        ; implicit-def: $vgpr10
                                        ; implicit-def: $vgpr9
                                        ; implicit-def: $sgpr29
	s_cbranch_execnz .LBB3_24
	s_branch .LBB3_26
.LBB3_21:                               ;   in Loop: Header=BB3_7 Depth=1
	s_mov_b32 s23, -1
                                        ; implicit-def: $vgpr10
                                        ; implicit-def: $vgpr9
                                        ; implicit-def: $sgpr29
	s_branch .LBB3_26
.LBB3_22:                               ;   in Loop: Header=BB3_7 Depth=1
	s_mov_b32 s23, -1
                                        ; implicit-def: $vgpr9
.LBB3_23:                               ;   in Loop: Header=BB3_7 Depth=1
	v_mov_b32_e32 v10, v7
	s_mov_b32 s29, 4
	s_branch .LBB3_26
.LBB3_24:                               ;   in Loop: Header=BB3_7 Depth=1
	s_cmp_eq_u32 s5, 0
	s_cbranch_scc1 .LBB3_30
; %bb.25:                               ;   in Loop: Header=BB3_7 Depth=1
	s_mov_b32 s23, -1
                                        ; implicit-def: $vgpr10
                                        ; implicit-def: $vgpr9
                                        ; implicit-def: $sgpr29
.LBB3_26:                               ;   in Loop: Header=BB3_7 Depth=1
	s_delay_alu instid0(SALU_CYCLE_1)
	s_and_b32 vcc_lo, exec_lo, s23
	s_cbranch_vccnz .LBB3_33
.LBB3_27:                               ;   in Loop: Header=BB3_7 Depth=1
	s_and_b32 vcc_lo, exec_lo, s22
	s_cbranch_vccnz .LBB3_38
.LBB3_28:                               ;   in Loop: Header=BB3_7 Depth=1
	s_cmp_gt_i32 s29, 3
	s_mov_b32 s22, -1
	s_cbranch_scc1 .LBB3_39
.LBB3_29:                               ;   in Loop: Header=BB3_7 Depth=1
	s_cmp_eq_u32 s29, 0
	s_cselect_b32 s23, -1, 0
	s_delay_alu instid0(SALU_CYCLE_1)
	s_and_not1_b32 vcc_lo, exec_lo, s23
	s_cbranch_vccz .LBB3_6
	s_branch .LBB3_40
.LBB3_30:                               ;   in Loop: Header=BB3_7 Depth=1
	s_cmp_le_i32 s28, s20
	s_mov_b32 s23, 0
	s_cbranch_scc0 .LBB3_32
; %bb.31:                               ;   in Loop: Header=BB3_7 Depth=1
	s_cmp_lg_u32 s28, s20
	s_mov_b32 s22, -1
	s_cselect_b32 s23, -1, 0
.LBB3_32:                               ;   in Loop: Header=BB3_7 Depth=1
	v_dual_mov_b32 v10, v7 :: v_dual_mov_b32 v9, v8
	s_mov_b32 s29, 2
	s_and_b32 vcc_lo, exec_lo, s23
	s_cbranch_vccz .LBB3_27
.LBB3_33:                               ;   in Loop: Header=BB3_7 Depth=1
	s_and_saveexec_b32 s29, s3
	s_cbranch_execz .LBB3_35
; %bb.34:                               ;   in Loop: Header=BB3_7 Depth=1
	s_add_i32 s22, s28, s7
	s_delay_alu instid0(SALU_CYCLE_1) | instskip(NEXT) | instid1(SALU_CYCLE_1)
	s_ashr_i32 s23, s22, 31
	s_lshl_b64 s[22:23], s[22:23], 2
	s_delay_alu instid0(SALU_CYCLE_1)
	s_add_u32 s22, s10, s22
	s_addc_u32 s23, s11, s23
	global_load_b32 v9, v2, s[22:23] glc
	s_waitcnt vmcnt(0)
	v_cmp_ne_u32_e32 vcc_lo, 0, v9
	s_cbranch_vccz .LBB3_41
.LBB3_35:                               ;   in Loop: Header=BB3_7 Depth=1
	s_or_b32 exec_lo, exec_lo, s29
	v_mov_b32_e32 v10, 0
	s_waitcnt_vscnt null, 0x0
	s_barrier
	buffer_gl0_inv
	buffer_gl1_inv
	buffer_gl0_inv
	s_and_saveexec_b32 s22, s2
	s_cbranch_execz .LBB3_37
; %bb.36:                               ;   in Loop: Header=BB3_7 Depth=1
	s_mul_i32 s23, s28, s9
	s_mul_hi_u32 s29, s28, s8
	s_ashr_i32 s30, s28, 31
	s_add_i32 s23, s29, s23
	s_mul_i32 s30, s30, s8
	s_mul_i32 s28, s28, s8
	s_add_i32 s29, s23, s30
	s_delay_alu instid0(SALU_CYCLE_1) | instskip(NEXT) | instid1(SALU_CYCLE_1)
	s_lshl_b64 s[28:29], s[28:29], 2
	v_add_co_u32 v9, vcc_lo, v3, s28
	v_add_co_ci_u32_e32 v10, vcc_lo, s29, v4, vcc_lo
	global_load_b32 v9, v[9:10], off
	s_waitcnt vmcnt(0)
	v_fma_f32 v10, -v1, v9, v7
.LBB3_37:                               ;   in Loop: Header=BB3_7 Depth=1
	s_or_b32 exec_lo, exec_lo, s22
	v_mov_b32_e32 v9, v8
	s_mov_b32 s29, 0
	s_branch .LBB3_28
.LBB3_38:                               ;   in Loop: Header=BB3_7 Depth=1
	v_div_scale_f32 v9, null, v1, v1, 1.0
	v_div_scale_f32 v12, vcc_lo, 1.0, v1, 1.0
	s_mov_b32 s29, 2
	s_delay_alu instid0(VALU_DEP_2) | instskip(SKIP_2) | instid1(VALU_DEP_1)
	v_rcp_f32_e32 v10, v9
	s_waitcnt_depctr 0xfff
	v_fma_f32 v11, -v9, v10, 1.0
	v_fmac_f32_e32 v10, v11, v10
	s_delay_alu instid0(VALU_DEP_1) | instskip(NEXT) | instid1(VALU_DEP_1)
	v_mul_f32_e32 v11, v12, v10
	v_fma_f32 v13, -v9, v11, v12
	s_delay_alu instid0(VALU_DEP_1) | instskip(NEXT) | instid1(VALU_DEP_1)
	v_fmac_f32_e32 v11, v13, v10
	v_fma_f32 v9, -v9, v11, v12
	s_delay_alu instid0(VALU_DEP_1) | instskip(SKIP_1) | instid1(VALU_DEP_2)
	v_div_fmas_f32 v9, v9, v10, v11
	v_mov_b32_e32 v10, v7
	v_div_fixup_f32 v1, v9, v1, 1.0
	s_delay_alu instid0(VALU_DEP_1)
	v_cndmask_b32_e64 v9, v8, v1, s1
	s_cmp_gt_i32 s29, 3
	s_mov_b32 s22, -1
	s_cbranch_scc0 .LBB3_29
.LBB3_39:                               ;   in Loop: Header=BB3_7 Depth=1
	s_branch .LBB3_6
.LBB3_40:                               ;   in Loop: Header=BB3_7 Depth=1
                                        ; implicit-def: $sgpr27
	v_dual_mov_b32 v7, v10 :: v_dual_mov_b32 v8, v9
	s_and_not1_b32 vcc_lo, exec_lo, s22
	s_cbranch_vccnz .LBB3_7
	s_branch .LBB3_46
.LBB3_41:                               ;   in Loop: Header=BB3_7 Depth=1
	s_mov_b32 s30, 0
	s_branch .LBB3_43
	.p2align	6
.LBB3_42:                               ;   in Loop: Header=BB3_43 Depth=2
	global_load_b32 v9, v2, s[22:23] glc
	s_cmpk_lt_u32 s30, 0xf43
	s_cselect_b32 s31, -1, 0
	s_delay_alu instid0(SALU_CYCLE_1)
	s_cmp_lg_u32 s31, 0
	s_addc_u32 s30, s30, 0
	s_waitcnt vmcnt(0)
	v_cmp_ne_u32_e32 vcc_lo, 0, v9
	s_cbranch_vccnz .LBB3_35
.LBB3_43:                               ;   Parent Loop BB3_7 Depth=1
                                        ; =>  This Loop Header: Depth=2
                                        ;       Child Loop BB3_44 Depth 3
	s_cmp_eq_u32 s30, 0
	s_mov_b32 s31, s30
	s_cbranch_scc1 .LBB3_42
.LBB3_44:                               ;   Parent Loop BB3_7 Depth=1
                                        ;     Parent Loop BB3_43 Depth=2
                                        ; =>    This Inner Loop Header: Depth=3
	s_add_i32 s31, s31, -1
	s_sleep 1
	s_cmp_eq_u32 s31, 0
	s_cbranch_scc0 .LBB3_44
	s_branch .LBB3_42
.LBB3_45:
	v_mov_b32_e32 v10, v7
.LBB3_46:
	s_and_saveexec_b32 s0, s2
	s_cbranch_execz .LBB3_48
; %bb.47:
	s_delay_alu instid0(VALU_DEP_1) | instskip(SKIP_3) | instid1(VALU_DEP_1)
	v_mul_f32_e32 v1, v9, v10
	s_cmp_eq_u32 s6, 0
	s_cselect_b32 vcc_lo, -1, 0
	s_lshl_b64 s[2:3], s[18:19], 2
	v_cndmask_b32_e32 v5, v10, v1, vcc_lo
	v_add_co_u32 v1, vcc_lo, v3, s2
	v_add_co_ci_u32_e32 v2, vcc_lo, s3, v4, vcc_lo
	global_store_b32 v[1:2], v5, off
.LBB3_48:
	s_or_b32 exec_lo, exec_lo, s0
	s_waitcnt_vscnt null, 0x0
	buffer_gl1_inv
	buffer_gl0_inv
	s_barrier
	buffer_gl0_inv
	s_mov_b32 s0, exec_lo
	v_cmpx_eq_u32_e32 0, v0
	s_cbranch_execz .LBB3_50
; %bb.49:
	s_add_i32 s0, s20, s7
	v_dual_mov_b32 v0, 0 :: v_dual_mov_b32 v1, 1
	s_ashr_i32 s1, s0, 31
	s_delay_alu instid0(SALU_CYCLE_1) | instskip(NEXT) | instid1(SALU_CYCLE_1)
	s_lshl_b64 s[0:1], s[0:1], 2
	s_add_u32 s0, s10, s0
	s_addc_u32 s1, s11, s1
	global_store_b32 v0, v1, s[0:1]
.LBB3_50:
	s_nop 0
	s_sendmsg sendmsg(MSG_DEALLOC_VGPRS)
	s_endpgm
	.section	.rodata,"a",@progbits
	.p2align	6, 0x0
	.amdhsa_kernel _ZN9rocsparseL5csrsmILj128ELj64ELb1EiifEEv20rocsparse_operation_T3_S2_NS_24const_host_device_scalarIT4_EEPKT2_PKS2_PKS4_PS4_lPiSA_PS2_21rocsparse_index_base_20rocsparse_fill_mode_20rocsparse_diag_type_b
		.amdhsa_group_segment_fixed_size 1024
		.amdhsa_private_segment_fixed_size 0
		.amdhsa_kernarg_size 104
		.amdhsa_user_sgpr_count 15
		.amdhsa_user_sgpr_dispatch_ptr 0
		.amdhsa_user_sgpr_queue_ptr 0
		.amdhsa_user_sgpr_kernarg_segment_ptr 1
		.amdhsa_user_sgpr_dispatch_id 0
		.amdhsa_user_sgpr_private_segment_size 0
		.amdhsa_wavefront_size32 1
		.amdhsa_uses_dynamic_stack 0
		.amdhsa_enable_private_segment 0
		.amdhsa_system_sgpr_workgroup_id_x 1
		.amdhsa_system_sgpr_workgroup_id_y 0
		.amdhsa_system_sgpr_workgroup_id_z 0
		.amdhsa_system_sgpr_workgroup_info 0
		.amdhsa_system_vgpr_workitem_id 0
		.amdhsa_next_free_vgpr 14
		.amdhsa_next_free_sgpr 32
		.amdhsa_reserve_vcc 1
		.amdhsa_float_round_mode_32 0
		.amdhsa_float_round_mode_16_64 0
		.amdhsa_float_denorm_mode_32 3
		.amdhsa_float_denorm_mode_16_64 3
		.amdhsa_dx10_clamp 1
		.amdhsa_ieee_mode 1
		.amdhsa_fp16_overflow 0
		.amdhsa_workgroup_processor_mode 1
		.amdhsa_memory_ordered 1
		.amdhsa_forward_progress 0
		.amdhsa_shared_vgpr_count 0
		.amdhsa_exception_fp_ieee_invalid_op 0
		.amdhsa_exception_fp_denorm_src 0
		.amdhsa_exception_fp_ieee_div_zero 0
		.amdhsa_exception_fp_ieee_overflow 0
		.amdhsa_exception_fp_ieee_underflow 0
		.amdhsa_exception_fp_ieee_inexact 0
		.amdhsa_exception_int_div_zero 0
	.end_amdhsa_kernel
	.section	.text._ZN9rocsparseL5csrsmILj128ELj64ELb1EiifEEv20rocsparse_operation_T3_S2_NS_24const_host_device_scalarIT4_EEPKT2_PKS2_PKS4_PS4_lPiSA_PS2_21rocsparse_index_base_20rocsparse_fill_mode_20rocsparse_diag_type_b,"axG",@progbits,_ZN9rocsparseL5csrsmILj128ELj64ELb1EiifEEv20rocsparse_operation_T3_S2_NS_24const_host_device_scalarIT4_EEPKT2_PKS2_PKS4_PS4_lPiSA_PS2_21rocsparse_index_base_20rocsparse_fill_mode_20rocsparse_diag_type_b,comdat
.Lfunc_end3:
	.size	_ZN9rocsparseL5csrsmILj128ELj64ELb1EiifEEv20rocsparse_operation_T3_S2_NS_24const_host_device_scalarIT4_EEPKT2_PKS2_PKS4_PS4_lPiSA_PS2_21rocsparse_index_base_20rocsparse_fill_mode_20rocsparse_diag_type_b, .Lfunc_end3-_ZN9rocsparseL5csrsmILj128ELj64ELb1EiifEEv20rocsparse_operation_T3_S2_NS_24const_host_device_scalarIT4_EEPKT2_PKS2_PKS4_PS4_lPiSA_PS2_21rocsparse_index_base_20rocsparse_fill_mode_20rocsparse_diag_type_b
                                        ; -- End function
	.section	.AMDGPU.csdata,"",@progbits
; Kernel info:
; codeLenInByte = 1716
; NumSgprs: 34
; NumVgprs: 14
; ScratchSize: 0
; MemoryBound: 0
; FloatMode: 240
; IeeeMode: 1
; LDSByteSize: 1024 bytes/workgroup (compile time only)
; SGPRBlocks: 4
; VGPRBlocks: 1
; NumSGPRsForWavesPerEU: 34
; NumVGPRsForWavesPerEU: 14
; Occupancy: 16
; WaveLimiterHint : 1
; COMPUTE_PGM_RSRC2:SCRATCH_EN: 0
; COMPUTE_PGM_RSRC2:USER_SGPR: 15
; COMPUTE_PGM_RSRC2:TRAP_HANDLER: 0
; COMPUTE_PGM_RSRC2:TGID_X_EN: 1
; COMPUTE_PGM_RSRC2:TGID_Y_EN: 0
; COMPUTE_PGM_RSRC2:TGID_Z_EN: 0
; COMPUTE_PGM_RSRC2:TIDIG_COMP_CNT: 0
	.section	.text._ZN9rocsparseL5csrsmILj128ELj64ELb0EiifEEv20rocsparse_operation_T3_S2_NS_24const_host_device_scalarIT4_EEPKT2_PKS2_PKS4_PS4_lPiSA_PS2_21rocsparse_index_base_20rocsparse_fill_mode_20rocsparse_diag_type_b,"axG",@progbits,_ZN9rocsparseL5csrsmILj128ELj64ELb0EiifEEv20rocsparse_operation_T3_S2_NS_24const_host_device_scalarIT4_EEPKT2_PKS2_PKS4_PS4_lPiSA_PS2_21rocsparse_index_base_20rocsparse_fill_mode_20rocsparse_diag_type_b,comdat
	.globl	_ZN9rocsparseL5csrsmILj128ELj64ELb0EiifEEv20rocsparse_operation_T3_S2_NS_24const_host_device_scalarIT4_EEPKT2_PKS2_PKS4_PS4_lPiSA_PS2_21rocsparse_index_base_20rocsparse_fill_mode_20rocsparse_diag_type_b ; -- Begin function _ZN9rocsparseL5csrsmILj128ELj64ELb0EiifEEv20rocsparse_operation_T3_S2_NS_24const_host_device_scalarIT4_EEPKT2_PKS2_PKS4_PS4_lPiSA_PS2_21rocsparse_index_base_20rocsparse_fill_mode_20rocsparse_diag_type_b
	.p2align	8
	.type	_ZN9rocsparseL5csrsmILj128ELj64ELb0EiifEEv20rocsparse_operation_T3_S2_NS_24const_host_device_scalarIT4_EEPKT2_PKS2_PKS4_PS4_lPiSA_PS2_21rocsparse_index_base_20rocsparse_fill_mode_20rocsparse_diag_type_b,@function
_ZN9rocsparseL5csrsmILj128ELj64ELb0EiifEEv20rocsparse_operation_T3_S2_NS_24const_host_device_scalarIT4_EEPKT2_PKS2_PKS4_PS4_lPiSA_PS2_21rocsparse_index_base_20rocsparse_fill_mode_20rocsparse_diag_type_b: ; @_ZN9rocsparseL5csrsmILj128ELj64ELb0EiifEEv20rocsparse_operation_T3_S2_NS_24const_host_device_scalarIT4_EEPKT2_PKS2_PKS4_PS4_lPiSA_PS2_21rocsparse_index_base_20rocsparse_fill_mode_20rocsparse_diag_type_b
; %bb.0:
	s_clause 0x3
	s_load_b128 s[4:7], s[0:1], 0x58
	s_load_b64 s[2:3], s[0:1], 0x48
	s_load_b128 s[16:19], s[0:1], 0x10
	s_load_b64 s[12:13], s[0:1], 0x30
	s_waitcnt lgkmcnt(0)
	s_bitcmp1_b32 s7, 0
	s_cselect_b32 s7, -1, 0
	s_delay_alu instid0(SALU_CYCLE_1)
	s_and_b32 vcc_lo, exec_lo, s7
	s_cbranch_vccnz .LBB4_2
; %bb.1:
	s_load_b32 s16, s[16:17], 0x0
.LBB4_2:
	s_load_b64 s[24:25], s[0:1], 0x4
	v_mov_b32_e32 v7, 0
	s_waitcnt lgkmcnt(0)
	v_cvt_f32_u32_e32 v1, s24
	s_sub_i32 s8, 0, s24
	s_delay_alu instid0(VALU_DEP_1) | instskip(SKIP_2) | instid1(VALU_DEP_1)
	v_rcp_iflag_f32_e32 v1, v1
	s_waitcnt_depctr 0xfff
	v_mul_f32_e32 v1, 0x4f7ffffe, v1
	v_cvt_u32_f32_e32 v1, v1
	s_delay_alu instid0(VALU_DEP_1) | instskip(NEXT) | instid1(VALU_DEP_1)
	v_readfirstlane_b32 s7, v1
	s_mul_i32 s8, s8, s7
	s_delay_alu instid0(SALU_CYCLE_1) | instskip(NEXT) | instid1(SALU_CYCLE_1)
	s_mul_hi_u32 s8, s7, s8
	s_add_i32 s7, s7, s8
	s_delay_alu instid0(SALU_CYCLE_1) | instskip(NEXT) | instid1(SALU_CYCLE_1)
	s_mul_hi_u32 s7, s15, s7
	s_mul_i32 s8, s7, s24
	s_add_i32 s9, s7, 1
	s_sub_i32 s8, s15, s8
	s_delay_alu instid0(SALU_CYCLE_1)
	s_sub_i32 s10, s8, s24
	s_cmp_ge_u32 s8, s24
	s_cselect_b32 s7, s9, s7
	s_cselect_b32 s8, s10, s8
	s_add_i32 s9, s7, 1
	s_cmp_ge_u32 s8, s24
	s_cselect_b32 s14, s9, s7
	s_delay_alu instid0(SALU_CYCLE_1) | instskip(SKIP_2) | instid1(SALU_CYCLE_1)
	s_mul_i32 s7, s14, s24
	v_lshl_or_b32 v1, s14, 7, v0
	s_sub_i32 s8, s15, s7
	s_ashr_i32 s9, s8, 31
	s_delay_alu instid0(VALU_DEP_1) | instskip(SKIP_1) | instid1(SALU_CYCLE_1)
	v_ashrrev_i32_e32 v2, 31, v1
	s_lshl_b64 s[8:9], s[8:9], 2
	s_add_u32 s2, s2, s8
	s_addc_u32 s3, s3, s9
	s_load_b32 s20, s[2:3], 0x0
	s_load_b128 s[8:11], s[0:1], 0x38
	s_waitcnt lgkmcnt(0)
	s_ashr_i32 s21, s20, 31
	s_delay_alu instid0(SALU_CYCLE_1)
	s_lshl_b64 s[2:3], s[20:21], 2
	s_mul_i32 s14, s21, s8
	s_add_u32 s2, s18, s2
	s_addc_u32 s3, s19, s3
	s_mul_i32 s18, s20, s8
	s_load_b64 s[22:23], s[2:3], 0x0
	s_mul_i32 s2, s20, s9
	s_mul_hi_u32 s3, s20, s8
	s_delay_alu instid0(SALU_CYCLE_1) | instskip(SKIP_2) | instid1(VALU_DEP_1)
	s_add_i32 s3, s3, s2
	v_cmp_gt_i32_e64 s2, s25, v1
	s_add_i32 s19, s3, s14
	s_and_saveexec_b32 s3, s2
	s_cbranch_execz .LBB4_4
; %bb.3:
	v_add_co_u32 v3, vcc_lo, s18, v1
	v_add_co_ci_u32_e32 v4, vcc_lo, s19, v2, vcc_lo
	s_delay_alu instid0(VALU_DEP_1) | instskip(NEXT) | instid1(VALU_DEP_1)
	v_lshlrev_b64 v[3:4], 2, v[3:4]
	v_add_co_u32 v3, vcc_lo, s12, v3
	s_delay_alu instid0(VALU_DEP_2)
	v_add_co_ci_u32_e32 v4, vcc_lo, s13, v4, vcc_lo
	global_load_b32 v3, v[3:4], off
	s_waitcnt vmcnt(0)
	v_mul_f32_e32 v7, s16, v3
.LBB4_4:
	s_or_b32 exec_lo, exec_lo, s3
	v_lshlrev_b64 v[1:2], 2, v[1:2]
	v_mov_b32_e32 v9, 1.0
	v_cmp_eq_u32_e64 s3, 0, v0
	s_waitcnt lgkmcnt(0)
	s_cmp_ge_i32 s22, s23
	s_delay_alu instid0(VALU_DEP_3)
	v_add_co_u32 v3, vcc_lo, s12, v1
	v_add_co_ci_u32_e32 v4, vcc_lo, s13, v2, vcc_lo
	s_cbranch_scc1 .LBB4_42
; %bb.5:
	s_clause 0x1
	s_load_b64 s[16:17], s[0:1], 0x50
	s_load_b128 s[12:15], s[0:1], 0x20
	v_dual_mov_b32 v8, 1.0 :: v_dual_lshlrev_b32 v5, 2, v0
	s_sub_i32 s21, s22, s4
	s_sub_i32 s24, s23, s4
	s_cmp_lg_u32 s6, 0
	s_delay_alu instid0(VALU_DEP_1)
	v_or_b32_e32 v6, 0x200, v5
	s_cselect_b32 s25, -1, 0
	v_cmp_ne_u32_e64 s0, 0, v0
	s_add_i32 s26, s20, s4
	v_mov_b32_e32 v2, 0
	s_cmp_eq_u32 s6, 0
	s_mov_b32 s27, s21
	s_cselect_b32 s1, -1, 0
	s_branch .LBB4_7
.LBB4_6:                                ;   in Loop: Header=BB4_7 Depth=1
	s_add_i32 s27, s27, 1
	s_delay_alu instid0(SALU_CYCLE_1)
	s_cmp_ge_i32 s27, s24
	s_cselect_b32 s22, -1, 0
	v_dual_mov_b32 v7, v10 :: v_dual_mov_b32 v8, v9
	s_and_not1_b32 vcc_lo, exec_lo, s22
	s_cbranch_vccz .LBB4_43
.LBB4_7:                                ; =>This Loop Header: Depth=1
                                        ;     Child Loop BB4_35 Depth 2
	s_sub_i32 s22, s27, s21
	s_delay_alu instid0(SALU_CYCLE_1) | instskip(NEXT) | instid1(SALU_CYCLE_1)
	s_and_b32 s22, s22, 0x7f
	s_cmp_lg_u32 s22, 0
	s_cbranch_scc1 .LBB4_11
; %bb.8:                                ;   in Loop: Header=BB4_7 Depth=1
	s_sub_i32 s23, s24, s27
	v_mov_b32_e32 v1, -1
	v_cmp_gt_u32_e32 vcc_lo, s23, v0
	v_mov_b32_e32 v9, -1.0
	s_and_saveexec_b32 s23, vcc_lo
	s_cbranch_execz .LBB4_10
; %bb.9:                                ;   in Loop: Header=BB4_7 Depth=1
	v_add_nc_u32_e32 v1, s27, v0
	s_delay_alu instid0(VALU_DEP_1) | instskip(SKIP_1) | instid1(VALU_DEP_1)
	v_lshlrev_b64 v[9:10], 2, v[1:2]
	s_waitcnt lgkmcnt(0)
	v_add_co_u32 v11, vcc_lo, s12, v9
	s_delay_alu instid0(VALU_DEP_2)
	v_add_co_ci_u32_e32 v12, vcc_lo, s13, v10, vcc_lo
	v_add_co_u32 v9, vcc_lo, s14, v9
	v_add_co_ci_u32_e32 v10, vcc_lo, s15, v10, vcc_lo
	global_load_b32 v1, v[11:12], off
	global_load_b32 v9, v[9:10], off
	s_waitcnt vmcnt(1)
	v_subrev_nc_u32_e32 v1, s4, v1
.LBB4_10:                               ;   in Loop: Header=BB4_7 Depth=1
	s_or_b32 exec_lo, exec_lo, s23
	ds_store_b32 v5, v1
	s_waitcnt vmcnt(0)
	ds_store_b32 v6, v9
.LBB4_11:                               ;   in Loop: Header=BB4_7 Depth=1
	s_lshl_b32 s22, s22, 2
	s_waitcnt lgkmcnt(0)
	v_mov_b32_e32 v1, s22
	s_waitcnt_vscnt null, 0x0
	s_barrier
	buffer_gl0_inv
	ds_load_2addr_stride64_b32 v[9:10], v1 offset1:2
	s_waitcnt lgkmcnt(0)
	v_readfirstlane_b32 s28, v9
	v_cmp_neq_f32_e32 vcc_lo, 0, v10
	s_delay_alu instid0(VALU_DEP_2) | instskip(SKIP_1) | instid1(SALU_CYCLE_1)
	s_cmp_lg_u32 s28, s20
	s_cselect_b32 s22, -1, 0
	s_or_b32 s22, s25, s22
	s_delay_alu instid0(SALU_CYCLE_1) | instskip(SKIP_2) | instid1(SALU_CYCLE_1)
	s_or_b32 vcc_lo, vcc_lo, s22
	v_cndmask_b32_e32 v1, 1.0, v10, vcc_lo
	s_or_b32 s22, s0, vcc_lo
	s_xor_b32 s23, s22, -1
	s_delay_alu instid0(SALU_CYCLE_1)
	s_and_saveexec_b32 s22, s23
	s_cbranch_execz .LBB4_15
; %bb.12:                               ;   in Loop: Header=BB4_7 Depth=1
	v_mbcnt_lo_u32_b32 v1, exec_lo, 0
	s_mov_b32 s23, exec_lo
	s_delay_alu instid0(VALU_DEP_1)
	v_cmpx_eq_u32_e32 0, v1
	s_cbranch_execz .LBB4_14
; %bb.13:                               ;   in Loop: Header=BB4_7 Depth=1
	v_mov_b32_e32 v1, s26
	global_atomic_min_i32 v2, v1, s[16:17]
.LBB4_14:                               ;   in Loop: Header=BB4_7 Depth=1
	s_or_b32 exec_lo, exec_lo, s23
	v_mov_b32_e32 v1, 1.0
.LBB4_15:                               ;   in Loop: Header=BB4_7 Depth=1
	s_or_b32 exec_lo, exec_lo, s22
	s_cmp_lt_i32 s5, 1
	s_mov_b32 s22, 0
	s_cbranch_scc1 .LBB4_20
; %bb.16:                               ;   in Loop: Header=BB4_7 Depth=1
	s_cmp_eq_u32 s5, 1
	s_cbranch_scc0 .LBB4_21
; %bb.17:                               ;   in Loop: Header=BB4_7 Depth=1
	v_mov_b32_e32 v9, v8
	s_cmp_ge_i32 s28, s20
	s_mov_b32 s23, 0
	s_cbranch_scc0 .LBB4_23
; %bb.18:                               ;   in Loop: Header=BB4_7 Depth=1
	s_cmp_eq_u32 s28, s20
	s_cbranch_scc0 .LBB4_22
; %bb.19:                               ;   in Loop: Header=BB4_7 Depth=1
	v_div_scale_f32 v9, null, v1, v1, 1.0
	s_delay_alu instid0(VALU_DEP_1) | instskip(SKIP_2) | instid1(VALU_DEP_1)
	v_rcp_f32_e32 v10, v9
	s_waitcnt_depctr 0xfff
	v_fma_f32 v11, -v9, v10, 1.0
	v_fmac_f32_e32 v10, v11, v10
	v_div_scale_f32 v11, vcc_lo, 1.0, v1, 1.0
	s_delay_alu instid0(VALU_DEP_1) | instskip(NEXT) | instid1(VALU_DEP_1)
	v_mul_f32_e32 v12, v11, v10
	v_fma_f32 v13, -v9, v12, v11
	s_delay_alu instid0(VALU_DEP_1) | instskip(NEXT) | instid1(VALU_DEP_1)
	v_fmac_f32_e32 v12, v13, v10
	v_fma_f32 v9, -v9, v12, v11
	s_delay_alu instid0(VALU_DEP_1) | instskip(NEXT) | instid1(VALU_DEP_1)
	v_div_fmas_f32 v9, v9, v10, v12
	v_div_fixup_f32 v9, v9, v1, 1.0
	s_delay_alu instid0(VALU_DEP_1)
	v_cndmask_b32_e64 v9, v8, v9, s1
	s_branch .LBB4_23
.LBB4_20:                               ;   in Loop: Header=BB4_7 Depth=1
	s_mov_b32 s23, 0
                                        ; implicit-def: $vgpr10
                                        ; implicit-def: $vgpr9
                                        ; implicit-def: $sgpr29
	s_cbranch_execnz .LBB4_24
	s_branch .LBB4_26
.LBB4_21:                               ;   in Loop: Header=BB4_7 Depth=1
	s_mov_b32 s23, -1
                                        ; implicit-def: $vgpr10
                                        ; implicit-def: $vgpr9
                                        ; implicit-def: $sgpr29
	s_branch .LBB4_26
.LBB4_22:                               ;   in Loop: Header=BB4_7 Depth=1
	s_mov_b32 s23, -1
                                        ; implicit-def: $vgpr9
.LBB4_23:                               ;   in Loop: Header=BB4_7 Depth=1
	v_mov_b32_e32 v10, v7
	s_mov_b32 s29, 4
	s_branch .LBB4_26
.LBB4_24:                               ;   in Loop: Header=BB4_7 Depth=1
	s_cmp_eq_u32 s5, 0
	s_cbranch_scc1 .LBB4_30
; %bb.25:                               ;   in Loop: Header=BB4_7 Depth=1
	s_mov_b32 s23, -1
                                        ; implicit-def: $vgpr10
                                        ; implicit-def: $vgpr9
                                        ; implicit-def: $sgpr29
.LBB4_26:                               ;   in Loop: Header=BB4_7 Depth=1
	s_delay_alu instid0(SALU_CYCLE_1)
	s_and_b32 vcc_lo, exec_lo, s23
	s_cbranch_vccnz .LBB4_33
.LBB4_27:                               ;   in Loop: Header=BB4_7 Depth=1
	s_and_b32 vcc_lo, exec_lo, s22
	s_cbranch_vccnz .LBB4_39
.LBB4_28:                               ;   in Loop: Header=BB4_7 Depth=1
	s_cmp_gt_i32 s29, 3
	s_mov_b32 s22, -1
	s_cbranch_scc1 .LBB4_40
.LBB4_29:                               ;   in Loop: Header=BB4_7 Depth=1
	s_cmp_eq_u32 s29, 0
	s_cselect_b32 s23, -1, 0
	s_delay_alu instid0(SALU_CYCLE_1)
	s_and_not1_b32 vcc_lo, exec_lo, s23
	s_cbranch_vccz .LBB4_6
	s_branch .LBB4_41
.LBB4_30:                               ;   in Loop: Header=BB4_7 Depth=1
	s_cmp_le_i32 s28, s20
	s_mov_b32 s23, 0
	s_cbranch_scc0 .LBB4_32
; %bb.31:                               ;   in Loop: Header=BB4_7 Depth=1
	s_cmp_lg_u32 s28, s20
	s_mov_b32 s22, -1
	s_cselect_b32 s23, -1, 0
.LBB4_32:                               ;   in Loop: Header=BB4_7 Depth=1
	v_dual_mov_b32 v10, v7 :: v_dual_mov_b32 v9, v8
	s_mov_b32 s29, 2
	s_and_b32 vcc_lo, exec_lo, s23
	s_cbranch_vccz .LBB4_27
.LBB4_33:                               ;   in Loop: Header=BB4_7 Depth=1
	s_and_saveexec_b32 s29, s3
	s_cbranch_execz .LBB4_36
; %bb.34:                               ;   in Loop: Header=BB4_7 Depth=1
	s_add_i32 s22, s28, s7
	s_delay_alu instid0(SALU_CYCLE_1) | instskip(NEXT) | instid1(SALU_CYCLE_1)
	s_ashr_i32 s23, s22, 31
	s_lshl_b64 s[22:23], s[22:23], 2
	s_delay_alu instid0(SALU_CYCLE_1)
	s_add_u32 s22, s10, s22
	s_addc_u32 s23, s11, s23
	global_load_b32 v9, v2, s[22:23] glc
	s_waitcnt vmcnt(0)
	v_cmp_ne_u32_e32 vcc_lo, 0, v9
	s_cbranch_vccnz .LBB4_36
.LBB4_35:                               ;   Parent Loop BB4_7 Depth=1
                                        ; =>  This Inner Loop Header: Depth=2
	global_load_b32 v9, v2, s[22:23] glc
	s_waitcnt vmcnt(0)
	v_cmp_eq_u32_e32 vcc_lo, 0, v9
	s_cbranch_vccnz .LBB4_35
.LBB4_36:                               ;   in Loop: Header=BB4_7 Depth=1
	s_or_b32 exec_lo, exec_lo, s29
	v_mov_b32_e32 v10, 0
	s_waitcnt_vscnt null, 0x0
	s_barrier
	buffer_gl0_inv
	buffer_gl1_inv
	buffer_gl0_inv
	s_and_saveexec_b32 s22, s2
	s_cbranch_execz .LBB4_38
; %bb.37:                               ;   in Loop: Header=BB4_7 Depth=1
	s_mul_i32 s23, s28, s9
	s_mul_hi_u32 s29, s28, s8
	s_ashr_i32 s30, s28, 31
	s_add_i32 s23, s29, s23
	s_mul_i32 s30, s30, s8
	s_mul_i32 s28, s28, s8
	s_add_i32 s29, s23, s30
	s_delay_alu instid0(SALU_CYCLE_1) | instskip(NEXT) | instid1(SALU_CYCLE_1)
	s_lshl_b64 s[28:29], s[28:29], 2
	v_add_co_u32 v9, vcc_lo, v3, s28
	v_add_co_ci_u32_e32 v10, vcc_lo, s29, v4, vcc_lo
	global_load_b32 v9, v[9:10], off
	s_waitcnt vmcnt(0)
	v_fma_f32 v10, -v1, v9, v7
.LBB4_38:                               ;   in Loop: Header=BB4_7 Depth=1
	s_or_b32 exec_lo, exec_lo, s22
	v_mov_b32_e32 v9, v8
	s_mov_b32 s29, 0
	s_branch .LBB4_28
.LBB4_39:                               ;   in Loop: Header=BB4_7 Depth=1
	v_div_scale_f32 v9, null, v1, v1, 1.0
	v_div_scale_f32 v12, vcc_lo, 1.0, v1, 1.0
	s_mov_b32 s29, 2
	s_delay_alu instid0(VALU_DEP_2) | instskip(SKIP_2) | instid1(VALU_DEP_1)
	v_rcp_f32_e32 v10, v9
	s_waitcnt_depctr 0xfff
	v_fma_f32 v11, -v9, v10, 1.0
	v_fmac_f32_e32 v10, v11, v10
	s_delay_alu instid0(VALU_DEP_1) | instskip(NEXT) | instid1(VALU_DEP_1)
	v_mul_f32_e32 v11, v12, v10
	v_fma_f32 v13, -v9, v11, v12
	s_delay_alu instid0(VALU_DEP_1) | instskip(NEXT) | instid1(VALU_DEP_1)
	v_fmac_f32_e32 v11, v13, v10
	v_fma_f32 v9, -v9, v11, v12
	s_delay_alu instid0(VALU_DEP_1) | instskip(SKIP_1) | instid1(VALU_DEP_2)
	v_div_fmas_f32 v9, v9, v10, v11
	v_mov_b32_e32 v10, v7
	v_div_fixup_f32 v1, v9, v1, 1.0
	s_delay_alu instid0(VALU_DEP_1)
	v_cndmask_b32_e64 v9, v8, v1, s1
	s_cmp_gt_i32 s29, 3
	s_mov_b32 s22, -1
	s_cbranch_scc0 .LBB4_29
.LBB4_40:                               ;   in Loop: Header=BB4_7 Depth=1
	s_branch .LBB4_6
.LBB4_41:                               ;   in Loop: Header=BB4_7 Depth=1
                                        ; implicit-def: $sgpr27
	v_dual_mov_b32 v7, v10 :: v_dual_mov_b32 v8, v9
	s_and_not1_b32 vcc_lo, exec_lo, s22
	s_cbranch_vccnz .LBB4_7
	s_branch .LBB4_43
.LBB4_42:
	v_mov_b32_e32 v10, v7
.LBB4_43:
	s_and_saveexec_b32 s0, s2
	s_cbranch_execz .LBB4_45
; %bb.44:
	s_delay_alu instid0(VALU_DEP_1) | instskip(SKIP_3) | instid1(VALU_DEP_1)
	v_mul_f32_e32 v1, v9, v10
	s_cmp_eq_u32 s6, 0
	s_cselect_b32 vcc_lo, -1, 0
	s_lshl_b64 s[2:3], s[18:19], 2
	v_cndmask_b32_e32 v5, v10, v1, vcc_lo
	v_add_co_u32 v1, vcc_lo, v3, s2
	v_add_co_ci_u32_e32 v2, vcc_lo, s3, v4, vcc_lo
	global_store_b32 v[1:2], v5, off
.LBB4_45:
	s_or_b32 exec_lo, exec_lo, s0
	s_waitcnt_vscnt null, 0x0
	buffer_gl1_inv
	buffer_gl0_inv
	s_barrier
	buffer_gl0_inv
	s_mov_b32 s0, exec_lo
	v_cmpx_eq_u32_e32 0, v0
	s_cbranch_execz .LBB4_47
; %bb.46:
	s_add_i32 s0, s20, s7
	v_dual_mov_b32 v0, 0 :: v_dual_mov_b32 v1, 1
	s_ashr_i32 s1, s0, 31
	s_delay_alu instid0(SALU_CYCLE_1) | instskip(NEXT) | instid1(SALU_CYCLE_1)
	s_lshl_b64 s[0:1], s[0:1], 2
	s_add_u32 s0, s10, s0
	s_addc_u32 s1, s11, s1
	global_store_b32 v0, v1, s[0:1]
.LBB4_47:
	s_nop 0
	s_sendmsg sendmsg(MSG_DEALLOC_VGPRS)
	s_endpgm
	.section	.rodata,"a",@progbits
	.p2align	6, 0x0
	.amdhsa_kernel _ZN9rocsparseL5csrsmILj128ELj64ELb0EiifEEv20rocsparse_operation_T3_S2_NS_24const_host_device_scalarIT4_EEPKT2_PKS2_PKS4_PS4_lPiSA_PS2_21rocsparse_index_base_20rocsparse_fill_mode_20rocsparse_diag_type_b
		.amdhsa_group_segment_fixed_size 1024
		.amdhsa_private_segment_fixed_size 0
		.amdhsa_kernarg_size 104
		.amdhsa_user_sgpr_count 15
		.amdhsa_user_sgpr_dispatch_ptr 0
		.amdhsa_user_sgpr_queue_ptr 0
		.amdhsa_user_sgpr_kernarg_segment_ptr 1
		.amdhsa_user_sgpr_dispatch_id 0
		.amdhsa_user_sgpr_private_segment_size 0
		.amdhsa_wavefront_size32 1
		.amdhsa_uses_dynamic_stack 0
		.amdhsa_enable_private_segment 0
		.amdhsa_system_sgpr_workgroup_id_x 1
		.amdhsa_system_sgpr_workgroup_id_y 0
		.amdhsa_system_sgpr_workgroup_id_z 0
		.amdhsa_system_sgpr_workgroup_info 0
		.amdhsa_system_vgpr_workitem_id 0
		.amdhsa_next_free_vgpr 14
		.amdhsa_next_free_sgpr 31
		.amdhsa_reserve_vcc 1
		.amdhsa_float_round_mode_32 0
		.amdhsa_float_round_mode_16_64 0
		.amdhsa_float_denorm_mode_32 3
		.amdhsa_float_denorm_mode_16_64 3
		.amdhsa_dx10_clamp 1
		.amdhsa_ieee_mode 1
		.amdhsa_fp16_overflow 0
		.amdhsa_workgroup_processor_mode 1
		.amdhsa_memory_ordered 1
		.amdhsa_forward_progress 0
		.amdhsa_shared_vgpr_count 0
		.amdhsa_exception_fp_ieee_invalid_op 0
		.amdhsa_exception_fp_denorm_src 0
		.amdhsa_exception_fp_ieee_div_zero 0
		.amdhsa_exception_fp_ieee_overflow 0
		.amdhsa_exception_fp_ieee_underflow 0
		.amdhsa_exception_fp_ieee_inexact 0
		.amdhsa_exception_int_div_zero 0
	.end_amdhsa_kernel
	.section	.text._ZN9rocsparseL5csrsmILj128ELj64ELb0EiifEEv20rocsparse_operation_T3_S2_NS_24const_host_device_scalarIT4_EEPKT2_PKS2_PKS4_PS4_lPiSA_PS2_21rocsparse_index_base_20rocsparse_fill_mode_20rocsparse_diag_type_b,"axG",@progbits,_ZN9rocsparseL5csrsmILj128ELj64ELb0EiifEEv20rocsparse_operation_T3_S2_NS_24const_host_device_scalarIT4_EEPKT2_PKS2_PKS4_PS4_lPiSA_PS2_21rocsparse_index_base_20rocsparse_fill_mode_20rocsparse_diag_type_b,comdat
.Lfunc_end4:
	.size	_ZN9rocsparseL5csrsmILj128ELj64ELb0EiifEEv20rocsparse_operation_T3_S2_NS_24const_host_device_scalarIT4_EEPKT2_PKS2_PKS4_PS4_lPiSA_PS2_21rocsparse_index_base_20rocsparse_fill_mode_20rocsparse_diag_type_b, .Lfunc_end4-_ZN9rocsparseL5csrsmILj128ELj64ELb0EiifEEv20rocsparse_operation_T3_S2_NS_24const_host_device_scalarIT4_EEPKT2_PKS2_PKS4_PS4_lPiSA_PS2_21rocsparse_index_base_20rocsparse_fill_mode_20rocsparse_diag_type_b
                                        ; -- End function
	.section	.AMDGPU.csdata,"",@progbits
; Kernel info:
; codeLenInByte = 1656
; NumSgprs: 33
; NumVgprs: 14
; ScratchSize: 0
; MemoryBound: 0
; FloatMode: 240
; IeeeMode: 1
; LDSByteSize: 1024 bytes/workgroup (compile time only)
; SGPRBlocks: 4
; VGPRBlocks: 1
; NumSGPRsForWavesPerEU: 33
; NumVGPRsForWavesPerEU: 14
; Occupancy: 16
; WaveLimiterHint : 1
; COMPUTE_PGM_RSRC2:SCRATCH_EN: 0
; COMPUTE_PGM_RSRC2:USER_SGPR: 15
; COMPUTE_PGM_RSRC2:TRAP_HANDLER: 0
; COMPUTE_PGM_RSRC2:TGID_X_EN: 1
; COMPUTE_PGM_RSRC2:TGID_Y_EN: 0
; COMPUTE_PGM_RSRC2:TGID_Z_EN: 0
; COMPUTE_PGM_RSRC2:TIDIG_COMP_CNT: 0
	.section	.text._ZN9rocsparseL5csrsmILj256ELj64ELb1EiifEEv20rocsparse_operation_T3_S2_NS_24const_host_device_scalarIT4_EEPKT2_PKS2_PKS4_PS4_lPiSA_PS2_21rocsparse_index_base_20rocsparse_fill_mode_20rocsparse_diag_type_b,"axG",@progbits,_ZN9rocsparseL5csrsmILj256ELj64ELb1EiifEEv20rocsparse_operation_T3_S2_NS_24const_host_device_scalarIT4_EEPKT2_PKS2_PKS4_PS4_lPiSA_PS2_21rocsparse_index_base_20rocsparse_fill_mode_20rocsparse_diag_type_b,comdat
	.globl	_ZN9rocsparseL5csrsmILj256ELj64ELb1EiifEEv20rocsparse_operation_T3_S2_NS_24const_host_device_scalarIT4_EEPKT2_PKS2_PKS4_PS4_lPiSA_PS2_21rocsparse_index_base_20rocsparse_fill_mode_20rocsparse_diag_type_b ; -- Begin function _ZN9rocsparseL5csrsmILj256ELj64ELb1EiifEEv20rocsparse_operation_T3_S2_NS_24const_host_device_scalarIT4_EEPKT2_PKS2_PKS4_PS4_lPiSA_PS2_21rocsparse_index_base_20rocsparse_fill_mode_20rocsparse_diag_type_b
	.p2align	8
	.type	_ZN9rocsparseL5csrsmILj256ELj64ELb1EiifEEv20rocsparse_operation_T3_S2_NS_24const_host_device_scalarIT4_EEPKT2_PKS2_PKS4_PS4_lPiSA_PS2_21rocsparse_index_base_20rocsparse_fill_mode_20rocsparse_diag_type_b,@function
_ZN9rocsparseL5csrsmILj256ELj64ELb1EiifEEv20rocsparse_operation_T3_S2_NS_24const_host_device_scalarIT4_EEPKT2_PKS2_PKS4_PS4_lPiSA_PS2_21rocsparse_index_base_20rocsparse_fill_mode_20rocsparse_diag_type_b: ; @_ZN9rocsparseL5csrsmILj256ELj64ELb1EiifEEv20rocsparse_operation_T3_S2_NS_24const_host_device_scalarIT4_EEPKT2_PKS2_PKS4_PS4_lPiSA_PS2_21rocsparse_index_base_20rocsparse_fill_mode_20rocsparse_diag_type_b
; %bb.0:
	s_clause 0x3
	s_load_b128 s[4:7], s[0:1], 0x58
	s_load_b64 s[2:3], s[0:1], 0x48
	s_load_b128 s[16:19], s[0:1], 0x10
	s_load_b64 s[12:13], s[0:1], 0x30
	s_waitcnt lgkmcnt(0)
	s_bitcmp1_b32 s7, 0
	s_cselect_b32 s7, -1, 0
	s_delay_alu instid0(SALU_CYCLE_1)
	s_and_b32 vcc_lo, exec_lo, s7
	s_cbranch_vccnz .LBB5_2
; %bb.1:
	s_load_b32 s16, s[16:17], 0x0
.LBB5_2:
	s_load_b64 s[24:25], s[0:1], 0x4
	v_mov_b32_e32 v7, 0
	s_waitcnt lgkmcnt(0)
	v_cvt_f32_u32_e32 v1, s24
	s_sub_i32 s8, 0, s24
	s_delay_alu instid0(VALU_DEP_1) | instskip(SKIP_2) | instid1(VALU_DEP_1)
	v_rcp_iflag_f32_e32 v1, v1
	s_waitcnt_depctr 0xfff
	v_mul_f32_e32 v1, 0x4f7ffffe, v1
	v_cvt_u32_f32_e32 v1, v1
	s_delay_alu instid0(VALU_DEP_1) | instskip(NEXT) | instid1(VALU_DEP_1)
	v_readfirstlane_b32 s7, v1
	s_mul_i32 s8, s8, s7
	s_delay_alu instid0(SALU_CYCLE_1) | instskip(NEXT) | instid1(SALU_CYCLE_1)
	s_mul_hi_u32 s8, s7, s8
	s_add_i32 s7, s7, s8
	s_delay_alu instid0(SALU_CYCLE_1) | instskip(NEXT) | instid1(SALU_CYCLE_1)
	s_mul_hi_u32 s7, s15, s7
	s_mul_i32 s8, s7, s24
	s_add_i32 s9, s7, 1
	s_sub_i32 s8, s15, s8
	s_delay_alu instid0(SALU_CYCLE_1)
	s_sub_i32 s10, s8, s24
	s_cmp_ge_u32 s8, s24
	s_cselect_b32 s7, s9, s7
	s_cselect_b32 s8, s10, s8
	s_add_i32 s9, s7, 1
	s_cmp_ge_u32 s8, s24
	s_cselect_b32 s14, s9, s7
	s_delay_alu instid0(SALU_CYCLE_1) | instskip(SKIP_2) | instid1(SALU_CYCLE_1)
	s_mul_i32 s7, s14, s24
	v_lshl_or_b32 v1, s14, 8, v0
	s_sub_i32 s8, s15, s7
	s_ashr_i32 s9, s8, 31
	s_delay_alu instid0(VALU_DEP_1) | instskip(SKIP_1) | instid1(SALU_CYCLE_1)
	v_ashrrev_i32_e32 v2, 31, v1
	s_lshl_b64 s[8:9], s[8:9], 2
	s_add_u32 s2, s2, s8
	s_addc_u32 s3, s3, s9
	s_load_b32 s20, s[2:3], 0x0
	s_load_b128 s[8:11], s[0:1], 0x38
	s_waitcnt lgkmcnt(0)
	s_ashr_i32 s21, s20, 31
	s_delay_alu instid0(SALU_CYCLE_1)
	s_lshl_b64 s[2:3], s[20:21], 2
	s_mul_i32 s14, s21, s8
	s_add_u32 s2, s18, s2
	s_addc_u32 s3, s19, s3
	s_mul_i32 s18, s20, s8
	s_load_b64 s[22:23], s[2:3], 0x0
	s_mul_i32 s2, s20, s9
	s_mul_hi_u32 s3, s20, s8
	s_delay_alu instid0(SALU_CYCLE_1) | instskip(SKIP_2) | instid1(VALU_DEP_1)
	s_add_i32 s3, s3, s2
	v_cmp_gt_i32_e64 s2, s25, v1
	s_add_i32 s19, s3, s14
	s_and_saveexec_b32 s3, s2
	s_cbranch_execz .LBB5_4
; %bb.3:
	v_add_co_u32 v3, vcc_lo, s18, v1
	v_add_co_ci_u32_e32 v4, vcc_lo, s19, v2, vcc_lo
	s_delay_alu instid0(VALU_DEP_1) | instskip(NEXT) | instid1(VALU_DEP_1)
	v_lshlrev_b64 v[3:4], 2, v[3:4]
	v_add_co_u32 v3, vcc_lo, s12, v3
	s_delay_alu instid0(VALU_DEP_2)
	v_add_co_ci_u32_e32 v4, vcc_lo, s13, v4, vcc_lo
	global_load_b32 v3, v[3:4], off
	s_waitcnt vmcnt(0)
	v_mul_f32_e32 v7, s16, v3
.LBB5_4:
	s_or_b32 exec_lo, exec_lo, s3
	v_lshlrev_b64 v[1:2], 2, v[1:2]
	v_mov_b32_e32 v9, 1.0
	v_cmp_eq_u32_e64 s3, 0, v0
	s_waitcnt lgkmcnt(0)
	s_cmp_ge_i32 s22, s23
	s_delay_alu instid0(VALU_DEP_3)
	v_add_co_u32 v3, vcc_lo, s12, v1
	v_add_co_ci_u32_e32 v4, vcc_lo, s13, v2, vcc_lo
	s_cbranch_scc1 .LBB5_45
; %bb.5:
	s_clause 0x1
	s_load_b64 s[16:17], s[0:1], 0x50
	s_load_b128 s[12:15], s[0:1], 0x20
	v_dual_mov_b32 v8, 1.0 :: v_dual_lshlrev_b32 v5, 2, v0
	s_sub_i32 s21, s22, s4
	s_sub_i32 s24, s23, s4
	s_cmp_lg_u32 s6, 0
	s_delay_alu instid0(VALU_DEP_1)
	v_or_b32_e32 v6, 0x400, v5
	s_cselect_b32 s25, -1, 0
	v_cmp_ne_u32_e64 s0, 0, v0
	s_add_i32 s26, s20, s4
	v_mov_b32_e32 v2, 0
	s_cmp_eq_u32 s6, 0
	s_mov_b32 s27, s21
	s_cselect_b32 s1, -1, 0
	s_branch .LBB5_7
.LBB5_6:                                ;   in Loop: Header=BB5_7 Depth=1
	s_add_i32 s27, s27, 1
	s_delay_alu instid0(SALU_CYCLE_1)
	s_cmp_ge_i32 s27, s24
	s_cselect_b32 s22, -1, 0
	v_dual_mov_b32 v7, v10 :: v_dual_mov_b32 v8, v9
	s_and_not1_b32 vcc_lo, exec_lo, s22
	s_cbranch_vccz .LBB5_46
.LBB5_7:                                ; =>This Loop Header: Depth=1
                                        ;     Child Loop BB5_43 Depth 2
                                        ;       Child Loop BB5_44 Depth 3
	s_sub_i32 s22, s27, s21
	s_delay_alu instid0(SALU_CYCLE_1) | instskip(NEXT) | instid1(SALU_CYCLE_1)
	s_and_b32 s22, s22, 0xff
	s_cmp_lg_u32 s22, 0
	s_cbranch_scc1 .LBB5_11
; %bb.8:                                ;   in Loop: Header=BB5_7 Depth=1
	s_sub_i32 s23, s24, s27
	v_mov_b32_e32 v1, -1
	v_cmp_gt_u32_e32 vcc_lo, s23, v0
	v_mov_b32_e32 v9, -1.0
	s_and_saveexec_b32 s23, vcc_lo
	s_cbranch_execz .LBB5_10
; %bb.9:                                ;   in Loop: Header=BB5_7 Depth=1
	v_add_nc_u32_e32 v1, s27, v0
	s_delay_alu instid0(VALU_DEP_1) | instskip(SKIP_1) | instid1(VALU_DEP_1)
	v_lshlrev_b64 v[9:10], 2, v[1:2]
	s_waitcnt lgkmcnt(0)
	v_add_co_u32 v11, vcc_lo, s12, v9
	s_delay_alu instid0(VALU_DEP_2)
	v_add_co_ci_u32_e32 v12, vcc_lo, s13, v10, vcc_lo
	v_add_co_u32 v9, vcc_lo, s14, v9
	v_add_co_ci_u32_e32 v10, vcc_lo, s15, v10, vcc_lo
	global_load_b32 v1, v[11:12], off
	global_load_b32 v9, v[9:10], off
	s_waitcnt vmcnt(1)
	v_subrev_nc_u32_e32 v1, s4, v1
.LBB5_10:                               ;   in Loop: Header=BB5_7 Depth=1
	s_or_b32 exec_lo, exec_lo, s23
	ds_store_b32 v5, v1
	s_waitcnt vmcnt(0)
	ds_store_b32 v6, v9
.LBB5_11:                               ;   in Loop: Header=BB5_7 Depth=1
	s_lshl_b32 s22, s22, 2
	s_waitcnt lgkmcnt(0)
	v_mov_b32_e32 v1, s22
	s_waitcnt_vscnt null, 0x0
	s_barrier
	buffer_gl0_inv
	ds_load_2addr_stride64_b32 v[9:10], v1 offset1:4
	s_waitcnt lgkmcnt(0)
	v_readfirstlane_b32 s28, v9
	v_cmp_neq_f32_e32 vcc_lo, 0, v10
	s_delay_alu instid0(VALU_DEP_2) | instskip(SKIP_1) | instid1(SALU_CYCLE_1)
	s_cmp_lg_u32 s28, s20
	s_cselect_b32 s22, -1, 0
	s_or_b32 s22, s25, s22
	s_delay_alu instid0(SALU_CYCLE_1) | instskip(SKIP_2) | instid1(SALU_CYCLE_1)
	s_or_b32 vcc_lo, vcc_lo, s22
	v_cndmask_b32_e32 v1, 1.0, v10, vcc_lo
	s_or_b32 s22, s0, vcc_lo
	s_xor_b32 s23, s22, -1
	s_delay_alu instid0(SALU_CYCLE_1)
	s_and_saveexec_b32 s22, s23
	s_cbranch_execz .LBB5_15
; %bb.12:                               ;   in Loop: Header=BB5_7 Depth=1
	v_mbcnt_lo_u32_b32 v1, exec_lo, 0
	s_mov_b32 s23, exec_lo
	s_delay_alu instid0(VALU_DEP_1)
	v_cmpx_eq_u32_e32 0, v1
	s_cbranch_execz .LBB5_14
; %bb.13:                               ;   in Loop: Header=BB5_7 Depth=1
	v_mov_b32_e32 v1, s26
	global_atomic_min_i32 v2, v1, s[16:17]
.LBB5_14:                               ;   in Loop: Header=BB5_7 Depth=1
	s_or_b32 exec_lo, exec_lo, s23
	v_mov_b32_e32 v1, 1.0
.LBB5_15:                               ;   in Loop: Header=BB5_7 Depth=1
	s_or_b32 exec_lo, exec_lo, s22
	s_cmp_lt_i32 s5, 1
	s_mov_b32 s22, 0
	s_cbranch_scc1 .LBB5_20
; %bb.16:                               ;   in Loop: Header=BB5_7 Depth=1
	s_cmp_eq_u32 s5, 1
	s_cbranch_scc0 .LBB5_21
; %bb.17:                               ;   in Loop: Header=BB5_7 Depth=1
	v_mov_b32_e32 v9, v8
	s_cmp_ge_i32 s28, s20
	s_mov_b32 s23, 0
	s_cbranch_scc0 .LBB5_23
; %bb.18:                               ;   in Loop: Header=BB5_7 Depth=1
	s_cmp_eq_u32 s28, s20
	s_cbranch_scc0 .LBB5_22
; %bb.19:                               ;   in Loop: Header=BB5_7 Depth=1
	v_div_scale_f32 v9, null, v1, v1, 1.0
	s_delay_alu instid0(VALU_DEP_1) | instskip(SKIP_2) | instid1(VALU_DEP_1)
	v_rcp_f32_e32 v10, v9
	s_waitcnt_depctr 0xfff
	v_fma_f32 v11, -v9, v10, 1.0
	v_fmac_f32_e32 v10, v11, v10
	v_div_scale_f32 v11, vcc_lo, 1.0, v1, 1.0
	s_delay_alu instid0(VALU_DEP_1) | instskip(NEXT) | instid1(VALU_DEP_1)
	v_mul_f32_e32 v12, v11, v10
	v_fma_f32 v13, -v9, v12, v11
	s_delay_alu instid0(VALU_DEP_1) | instskip(NEXT) | instid1(VALU_DEP_1)
	v_fmac_f32_e32 v12, v13, v10
	v_fma_f32 v9, -v9, v12, v11
	s_delay_alu instid0(VALU_DEP_1) | instskip(NEXT) | instid1(VALU_DEP_1)
	v_div_fmas_f32 v9, v9, v10, v12
	v_div_fixup_f32 v9, v9, v1, 1.0
	s_delay_alu instid0(VALU_DEP_1)
	v_cndmask_b32_e64 v9, v8, v9, s1
	s_branch .LBB5_23
.LBB5_20:                               ;   in Loop: Header=BB5_7 Depth=1
	s_mov_b32 s23, 0
                                        ; implicit-def: $vgpr10
                                        ; implicit-def: $vgpr9
                                        ; implicit-def: $sgpr29
	s_cbranch_execnz .LBB5_24
	s_branch .LBB5_26
.LBB5_21:                               ;   in Loop: Header=BB5_7 Depth=1
	s_mov_b32 s23, -1
                                        ; implicit-def: $vgpr10
                                        ; implicit-def: $vgpr9
                                        ; implicit-def: $sgpr29
	s_branch .LBB5_26
.LBB5_22:                               ;   in Loop: Header=BB5_7 Depth=1
	s_mov_b32 s23, -1
                                        ; implicit-def: $vgpr9
.LBB5_23:                               ;   in Loop: Header=BB5_7 Depth=1
	v_mov_b32_e32 v10, v7
	s_mov_b32 s29, 4
	s_branch .LBB5_26
.LBB5_24:                               ;   in Loop: Header=BB5_7 Depth=1
	s_cmp_eq_u32 s5, 0
	s_cbranch_scc1 .LBB5_30
; %bb.25:                               ;   in Loop: Header=BB5_7 Depth=1
	s_mov_b32 s23, -1
                                        ; implicit-def: $vgpr10
                                        ; implicit-def: $vgpr9
                                        ; implicit-def: $sgpr29
.LBB5_26:                               ;   in Loop: Header=BB5_7 Depth=1
	s_delay_alu instid0(SALU_CYCLE_1)
	s_and_b32 vcc_lo, exec_lo, s23
	s_cbranch_vccnz .LBB5_33
.LBB5_27:                               ;   in Loop: Header=BB5_7 Depth=1
	s_and_b32 vcc_lo, exec_lo, s22
	s_cbranch_vccnz .LBB5_38
.LBB5_28:                               ;   in Loop: Header=BB5_7 Depth=1
	s_cmp_gt_i32 s29, 3
	s_mov_b32 s22, -1
	s_cbranch_scc1 .LBB5_39
.LBB5_29:                               ;   in Loop: Header=BB5_7 Depth=1
	s_cmp_eq_u32 s29, 0
	s_cselect_b32 s23, -1, 0
	s_delay_alu instid0(SALU_CYCLE_1)
	s_and_not1_b32 vcc_lo, exec_lo, s23
	s_cbranch_vccz .LBB5_6
	s_branch .LBB5_40
.LBB5_30:                               ;   in Loop: Header=BB5_7 Depth=1
	s_cmp_le_i32 s28, s20
	s_mov_b32 s23, 0
	s_cbranch_scc0 .LBB5_32
; %bb.31:                               ;   in Loop: Header=BB5_7 Depth=1
	s_cmp_lg_u32 s28, s20
	s_mov_b32 s22, -1
	s_cselect_b32 s23, -1, 0
.LBB5_32:                               ;   in Loop: Header=BB5_7 Depth=1
	v_dual_mov_b32 v10, v7 :: v_dual_mov_b32 v9, v8
	s_mov_b32 s29, 2
	s_and_b32 vcc_lo, exec_lo, s23
	s_cbranch_vccz .LBB5_27
.LBB5_33:                               ;   in Loop: Header=BB5_7 Depth=1
	s_and_saveexec_b32 s29, s3
	s_cbranch_execz .LBB5_35
; %bb.34:                               ;   in Loop: Header=BB5_7 Depth=1
	s_add_i32 s22, s28, s7
	s_delay_alu instid0(SALU_CYCLE_1) | instskip(NEXT) | instid1(SALU_CYCLE_1)
	s_ashr_i32 s23, s22, 31
	s_lshl_b64 s[22:23], s[22:23], 2
	s_delay_alu instid0(SALU_CYCLE_1)
	s_add_u32 s22, s10, s22
	s_addc_u32 s23, s11, s23
	global_load_b32 v9, v2, s[22:23] glc
	s_waitcnt vmcnt(0)
	v_cmp_ne_u32_e32 vcc_lo, 0, v9
	s_cbranch_vccz .LBB5_41
.LBB5_35:                               ;   in Loop: Header=BB5_7 Depth=1
	s_or_b32 exec_lo, exec_lo, s29
	v_mov_b32_e32 v10, 0
	s_waitcnt_vscnt null, 0x0
	s_barrier
	buffer_gl0_inv
	buffer_gl1_inv
	buffer_gl0_inv
	s_and_saveexec_b32 s22, s2
	s_cbranch_execz .LBB5_37
; %bb.36:                               ;   in Loop: Header=BB5_7 Depth=1
	s_mul_i32 s23, s28, s9
	s_mul_hi_u32 s29, s28, s8
	s_ashr_i32 s30, s28, 31
	s_add_i32 s23, s29, s23
	s_mul_i32 s30, s30, s8
	s_mul_i32 s28, s28, s8
	s_add_i32 s29, s23, s30
	s_delay_alu instid0(SALU_CYCLE_1) | instskip(NEXT) | instid1(SALU_CYCLE_1)
	s_lshl_b64 s[28:29], s[28:29], 2
	v_add_co_u32 v9, vcc_lo, v3, s28
	v_add_co_ci_u32_e32 v10, vcc_lo, s29, v4, vcc_lo
	global_load_b32 v9, v[9:10], off
	s_waitcnt vmcnt(0)
	v_fma_f32 v10, -v1, v9, v7
.LBB5_37:                               ;   in Loop: Header=BB5_7 Depth=1
	s_or_b32 exec_lo, exec_lo, s22
	v_mov_b32_e32 v9, v8
	s_mov_b32 s29, 0
	s_branch .LBB5_28
.LBB5_38:                               ;   in Loop: Header=BB5_7 Depth=1
	v_div_scale_f32 v9, null, v1, v1, 1.0
	v_div_scale_f32 v12, vcc_lo, 1.0, v1, 1.0
	s_mov_b32 s29, 2
	s_delay_alu instid0(VALU_DEP_2) | instskip(SKIP_2) | instid1(VALU_DEP_1)
	v_rcp_f32_e32 v10, v9
	s_waitcnt_depctr 0xfff
	v_fma_f32 v11, -v9, v10, 1.0
	v_fmac_f32_e32 v10, v11, v10
	s_delay_alu instid0(VALU_DEP_1) | instskip(NEXT) | instid1(VALU_DEP_1)
	v_mul_f32_e32 v11, v12, v10
	v_fma_f32 v13, -v9, v11, v12
	s_delay_alu instid0(VALU_DEP_1) | instskip(NEXT) | instid1(VALU_DEP_1)
	v_fmac_f32_e32 v11, v13, v10
	v_fma_f32 v9, -v9, v11, v12
	s_delay_alu instid0(VALU_DEP_1) | instskip(SKIP_1) | instid1(VALU_DEP_2)
	v_div_fmas_f32 v9, v9, v10, v11
	v_mov_b32_e32 v10, v7
	v_div_fixup_f32 v1, v9, v1, 1.0
	s_delay_alu instid0(VALU_DEP_1)
	v_cndmask_b32_e64 v9, v8, v1, s1
	s_cmp_gt_i32 s29, 3
	s_mov_b32 s22, -1
	s_cbranch_scc0 .LBB5_29
.LBB5_39:                               ;   in Loop: Header=BB5_7 Depth=1
	s_branch .LBB5_6
.LBB5_40:                               ;   in Loop: Header=BB5_7 Depth=1
                                        ; implicit-def: $sgpr27
	v_dual_mov_b32 v7, v10 :: v_dual_mov_b32 v8, v9
	s_and_not1_b32 vcc_lo, exec_lo, s22
	s_cbranch_vccnz .LBB5_7
	s_branch .LBB5_46
.LBB5_41:                               ;   in Loop: Header=BB5_7 Depth=1
	s_mov_b32 s30, 0
	s_branch .LBB5_43
	.p2align	6
.LBB5_42:                               ;   in Loop: Header=BB5_43 Depth=2
	global_load_b32 v9, v2, s[22:23] glc
	s_cmpk_lt_u32 s30, 0xf43
	s_cselect_b32 s31, -1, 0
	s_delay_alu instid0(SALU_CYCLE_1)
	s_cmp_lg_u32 s31, 0
	s_addc_u32 s30, s30, 0
	s_waitcnt vmcnt(0)
	v_cmp_ne_u32_e32 vcc_lo, 0, v9
	s_cbranch_vccnz .LBB5_35
.LBB5_43:                               ;   Parent Loop BB5_7 Depth=1
                                        ; =>  This Loop Header: Depth=2
                                        ;       Child Loop BB5_44 Depth 3
	s_cmp_eq_u32 s30, 0
	s_mov_b32 s31, s30
	s_cbranch_scc1 .LBB5_42
.LBB5_44:                               ;   Parent Loop BB5_7 Depth=1
                                        ;     Parent Loop BB5_43 Depth=2
                                        ; =>    This Inner Loop Header: Depth=3
	s_add_i32 s31, s31, -1
	s_sleep 1
	s_cmp_eq_u32 s31, 0
	s_cbranch_scc0 .LBB5_44
	s_branch .LBB5_42
.LBB5_45:
	v_mov_b32_e32 v10, v7
.LBB5_46:
	s_and_saveexec_b32 s0, s2
	s_cbranch_execz .LBB5_48
; %bb.47:
	s_delay_alu instid0(VALU_DEP_1) | instskip(SKIP_3) | instid1(VALU_DEP_1)
	v_mul_f32_e32 v1, v9, v10
	s_cmp_eq_u32 s6, 0
	s_cselect_b32 vcc_lo, -1, 0
	s_lshl_b64 s[2:3], s[18:19], 2
	v_cndmask_b32_e32 v5, v10, v1, vcc_lo
	v_add_co_u32 v1, vcc_lo, v3, s2
	v_add_co_ci_u32_e32 v2, vcc_lo, s3, v4, vcc_lo
	global_store_b32 v[1:2], v5, off
.LBB5_48:
	s_or_b32 exec_lo, exec_lo, s0
	s_waitcnt_vscnt null, 0x0
	buffer_gl1_inv
	buffer_gl0_inv
	s_barrier
	buffer_gl0_inv
	s_mov_b32 s0, exec_lo
	v_cmpx_eq_u32_e32 0, v0
	s_cbranch_execz .LBB5_50
; %bb.49:
	s_add_i32 s0, s20, s7
	v_dual_mov_b32 v0, 0 :: v_dual_mov_b32 v1, 1
	s_ashr_i32 s1, s0, 31
	s_delay_alu instid0(SALU_CYCLE_1) | instskip(NEXT) | instid1(SALU_CYCLE_1)
	s_lshl_b64 s[0:1], s[0:1], 2
	s_add_u32 s0, s10, s0
	s_addc_u32 s1, s11, s1
	global_store_b32 v0, v1, s[0:1]
.LBB5_50:
	s_nop 0
	s_sendmsg sendmsg(MSG_DEALLOC_VGPRS)
	s_endpgm
	.section	.rodata,"a",@progbits
	.p2align	6, 0x0
	.amdhsa_kernel _ZN9rocsparseL5csrsmILj256ELj64ELb1EiifEEv20rocsparse_operation_T3_S2_NS_24const_host_device_scalarIT4_EEPKT2_PKS2_PKS4_PS4_lPiSA_PS2_21rocsparse_index_base_20rocsparse_fill_mode_20rocsparse_diag_type_b
		.amdhsa_group_segment_fixed_size 2048
		.amdhsa_private_segment_fixed_size 0
		.amdhsa_kernarg_size 104
		.amdhsa_user_sgpr_count 15
		.amdhsa_user_sgpr_dispatch_ptr 0
		.amdhsa_user_sgpr_queue_ptr 0
		.amdhsa_user_sgpr_kernarg_segment_ptr 1
		.amdhsa_user_sgpr_dispatch_id 0
		.amdhsa_user_sgpr_private_segment_size 0
		.amdhsa_wavefront_size32 1
		.amdhsa_uses_dynamic_stack 0
		.amdhsa_enable_private_segment 0
		.amdhsa_system_sgpr_workgroup_id_x 1
		.amdhsa_system_sgpr_workgroup_id_y 0
		.amdhsa_system_sgpr_workgroup_id_z 0
		.amdhsa_system_sgpr_workgroup_info 0
		.amdhsa_system_vgpr_workitem_id 0
		.amdhsa_next_free_vgpr 14
		.amdhsa_next_free_sgpr 32
		.amdhsa_reserve_vcc 1
		.amdhsa_float_round_mode_32 0
		.amdhsa_float_round_mode_16_64 0
		.amdhsa_float_denorm_mode_32 3
		.amdhsa_float_denorm_mode_16_64 3
		.amdhsa_dx10_clamp 1
		.amdhsa_ieee_mode 1
		.amdhsa_fp16_overflow 0
		.amdhsa_workgroup_processor_mode 1
		.amdhsa_memory_ordered 1
		.amdhsa_forward_progress 0
		.amdhsa_shared_vgpr_count 0
		.amdhsa_exception_fp_ieee_invalid_op 0
		.amdhsa_exception_fp_denorm_src 0
		.amdhsa_exception_fp_ieee_div_zero 0
		.amdhsa_exception_fp_ieee_overflow 0
		.amdhsa_exception_fp_ieee_underflow 0
		.amdhsa_exception_fp_ieee_inexact 0
		.amdhsa_exception_int_div_zero 0
	.end_amdhsa_kernel
	.section	.text._ZN9rocsparseL5csrsmILj256ELj64ELb1EiifEEv20rocsparse_operation_T3_S2_NS_24const_host_device_scalarIT4_EEPKT2_PKS2_PKS4_PS4_lPiSA_PS2_21rocsparse_index_base_20rocsparse_fill_mode_20rocsparse_diag_type_b,"axG",@progbits,_ZN9rocsparseL5csrsmILj256ELj64ELb1EiifEEv20rocsparse_operation_T3_S2_NS_24const_host_device_scalarIT4_EEPKT2_PKS2_PKS4_PS4_lPiSA_PS2_21rocsparse_index_base_20rocsparse_fill_mode_20rocsparse_diag_type_b,comdat
.Lfunc_end5:
	.size	_ZN9rocsparseL5csrsmILj256ELj64ELb1EiifEEv20rocsparse_operation_T3_S2_NS_24const_host_device_scalarIT4_EEPKT2_PKS2_PKS4_PS4_lPiSA_PS2_21rocsparse_index_base_20rocsparse_fill_mode_20rocsparse_diag_type_b, .Lfunc_end5-_ZN9rocsparseL5csrsmILj256ELj64ELb1EiifEEv20rocsparse_operation_T3_S2_NS_24const_host_device_scalarIT4_EEPKT2_PKS2_PKS4_PS4_lPiSA_PS2_21rocsparse_index_base_20rocsparse_fill_mode_20rocsparse_diag_type_b
                                        ; -- End function
	.section	.AMDGPU.csdata,"",@progbits
; Kernel info:
; codeLenInByte = 1716
; NumSgprs: 34
; NumVgprs: 14
; ScratchSize: 0
; MemoryBound: 0
; FloatMode: 240
; IeeeMode: 1
; LDSByteSize: 2048 bytes/workgroup (compile time only)
; SGPRBlocks: 4
; VGPRBlocks: 1
; NumSGPRsForWavesPerEU: 34
; NumVGPRsForWavesPerEU: 14
; Occupancy: 16
; WaveLimiterHint : 1
; COMPUTE_PGM_RSRC2:SCRATCH_EN: 0
; COMPUTE_PGM_RSRC2:USER_SGPR: 15
; COMPUTE_PGM_RSRC2:TRAP_HANDLER: 0
; COMPUTE_PGM_RSRC2:TGID_X_EN: 1
; COMPUTE_PGM_RSRC2:TGID_Y_EN: 0
; COMPUTE_PGM_RSRC2:TGID_Z_EN: 0
; COMPUTE_PGM_RSRC2:TIDIG_COMP_CNT: 0
	.section	.text._ZN9rocsparseL5csrsmILj256ELj64ELb0EiifEEv20rocsparse_operation_T3_S2_NS_24const_host_device_scalarIT4_EEPKT2_PKS2_PKS4_PS4_lPiSA_PS2_21rocsparse_index_base_20rocsparse_fill_mode_20rocsparse_diag_type_b,"axG",@progbits,_ZN9rocsparseL5csrsmILj256ELj64ELb0EiifEEv20rocsparse_operation_T3_S2_NS_24const_host_device_scalarIT4_EEPKT2_PKS2_PKS4_PS4_lPiSA_PS2_21rocsparse_index_base_20rocsparse_fill_mode_20rocsparse_diag_type_b,comdat
	.globl	_ZN9rocsparseL5csrsmILj256ELj64ELb0EiifEEv20rocsparse_operation_T3_S2_NS_24const_host_device_scalarIT4_EEPKT2_PKS2_PKS4_PS4_lPiSA_PS2_21rocsparse_index_base_20rocsparse_fill_mode_20rocsparse_diag_type_b ; -- Begin function _ZN9rocsparseL5csrsmILj256ELj64ELb0EiifEEv20rocsparse_operation_T3_S2_NS_24const_host_device_scalarIT4_EEPKT2_PKS2_PKS4_PS4_lPiSA_PS2_21rocsparse_index_base_20rocsparse_fill_mode_20rocsparse_diag_type_b
	.p2align	8
	.type	_ZN9rocsparseL5csrsmILj256ELj64ELb0EiifEEv20rocsparse_operation_T3_S2_NS_24const_host_device_scalarIT4_EEPKT2_PKS2_PKS4_PS4_lPiSA_PS2_21rocsparse_index_base_20rocsparse_fill_mode_20rocsparse_diag_type_b,@function
_ZN9rocsparseL5csrsmILj256ELj64ELb0EiifEEv20rocsparse_operation_T3_S2_NS_24const_host_device_scalarIT4_EEPKT2_PKS2_PKS4_PS4_lPiSA_PS2_21rocsparse_index_base_20rocsparse_fill_mode_20rocsparse_diag_type_b: ; @_ZN9rocsparseL5csrsmILj256ELj64ELb0EiifEEv20rocsparse_operation_T3_S2_NS_24const_host_device_scalarIT4_EEPKT2_PKS2_PKS4_PS4_lPiSA_PS2_21rocsparse_index_base_20rocsparse_fill_mode_20rocsparse_diag_type_b
; %bb.0:
	s_clause 0x3
	s_load_b128 s[4:7], s[0:1], 0x58
	s_load_b64 s[2:3], s[0:1], 0x48
	s_load_b128 s[16:19], s[0:1], 0x10
	s_load_b64 s[12:13], s[0:1], 0x30
	s_waitcnt lgkmcnt(0)
	s_bitcmp1_b32 s7, 0
	s_cselect_b32 s7, -1, 0
	s_delay_alu instid0(SALU_CYCLE_1)
	s_and_b32 vcc_lo, exec_lo, s7
	s_cbranch_vccnz .LBB6_2
; %bb.1:
	s_load_b32 s16, s[16:17], 0x0
.LBB6_2:
	s_load_b64 s[24:25], s[0:1], 0x4
	v_mov_b32_e32 v7, 0
	s_waitcnt lgkmcnt(0)
	v_cvt_f32_u32_e32 v1, s24
	s_sub_i32 s8, 0, s24
	s_delay_alu instid0(VALU_DEP_1) | instskip(SKIP_2) | instid1(VALU_DEP_1)
	v_rcp_iflag_f32_e32 v1, v1
	s_waitcnt_depctr 0xfff
	v_mul_f32_e32 v1, 0x4f7ffffe, v1
	v_cvt_u32_f32_e32 v1, v1
	s_delay_alu instid0(VALU_DEP_1) | instskip(NEXT) | instid1(VALU_DEP_1)
	v_readfirstlane_b32 s7, v1
	s_mul_i32 s8, s8, s7
	s_delay_alu instid0(SALU_CYCLE_1) | instskip(NEXT) | instid1(SALU_CYCLE_1)
	s_mul_hi_u32 s8, s7, s8
	s_add_i32 s7, s7, s8
	s_delay_alu instid0(SALU_CYCLE_1) | instskip(NEXT) | instid1(SALU_CYCLE_1)
	s_mul_hi_u32 s7, s15, s7
	s_mul_i32 s8, s7, s24
	s_add_i32 s9, s7, 1
	s_sub_i32 s8, s15, s8
	s_delay_alu instid0(SALU_CYCLE_1)
	s_sub_i32 s10, s8, s24
	s_cmp_ge_u32 s8, s24
	s_cselect_b32 s7, s9, s7
	s_cselect_b32 s8, s10, s8
	s_add_i32 s9, s7, 1
	s_cmp_ge_u32 s8, s24
	s_cselect_b32 s14, s9, s7
	s_delay_alu instid0(SALU_CYCLE_1) | instskip(SKIP_2) | instid1(SALU_CYCLE_1)
	s_mul_i32 s7, s14, s24
	v_lshl_or_b32 v1, s14, 8, v0
	s_sub_i32 s8, s15, s7
	s_ashr_i32 s9, s8, 31
	s_delay_alu instid0(VALU_DEP_1) | instskip(SKIP_1) | instid1(SALU_CYCLE_1)
	v_ashrrev_i32_e32 v2, 31, v1
	s_lshl_b64 s[8:9], s[8:9], 2
	s_add_u32 s2, s2, s8
	s_addc_u32 s3, s3, s9
	s_load_b32 s20, s[2:3], 0x0
	s_load_b128 s[8:11], s[0:1], 0x38
	s_waitcnt lgkmcnt(0)
	s_ashr_i32 s21, s20, 31
	s_delay_alu instid0(SALU_CYCLE_1)
	s_lshl_b64 s[2:3], s[20:21], 2
	s_mul_i32 s14, s21, s8
	s_add_u32 s2, s18, s2
	s_addc_u32 s3, s19, s3
	s_mul_i32 s18, s20, s8
	s_load_b64 s[22:23], s[2:3], 0x0
	s_mul_i32 s2, s20, s9
	s_mul_hi_u32 s3, s20, s8
	s_delay_alu instid0(SALU_CYCLE_1) | instskip(SKIP_2) | instid1(VALU_DEP_1)
	s_add_i32 s3, s3, s2
	v_cmp_gt_i32_e64 s2, s25, v1
	s_add_i32 s19, s3, s14
	s_and_saveexec_b32 s3, s2
	s_cbranch_execz .LBB6_4
; %bb.3:
	v_add_co_u32 v3, vcc_lo, s18, v1
	v_add_co_ci_u32_e32 v4, vcc_lo, s19, v2, vcc_lo
	s_delay_alu instid0(VALU_DEP_1) | instskip(NEXT) | instid1(VALU_DEP_1)
	v_lshlrev_b64 v[3:4], 2, v[3:4]
	v_add_co_u32 v3, vcc_lo, s12, v3
	s_delay_alu instid0(VALU_DEP_2)
	v_add_co_ci_u32_e32 v4, vcc_lo, s13, v4, vcc_lo
	global_load_b32 v3, v[3:4], off
	s_waitcnt vmcnt(0)
	v_mul_f32_e32 v7, s16, v3
.LBB6_4:
	s_or_b32 exec_lo, exec_lo, s3
	v_lshlrev_b64 v[1:2], 2, v[1:2]
	v_mov_b32_e32 v9, 1.0
	v_cmp_eq_u32_e64 s3, 0, v0
	s_waitcnt lgkmcnt(0)
	s_cmp_ge_i32 s22, s23
	s_delay_alu instid0(VALU_DEP_3)
	v_add_co_u32 v3, vcc_lo, s12, v1
	v_add_co_ci_u32_e32 v4, vcc_lo, s13, v2, vcc_lo
	s_cbranch_scc1 .LBB6_42
; %bb.5:
	s_clause 0x1
	s_load_b64 s[16:17], s[0:1], 0x50
	s_load_b128 s[12:15], s[0:1], 0x20
	v_dual_mov_b32 v8, 1.0 :: v_dual_lshlrev_b32 v5, 2, v0
	s_sub_i32 s21, s22, s4
	s_sub_i32 s24, s23, s4
	s_cmp_lg_u32 s6, 0
	s_delay_alu instid0(VALU_DEP_1)
	v_or_b32_e32 v6, 0x400, v5
	s_cselect_b32 s25, -1, 0
	v_cmp_ne_u32_e64 s0, 0, v0
	s_add_i32 s26, s20, s4
	v_mov_b32_e32 v2, 0
	s_cmp_eq_u32 s6, 0
	s_mov_b32 s27, s21
	s_cselect_b32 s1, -1, 0
	s_branch .LBB6_7
.LBB6_6:                                ;   in Loop: Header=BB6_7 Depth=1
	s_add_i32 s27, s27, 1
	s_delay_alu instid0(SALU_CYCLE_1)
	s_cmp_ge_i32 s27, s24
	s_cselect_b32 s22, -1, 0
	v_dual_mov_b32 v7, v10 :: v_dual_mov_b32 v8, v9
	s_and_not1_b32 vcc_lo, exec_lo, s22
	s_cbranch_vccz .LBB6_43
.LBB6_7:                                ; =>This Loop Header: Depth=1
                                        ;     Child Loop BB6_35 Depth 2
	s_sub_i32 s22, s27, s21
	s_delay_alu instid0(SALU_CYCLE_1) | instskip(NEXT) | instid1(SALU_CYCLE_1)
	s_and_b32 s22, s22, 0xff
	s_cmp_lg_u32 s22, 0
	s_cbranch_scc1 .LBB6_11
; %bb.8:                                ;   in Loop: Header=BB6_7 Depth=1
	s_sub_i32 s23, s24, s27
	v_mov_b32_e32 v1, -1
	v_cmp_gt_u32_e32 vcc_lo, s23, v0
	v_mov_b32_e32 v9, -1.0
	s_and_saveexec_b32 s23, vcc_lo
	s_cbranch_execz .LBB6_10
; %bb.9:                                ;   in Loop: Header=BB6_7 Depth=1
	v_add_nc_u32_e32 v1, s27, v0
	s_delay_alu instid0(VALU_DEP_1) | instskip(SKIP_1) | instid1(VALU_DEP_1)
	v_lshlrev_b64 v[9:10], 2, v[1:2]
	s_waitcnt lgkmcnt(0)
	v_add_co_u32 v11, vcc_lo, s12, v9
	s_delay_alu instid0(VALU_DEP_2)
	v_add_co_ci_u32_e32 v12, vcc_lo, s13, v10, vcc_lo
	v_add_co_u32 v9, vcc_lo, s14, v9
	v_add_co_ci_u32_e32 v10, vcc_lo, s15, v10, vcc_lo
	global_load_b32 v1, v[11:12], off
	global_load_b32 v9, v[9:10], off
	s_waitcnt vmcnt(1)
	v_subrev_nc_u32_e32 v1, s4, v1
.LBB6_10:                               ;   in Loop: Header=BB6_7 Depth=1
	s_or_b32 exec_lo, exec_lo, s23
	ds_store_b32 v5, v1
	s_waitcnt vmcnt(0)
	ds_store_b32 v6, v9
.LBB6_11:                               ;   in Loop: Header=BB6_7 Depth=1
	s_lshl_b32 s22, s22, 2
	s_waitcnt lgkmcnt(0)
	v_mov_b32_e32 v1, s22
	s_waitcnt_vscnt null, 0x0
	s_barrier
	buffer_gl0_inv
	ds_load_2addr_stride64_b32 v[9:10], v1 offset1:4
	s_waitcnt lgkmcnt(0)
	v_readfirstlane_b32 s28, v9
	v_cmp_neq_f32_e32 vcc_lo, 0, v10
	s_delay_alu instid0(VALU_DEP_2) | instskip(SKIP_1) | instid1(SALU_CYCLE_1)
	s_cmp_lg_u32 s28, s20
	s_cselect_b32 s22, -1, 0
	s_or_b32 s22, s25, s22
	s_delay_alu instid0(SALU_CYCLE_1) | instskip(SKIP_2) | instid1(SALU_CYCLE_1)
	s_or_b32 vcc_lo, vcc_lo, s22
	v_cndmask_b32_e32 v1, 1.0, v10, vcc_lo
	s_or_b32 s22, s0, vcc_lo
	s_xor_b32 s23, s22, -1
	s_delay_alu instid0(SALU_CYCLE_1)
	s_and_saveexec_b32 s22, s23
	s_cbranch_execz .LBB6_15
; %bb.12:                               ;   in Loop: Header=BB6_7 Depth=1
	v_mbcnt_lo_u32_b32 v1, exec_lo, 0
	s_mov_b32 s23, exec_lo
	s_delay_alu instid0(VALU_DEP_1)
	v_cmpx_eq_u32_e32 0, v1
	s_cbranch_execz .LBB6_14
; %bb.13:                               ;   in Loop: Header=BB6_7 Depth=1
	v_mov_b32_e32 v1, s26
	global_atomic_min_i32 v2, v1, s[16:17]
.LBB6_14:                               ;   in Loop: Header=BB6_7 Depth=1
	s_or_b32 exec_lo, exec_lo, s23
	v_mov_b32_e32 v1, 1.0
.LBB6_15:                               ;   in Loop: Header=BB6_7 Depth=1
	s_or_b32 exec_lo, exec_lo, s22
	s_cmp_lt_i32 s5, 1
	s_mov_b32 s22, 0
	s_cbranch_scc1 .LBB6_20
; %bb.16:                               ;   in Loop: Header=BB6_7 Depth=1
	s_cmp_eq_u32 s5, 1
	s_cbranch_scc0 .LBB6_21
; %bb.17:                               ;   in Loop: Header=BB6_7 Depth=1
	v_mov_b32_e32 v9, v8
	s_cmp_ge_i32 s28, s20
	s_mov_b32 s23, 0
	s_cbranch_scc0 .LBB6_23
; %bb.18:                               ;   in Loop: Header=BB6_7 Depth=1
	s_cmp_eq_u32 s28, s20
	s_cbranch_scc0 .LBB6_22
; %bb.19:                               ;   in Loop: Header=BB6_7 Depth=1
	v_div_scale_f32 v9, null, v1, v1, 1.0
	s_delay_alu instid0(VALU_DEP_1) | instskip(SKIP_2) | instid1(VALU_DEP_1)
	v_rcp_f32_e32 v10, v9
	s_waitcnt_depctr 0xfff
	v_fma_f32 v11, -v9, v10, 1.0
	v_fmac_f32_e32 v10, v11, v10
	v_div_scale_f32 v11, vcc_lo, 1.0, v1, 1.0
	s_delay_alu instid0(VALU_DEP_1) | instskip(NEXT) | instid1(VALU_DEP_1)
	v_mul_f32_e32 v12, v11, v10
	v_fma_f32 v13, -v9, v12, v11
	s_delay_alu instid0(VALU_DEP_1) | instskip(NEXT) | instid1(VALU_DEP_1)
	v_fmac_f32_e32 v12, v13, v10
	v_fma_f32 v9, -v9, v12, v11
	s_delay_alu instid0(VALU_DEP_1) | instskip(NEXT) | instid1(VALU_DEP_1)
	v_div_fmas_f32 v9, v9, v10, v12
	v_div_fixup_f32 v9, v9, v1, 1.0
	s_delay_alu instid0(VALU_DEP_1)
	v_cndmask_b32_e64 v9, v8, v9, s1
	s_branch .LBB6_23
.LBB6_20:                               ;   in Loop: Header=BB6_7 Depth=1
	s_mov_b32 s23, 0
                                        ; implicit-def: $vgpr10
                                        ; implicit-def: $vgpr9
                                        ; implicit-def: $sgpr29
	s_cbranch_execnz .LBB6_24
	s_branch .LBB6_26
.LBB6_21:                               ;   in Loop: Header=BB6_7 Depth=1
	s_mov_b32 s23, -1
                                        ; implicit-def: $vgpr10
                                        ; implicit-def: $vgpr9
                                        ; implicit-def: $sgpr29
	s_branch .LBB6_26
.LBB6_22:                               ;   in Loop: Header=BB6_7 Depth=1
	s_mov_b32 s23, -1
                                        ; implicit-def: $vgpr9
.LBB6_23:                               ;   in Loop: Header=BB6_7 Depth=1
	v_mov_b32_e32 v10, v7
	s_mov_b32 s29, 4
	s_branch .LBB6_26
.LBB6_24:                               ;   in Loop: Header=BB6_7 Depth=1
	s_cmp_eq_u32 s5, 0
	s_cbranch_scc1 .LBB6_30
; %bb.25:                               ;   in Loop: Header=BB6_7 Depth=1
	s_mov_b32 s23, -1
                                        ; implicit-def: $vgpr10
                                        ; implicit-def: $vgpr9
                                        ; implicit-def: $sgpr29
.LBB6_26:                               ;   in Loop: Header=BB6_7 Depth=1
	s_delay_alu instid0(SALU_CYCLE_1)
	s_and_b32 vcc_lo, exec_lo, s23
	s_cbranch_vccnz .LBB6_33
.LBB6_27:                               ;   in Loop: Header=BB6_7 Depth=1
	s_and_b32 vcc_lo, exec_lo, s22
	s_cbranch_vccnz .LBB6_39
.LBB6_28:                               ;   in Loop: Header=BB6_7 Depth=1
	s_cmp_gt_i32 s29, 3
	s_mov_b32 s22, -1
	s_cbranch_scc1 .LBB6_40
.LBB6_29:                               ;   in Loop: Header=BB6_7 Depth=1
	s_cmp_eq_u32 s29, 0
	s_cselect_b32 s23, -1, 0
	s_delay_alu instid0(SALU_CYCLE_1)
	s_and_not1_b32 vcc_lo, exec_lo, s23
	s_cbranch_vccz .LBB6_6
	s_branch .LBB6_41
.LBB6_30:                               ;   in Loop: Header=BB6_7 Depth=1
	s_cmp_le_i32 s28, s20
	s_mov_b32 s23, 0
	s_cbranch_scc0 .LBB6_32
; %bb.31:                               ;   in Loop: Header=BB6_7 Depth=1
	s_cmp_lg_u32 s28, s20
	s_mov_b32 s22, -1
	s_cselect_b32 s23, -1, 0
.LBB6_32:                               ;   in Loop: Header=BB6_7 Depth=1
	v_dual_mov_b32 v10, v7 :: v_dual_mov_b32 v9, v8
	s_mov_b32 s29, 2
	s_and_b32 vcc_lo, exec_lo, s23
	s_cbranch_vccz .LBB6_27
.LBB6_33:                               ;   in Loop: Header=BB6_7 Depth=1
	s_and_saveexec_b32 s29, s3
	s_cbranch_execz .LBB6_36
; %bb.34:                               ;   in Loop: Header=BB6_7 Depth=1
	s_add_i32 s22, s28, s7
	s_delay_alu instid0(SALU_CYCLE_1) | instskip(NEXT) | instid1(SALU_CYCLE_1)
	s_ashr_i32 s23, s22, 31
	s_lshl_b64 s[22:23], s[22:23], 2
	s_delay_alu instid0(SALU_CYCLE_1)
	s_add_u32 s22, s10, s22
	s_addc_u32 s23, s11, s23
	global_load_b32 v9, v2, s[22:23] glc
	s_waitcnt vmcnt(0)
	v_cmp_ne_u32_e32 vcc_lo, 0, v9
	s_cbranch_vccnz .LBB6_36
.LBB6_35:                               ;   Parent Loop BB6_7 Depth=1
                                        ; =>  This Inner Loop Header: Depth=2
	global_load_b32 v9, v2, s[22:23] glc
	s_waitcnt vmcnt(0)
	v_cmp_eq_u32_e32 vcc_lo, 0, v9
	s_cbranch_vccnz .LBB6_35
.LBB6_36:                               ;   in Loop: Header=BB6_7 Depth=1
	s_or_b32 exec_lo, exec_lo, s29
	v_mov_b32_e32 v10, 0
	s_waitcnt_vscnt null, 0x0
	s_barrier
	buffer_gl0_inv
	buffer_gl1_inv
	buffer_gl0_inv
	s_and_saveexec_b32 s22, s2
	s_cbranch_execz .LBB6_38
; %bb.37:                               ;   in Loop: Header=BB6_7 Depth=1
	s_mul_i32 s23, s28, s9
	s_mul_hi_u32 s29, s28, s8
	s_ashr_i32 s30, s28, 31
	s_add_i32 s23, s29, s23
	s_mul_i32 s30, s30, s8
	s_mul_i32 s28, s28, s8
	s_add_i32 s29, s23, s30
	s_delay_alu instid0(SALU_CYCLE_1) | instskip(NEXT) | instid1(SALU_CYCLE_1)
	s_lshl_b64 s[28:29], s[28:29], 2
	v_add_co_u32 v9, vcc_lo, v3, s28
	v_add_co_ci_u32_e32 v10, vcc_lo, s29, v4, vcc_lo
	global_load_b32 v9, v[9:10], off
	s_waitcnt vmcnt(0)
	v_fma_f32 v10, -v1, v9, v7
.LBB6_38:                               ;   in Loop: Header=BB6_7 Depth=1
	s_or_b32 exec_lo, exec_lo, s22
	v_mov_b32_e32 v9, v8
	s_mov_b32 s29, 0
	s_branch .LBB6_28
.LBB6_39:                               ;   in Loop: Header=BB6_7 Depth=1
	v_div_scale_f32 v9, null, v1, v1, 1.0
	v_div_scale_f32 v12, vcc_lo, 1.0, v1, 1.0
	s_mov_b32 s29, 2
	s_delay_alu instid0(VALU_DEP_2) | instskip(SKIP_2) | instid1(VALU_DEP_1)
	v_rcp_f32_e32 v10, v9
	s_waitcnt_depctr 0xfff
	v_fma_f32 v11, -v9, v10, 1.0
	v_fmac_f32_e32 v10, v11, v10
	s_delay_alu instid0(VALU_DEP_1) | instskip(NEXT) | instid1(VALU_DEP_1)
	v_mul_f32_e32 v11, v12, v10
	v_fma_f32 v13, -v9, v11, v12
	s_delay_alu instid0(VALU_DEP_1) | instskip(NEXT) | instid1(VALU_DEP_1)
	v_fmac_f32_e32 v11, v13, v10
	v_fma_f32 v9, -v9, v11, v12
	s_delay_alu instid0(VALU_DEP_1) | instskip(SKIP_1) | instid1(VALU_DEP_2)
	v_div_fmas_f32 v9, v9, v10, v11
	v_mov_b32_e32 v10, v7
	v_div_fixup_f32 v1, v9, v1, 1.0
	s_delay_alu instid0(VALU_DEP_1)
	v_cndmask_b32_e64 v9, v8, v1, s1
	s_cmp_gt_i32 s29, 3
	s_mov_b32 s22, -1
	s_cbranch_scc0 .LBB6_29
.LBB6_40:                               ;   in Loop: Header=BB6_7 Depth=1
	s_branch .LBB6_6
.LBB6_41:                               ;   in Loop: Header=BB6_7 Depth=1
                                        ; implicit-def: $sgpr27
	v_dual_mov_b32 v7, v10 :: v_dual_mov_b32 v8, v9
	s_and_not1_b32 vcc_lo, exec_lo, s22
	s_cbranch_vccnz .LBB6_7
	s_branch .LBB6_43
.LBB6_42:
	v_mov_b32_e32 v10, v7
.LBB6_43:
	s_and_saveexec_b32 s0, s2
	s_cbranch_execz .LBB6_45
; %bb.44:
	s_delay_alu instid0(VALU_DEP_1) | instskip(SKIP_3) | instid1(VALU_DEP_1)
	v_mul_f32_e32 v1, v9, v10
	s_cmp_eq_u32 s6, 0
	s_cselect_b32 vcc_lo, -1, 0
	s_lshl_b64 s[2:3], s[18:19], 2
	v_cndmask_b32_e32 v5, v10, v1, vcc_lo
	v_add_co_u32 v1, vcc_lo, v3, s2
	v_add_co_ci_u32_e32 v2, vcc_lo, s3, v4, vcc_lo
	global_store_b32 v[1:2], v5, off
.LBB6_45:
	s_or_b32 exec_lo, exec_lo, s0
	s_waitcnt_vscnt null, 0x0
	buffer_gl1_inv
	buffer_gl0_inv
	s_barrier
	buffer_gl0_inv
	s_mov_b32 s0, exec_lo
	v_cmpx_eq_u32_e32 0, v0
	s_cbranch_execz .LBB6_47
; %bb.46:
	s_add_i32 s0, s20, s7
	v_dual_mov_b32 v0, 0 :: v_dual_mov_b32 v1, 1
	s_ashr_i32 s1, s0, 31
	s_delay_alu instid0(SALU_CYCLE_1) | instskip(NEXT) | instid1(SALU_CYCLE_1)
	s_lshl_b64 s[0:1], s[0:1], 2
	s_add_u32 s0, s10, s0
	s_addc_u32 s1, s11, s1
	global_store_b32 v0, v1, s[0:1]
.LBB6_47:
	s_nop 0
	s_sendmsg sendmsg(MSG_DEALLOC_VGPRS)
	s_endpgm
	.section	.rodata,"a",@progbits
	.p2align	6, 0x0
	.amdhsa_kernel _ZN9rocsparseL5csrsmILj256ELj64ELb0EiifEEv20rocsparse_operation_T3_S2_NS_24const_host_device_scalarIT4_EEPKT2_PKS2_PKS4_PS4_lPiSA_PS2_21rocsparse_index_base_20rocsparse_fill_mode_20rocsparse_diag_type_b
		.amdhsa_group_segment_fixed_size 2048
		.amdhsa_private_segment_fixed_size 0
		.amdhsa_kernarg_size 104
		.amdhsa_user_sgpr_count 15
		.amdhsa_user_sgpr_dispatch_ptr 0
		.amdhsa_user_sgpr_queue_ptr 0
		.amdhsa_user_sgpr_kernarg_segment_ptr 1
		.amdhsa_user_sgpr_dispatch_id 0
		.amdhsa_user_sgpr_private_segment_size 0
		.amdhsa_wavefront_size32 1
		.amdhsa_uses_dynamic_stack 0
		.amdhsa_enable_private_segment 0
		.amdhsa_system_sgpr_workgroup_id_x 1
		.amdhsa_system_sgpr_workgroup_id_y 0
		.amdhsa_system_sgpr_workgroup_id_z 0
		.amdhsa_system_sgpr_workgroup_info 0
		.amdhsa_system_vgpr_workitem_id 0
		.amdhsa_next_free_vgpr 14
		.amdhsa_next_free_sgpr 31
		.amdhsa_reserve_vcc 1
		.amdhsa_float_round_mode_32 0
		.amdhsa_float_round_mode_16_64 0
		.amdhsa_float_denorm_mode_32 3
		.amdhsa_float_denorm_mode_16_64 3
		.amdhsa_dx10_clamp 1
		.amdhsa_ieee_mode 1
		.amdhsa_fp16_overflow 0
		.amdhsa_workgroup_processor_mode 1
		.amdhsa_memory_ordered 1
		.amdhsa_forward_progress 0
		.amdhsa_shared_vgpr_count 0
		.amdhsa_exception_fp_ieee_invalid_op 0
		.amdhsa_exception_fp_denorm_src 0
		.amdhsa_exception_fp_ieee_div_zero 0
		.amdhsa_exception_fp_ieee_overflow 0
		.amdhsa_exception_fp_ieee_underflow 0
		.amdhsa_exception_fp_ieee_inexact 0
		.amdhsa_exception_int_div_zero 0
	.end_amdhsa_kernel
	.section	.text._ZN9rocsparseL5csrsmILj256ELj64ELb0EiifEEv20rocsparse_operation_T3_S2_NS_24const_host_device_scalarIT4_EEPKT2_PKS2_PKS4_PS4_lPiSA_PS2_21rocsparse_index_base_20rocsparse_fill_mode_20rocsparse_diag_type_b,"axG",@progbits,_ZN9rocsparseL5csrsmILj256ELj64ELb0EiifEEv20rocsparse_operation_T3_S2_NS_24const_host_device_scalarIT4_EEPKT2_PKS2_PKS4_PS4_lPiSA_PS2_21rocsparse_index_base_20rocsparse_fill_mode_20rocsparse_diag_type_b,comdat
.Lfunc_end6:
	.size	_ZN9rocsparseL5csrsmILj256ELj64ELb0EiifEEv20rocsparse_operation_T3_S2_NS_24const_host_device_scalarIT4_EEPKT2_PKS2_PKS4_PS4_lPiSA_PS2_21rocsparse_index_base_20rocsparse_fill_mode_20rocsparse_diag_type_b, .Lfunc_end6-_ZN9rocsparseL5csrsmILj256ELj64ELb0EiifEEv20rocsparse_operation_T3_S2_NS_24const_host_device_scalarIT4_EEPKT2_PKS2_PKS4_PS4_lPiSA_PS2_21rocsparse_index_base_20rocsparse_fill_mode_20rocsparse_diag_type_b
                                        ; -- End function
	.section	.AMDGPU.csdata,"",@progbits
; Kernel info:
; codeLenInByte = 1656
; NumSgprs: 33
; NumVgprs: 14
; ScratchSize: 0
; MemoryBound: 0
; FloatMode: 240
; IeeeMode: 1
; LDSByteSize: 2048 bytes/workgroup (compile time only)
; SGPRBlocks: 4
; VGPRBlocks: 1
; NumSGPRsForWavesPerEU: 33
; NumVGPRsForWavesPerEU: 14
; Occupancy: 16
; WaveLimiterHint : 1
; COMPUTE_PGM_RSRC2:SCRATCH_EN: 0
; COMPUTE_PGM_RSRC2:USER_SGPR: 15
; COMPUTE_PGM_RSRC2:TRAP_HANDLER: 0
; COMPUTE_PGM_RSRC2:TGID_X_EN: 1
; COMPUTE_PGM_RSRC2:TGID_Y_EN: 0
; COMPUTE_PGM_RSRC2:TGID_Z_EN: 0
; COMPUTE_PGM_RSRC2:TIDIG_COMP_CNT: 0
	.section	.text._ZN9rocsparseL5csrsmILj512ELj64ELb1EiifEEv20rocsparse_operation_T3_S2_NS_24const_host_device_scalarIT4_EEPKT2_PKS2_PKS4_PS4_lPiSA_PS2_21rocsparse_index_base_20rocsparse_fill_mode_20rocsparse_diag_type_b,"axG",@progbits,_ZN9rocsparseL5csrsmILj512ELj64ELb1EiifEEv20rocsparse_operation_T3_S2_NS_24const_host_device_scalarIT4_EEPKT2_PKS2_PKS4_PS4_lPiSA_PS2_21rocsparse_index_base_20rocsparse_fill_mode_20rocsparse_diag_type_b,comdat
	.globl	_ZN9rocsparseL5csrsmILj512ELj64ELb1EiifEEv20rocsparse_operation_T3_S2_NS_24const_host_device_scalarIT4_EEPKT2_PKS2_PKS4_PS4_lPiSA_PS2_21rocsparse_index_base_20rocsparse_fill_mode_20rocsparse_diag_type_b ; -- Begin function _ZN9rocsparseL5csrsmILj512ELj64ELb1EiifEEv20rocsparse_operation_T3_S2_NS_24const_host_device_scalarIT4_EEPKT2_PKS2_PKS4_PS4_lPiSA_PS2_21rocsparse_index_base_20rocsparse_fill_mode_20rocsparse_diag_type_b
	.p2align	8
	.type	_ZN9rocsparseL5csrsmILj512ELj64ELb1EiifEEv20rocsparse_operation_T3_S2_NS_24const_host_device_scalarIT4_EEPKT2_PKS2_PKS4_PS4_lPiSA_PS2_21rocsparse_index_base_20rocsparse_fill_mode_20rocsparse_diag_type_b,@function
_ZN9rocsparseL5csrsmILj512ELj64ELb1EiifEEv20rocsparse_operation_T3_S2_NS_24const_host_device_scalarIT4_EEPKT2_PKS2_PKS4_PS4_lPiSA_PS2_21rocsparse_index_base_20rocsparse_fill_mode_20rocsparse_diag_type_b: ; @_ZN9rocsparseL5csrsmILj512ELj64ELb1EiifEEv20rocsparse_operation_T3_S2_NS_24const_host_device_scalarIT4_EEPKT2_PKS2_PKS4_PS4_lPiSA_PS2_21rocsparse_index_base_20rocsparse_fill_mode_20rocsparse_diag_type_b
; %bb.0:
	s_clause 0x3
	s_load_b128 s[4:7], s[0:1], 0x58
	s_load_b64 s[2:3], s[0:1], 0x48
	s_load_b128 s[16:19], s[0:1], 0x10
	s_load_b64 s[12:13], s[0:1], 0x30
	s_waitcnt lgkmcnt(0)
	s_bitcmp1_b32 s7, 0
	s_cselect_b32 s7, -1, 0
	s_delay_alu instid0(SALU_CYCLE_1)
	s_and_b32 vcc_lo, exec_lo, s7
	s_cbranch_vccnz .LBB7_2
; %bb.1:
	s_load_b32 s16, s[16:17], 0x0
.LBB7_2:
	s_load_b64 s[24:25], s[0:1], 0x4
	v_mov_b32_e32 v7, 0
	s_waitcnt lgkmcnt(0)
	v_cvt_f32_u32_e32 v1, s24
	s_sub_i32 s8, 0, s24
	s_delay_alu instid0(VALU_DEP_1) | instskip(SKIP_2) | instid1(VALU_DEP_1)
	v_rcp_iflag_f32_e32 v1, v1
	s_waitcnt_depctr 0xfff
	v_mul_f32_e32 v1, 0x4f7ffffe, v1
	v_cvt_u32_f32_e32 v1, v1
	s_delay_alu instid0(VALU_DEP_1) | instskip(NEXT) | instid1(VALU_DEP_1)
	v_readfirstlane_b32 s7, v1
	s_mul_i32 s8, s8, s7
	s_delay_alu instid0(SALU_CYCLE_1) | instskip(NEXT) | instid1(SALU_CYCLE_1)
	s_mul_hi_u32 s8, s7, s8
	s_add_i32 s7, s7, s8
	s_delay_alu instid0(SALU_CYCLE_1) | instskip(NEXT) | instid1(SALU_CYCLE_1)
	s_mul_hi_u32 s7, s15, s7
	s_mul_i32 s8, s7, s24
	s_add_i32 s9, s7, 1
	s_sub_i32 s8, s15, s8
	s_delay_alu instid0(SALU_CYCLE_1)
	s_sub_i32 s10, s8, s24
	s_cmp_ge_u32 s8, s24
	s_cselect_b32 s7, s9, s7
	s_cselect_b32 s8, s10, s8
	s_add_i32 s9, s7, 1
	s_cmp_ge_u32 s8, s24
	s_cselect_b32 s14, s9, s7
	s_delay_alu instid0(SALU_CYCLE_1) | instskip(SKIP_2) | instid1(SALU_CYCLE_1)
	s_mul_i32 s7, s14, s24
	v_lshl_or_b32 v1, s14, 9, v0
	s_sub_i32 s8, s15, s7
	s_ashr_i32 s9, s8, 31
	s_delay_alu instid0(VALU_DEP_1) | instskip(SKIP_1) | instid1(SALU_CYCLE_1)
	v_ashrrev_i32_e32 v2, 31, v1
	s_lshl_b64 s[8:9], s[8:9], 2
	s_add_u32 s2, s2, s8
	s_addc_u32 s3, s3, s9
	s_load_b32 s20, s[2:3], 0x0
	s_load_b128 s[8:11], s[0:1], 0x38
	s_waitcnt lgkmcnt(0)
	s_ashr_i32 s21, s20, 31
	s_delay_alu instid0(SALU_CYCLE_1)
	s_lshl_b64 s[2:3], s[20:21], 2
	s_mul_i32 s14, s21, s8
	s_add_u32 s2, s18, s2
	s_addc_u32 s3, s19, s3
	s_mul_i32 s18, s20, s8
	s_load_b64 s[22:23], s[2:3], 0x0
	s_mul_i32 s2, s20, s9
	s_mul_hi_u32 s3, s20, s8
	s_delay_alu instid0(SALU_CYCLE_1) | instskip(SKIP_2) | instid1(VALU_DEP_1)
	s_add_i32 s3, s3, s2
	v_cmp_gt_i32_e64 s2, s25, v1
	s_add_i32 s19, s3, s14
	s_and_saveexec_b32 s3, s2
	s_cbranch_execz .LBB7_4
; %bb.3:
	v_add_co_u32 v3, vcc_lo, s18, v1
	v_add_co_ci_u32_e32 v4, vcc_lo, s19, v2, vcc_lo
	s_delay_alu instid0(VALU_DEP_1) | instskip(NEXT) | instid1(VALU_DEP_1)
	v_lshlrev_b64 v[3:4], 2, v[3:4]
	v_add_co_u32 v3, vcc_lo, s12, v3
	s_delay_alu instid0(VALU_DEP_2)
	v_add_co_ci_u32_e32 v4, vcc_lo, s13, v4, vcc_lo
	global_load_b32 v3, v[3:4], off
	s_waitcnt vmcnt(0)
	v_mul_f32_e32 v7, s16, v3
.LBB7_4:
	s_or_b32 exec_lo, exec_lo, s3
	v_lshlrev_b64 v[1:2], 2, v[1:2]
	v_mov_b32_e32 v9, 1.0
	v_cmp_eq_u32_e64 s3, 0, v0
	s_waitcnt lgkmcnt(0)
	s_cmp_ge_i32 s22, s23
	s_delay_alu instid0(VALU_DEP_3)
	v_add_co_u32 v3, vcc_lo, s12, v1
	v_add_co_ci_u32_e32 v4, vcc_lo, s13, v2, vcc_lo
	s_cbranch_scc1 .LBB7_45
; %bb.5:
	s_clause 0x1
	s_load_b64 s[16:17], s[0:1], 0x50
	s_load_b128 s[12:15], s[0:1], 0x20
	v_dual_mov_b32 v8, 1.0 :: v_dual_lshlrev_b32 v5, 2, v0
	s_sub_i32 s21, s22, s4
	s_sub_i32 s24, s23, s4
	s_cmp_lg_u32 s6, 0
	s_delay_alu instid0(VALU_DEP_1)
	v_or_b32_e32 v6, 0x800, v5
	s_cselect_b32 s25, -1, 0
	v_cmp_ne_u32_e64 s0, 0, v0
	s_add_i32 s26, s20, s4
	v_mov_b32_e32 v2, 0
	s_cmp_eq_u32 s6, 0
	s_mov_b32 s27, s21
	s_cselect_b32 s1, -1, 0
	s_branch .LBB7_7
.LBB7_6:                                ;   in Loop: Header=BB7_7 Depth=1
	s_add_i32 s27, s27, 1
	s_delay_alu instid0(SALU_CYCLE_1)
	s_cmp_ge_i32 s27, s24
	s_cselect_b32 s22, -1, 0
	v_dual_mov_b32 v7, v10 :: v_dual_mov_b32 v8, v9
	s_and_not1_b32 vcc_lo, exec_lo, s22
	s_cbranch_vccz .LBB7_46
.LBB7_7:                                ; =>This Loop Header: Depth=1
                                        ;     Child Loop BB7_43 Depth 2
                                        ;       Child Loop BB7_44 Depth 3
	s_sub_i32 s22, s27, s21
	s_delay_alu instid0(SALU_CYCLE_1) | instskip(NEXT) | instid1(SALU_CYCLE_1)
	s_and_b32 s22, s22, 0x1ff
	s_cmp_lg_u32 s22, 0
	s_cbranch_scc1 .LBB7_11
; %bb.8:                                ;   in Loop: Header=BB7_7 Depth=1
	s_sub_i32 s23, s24, s27
	v_mov_b32_e32 v1, -1
	v_cmp_gt_u32_e32 vcc_lo, s23, v0
	v_mov_b32_e32 v9, -1.0
	s_and_saveexec_b32 s23, vcc_lo
	s_cbranch_execz .LBB7_10
; %bb.9:                                ;   in Loop: Header=BB7_7 Depth=1
	v_add_nc_u32_e32 v1, s27, v0
	s_delay_alu instid0(VALU_DEP_1) | instskip(SKIP_1) | instid1(VALU_DEP_1)
	v_lshlrev_b64 v[9:10], 2, v[1:2]
	s_waitcnt lgkmcnt(0)
	v_add_co_u32 v11, vcc_lo, s12, v9
	s_delay_alu instid0(VALU_DEP_2)
	v_add_co_ci_u32_e32 v12, vcc_lo, s13, v10, vcc_lo
	v_add_co_u32 v9, vcc_lo, s14, v9
	v_add_co_ci_u32_e32 v10, vcc_lo, s15, v10, vcc_lo
	global_load_b32 v1, v[11:12], off
	global_load_b32 v9, v[9:10], off
	s_waitcnt vmcnt(1)
	v_subrev_nc_u32_e32 v1, s4, v1
.LBB7_10:                               ;   in Loop: Header=BB7_7 Depth=1
	s_or_b32 exec_lo, exec_lo, s23
	ds_store_b32 v5, v1
	s_waitcnt vmcnt(0)
	ds_store_b32 v6, v9
.LBB7_11:                               ;   in Loop: Header=BB7_7 Depth=1
	s_lshl_b32 s22, s22, 2
	s_waitcnt lgkmcnt(0)
	v_mov_b32_e32 v1, s22
	s_waitcnt_vscnt null, 0x0
	s_barrier
	buffer_gl0_inv
	ds_load_2addr_stride64_b32 v[9:10], v1 offset1:8
	s_waitcnt lgkmcnt(0)
	v_readfirstlane_b32 s28, v9
	v_cmp_neq_f32_e32 vcc_lo, 0, v10
	s_delay_alu instid0(VALU_DEP_2) | instskip(SKIP_1) | instid1(SALU_CYCLE_1)
	s_cmp_lg_u32 s28, s20
	s_cselect_b32 s22, -1, 0
	s_or_b32 s22, s25, s22
	s_delay_alu instid0(SALU_CYCLE_1) | instskip(SKIP_2) | instid1(SALU_CYCLE_1)
	s_or_b32 vcc_lo, vcc_lo, s22
	v_cndmask_b32_e32 v1, 1.0, v10, vcc_lo
	s_or_b32 s22, s0, vcc_lo
	s_xor_b32 s23, s22, -1
	s_delay_alu instid0(SALU_CYCLE_1)
	s_and_saveexec_b32 s22, s23
	s_cbranch_execz .LBB7_15
; %bb.12:                               ;   in Loop: Header=BB7_7 Depth=1
	v_mbcnt_lo_u32_b32 v1, exec_lo, 0
	s_mov_b32 s23, exec_lo
	s_delay_alu instid0(VALU_DEP_1)
	v_cmpx_eq_u32_e32 0, v1
	s_cbranch_execz .LBB7_14
; %bb.13:                               ;   in Loop: Header=BB7_7 Depth=1
	v_mov_b32_e32 v1, s26
	global_atomic_min_i32 v2, v1, s[16:17]
.LBB7_14:                               ;   in Loop: Header=BB7_7 Depth=1
	s_or_b32 exec_lo, exec_lo, s23
	v_mov_b32_e32 v1, 1.0
.LBB7_15:                               ;   in Loop: Header=BB7_7 Depth=1
	s_or_b32 exec_lo, exec_lo, s22
	s_cmp_lt_i32 s5, 1
	s_mov_b32 s22, 0
	s_cbranch_scc1 .LBB7_20
; %bb.16:                               ;   in Loop: Header=BB7_7 Depth=1
	s_cmp_eq_u32 s5, 1
	s_cbranch_scc0 .LBB7_21
; %bb.17:                               ;   in Loop: Header=BB7_7 Depth=1
	v_mov_b32_e32 v9, v8
	s_cmp_ge_i32 s28, s20
	s_mov_b32 s23, 0
	s_cbranch_scc0 .LBB7_23
; %bb.18:                               ;   in Loop: Header=BB7_7 Depth=1
	s_cmp_eq_u32 s28, s20
	s_cbranch_scc0 .LBB7_22
; %bb.19:                               ;   in Loop: Header=BB7_7 Depth=1
	v_div_scale_f32 v9, null, v1, v1, 1.0
	s_delay_alu instid0(VALU_DEP_1) | instskip(SKIP_2) | instid1(VALU_DEP_1)
	v_rcp_f32_e32 v10, v9
	s_waitcnt_depctr 0xfff
	v_fma_f32 v11, -v9, v10, 1.0
	v_fmac_f32_e32 v10, v11, v10
	v_div_scale_f32 v11, vcc_lo, 1.0, v1, 1.0
	s_delay_alu instid0(VALU_DEP_1) | instskip(NEXT) | instid1(VALU_DEP_1)
	v_mul_f32_e32 v12, v11, v10
	v_fma_f32 v13, -v9, v12, v11
	s_delay_alu instid0(VALU_DEP_1) | instskip(NEXT) | instid1(VALU_DEP_1)
	v_fmac_f32_e32 v12, v13, v10
	v_fma_f32 v9, -v9, v12, v11
	s_delay_alu instid0(VALU_DEP_1) | instskip(NEXT) | instid1(VALU_DEP_1)
	v_div_fmas_f32 v9, v9, v10, v12
	v_div_fixup_f32 v9, v9, v1, 1.0
	s_delay_alu instid0(VALU_DEP_1)
	v_cndmask_b32_e64 v9, v8, v9, s1
	s_branch .LBB7_23
.LBB7_20:                               ;   in Loop: Header=BB7_7 Depth=1
	s_mov_b32 s23, 0
                                        ; implicit-def: $vgpr10
                                        ; implicit-def: $vgpr9
                                        ; implicit-def: $sgpr29
	s_cbranch_execnz .LBB7_24
	s_branch .LBB7_26
.LBB7_21:                               ;   in Loop: Header=BB7_7 Depth=1
	s_mov_b32 s23, -1
                                        ; implicit-def: $vgpr10
                                        ; implicit-def: $vgpr9
                                        ; implicit-def: $sgpr29
	s_branch .LBB7_26
.LBB7_22:                               ;   in Loop: Header=BB7_7 Depth=1
	s_mov_b32 s23, -1
                                        ; implicit-def: $vgpr9
.LBB7_23:                               ;   in Loop: Header=BB7_7 Depth=1
	v_mov_b32_e32 v10, v7
	s_mov_b32 s29, 4
	s_branch .LBB7_26
.LBB7_24:                               ;   in Loop: Header=BB7_7 Depth=1
	s_cmp_eq_u32 s5, 0
	s_cbranch_scc1 .LBB7_30
; %bb.25:                               ;   in Loop: Header=BB7_7 Depth=1
	s_mov_b32 s23, -1
                                        ; implicit-def: $vgpr10
                                        ; implicit-def: $vgpr9
                                        ; implicit-def: $sgpr29
.LBB7_26:                               ;   in Loop: Header=BB7_7 Depth=1
	s_delay_alu instid0(SALU_CYCLE_1)
	s_and_b32 vcc_lo, exec_lo, s23
	s_cbranch_vccnz .LBB7_33
.LBB7_27:                               ;   in Loop: Header=BB7_7 Depth=1
	s_and_b32 vcc_lo, exec_lo, s22
	s_cbranch_vccnz .LBB7_38
.LBB7_28:                               ;   in Loop: Header=BB7_7 Depth=1
	s_cmp_gt_i32 s29, 3
	s_mov_b32 s22, -1
	s_cbranch_scc1 .LBB7_39
.LBB7_29:                               ;   in Loop: Header=BB7_7 Depth=1
	s_cmp_eq_u32 s29, 0
	s_cselect_b32 s23, -1, 0
	s_delay_alu instid0(SALU_CYCLE_1)
	s_and_not1_b32 vcc_lo, exec_lo, s23
	s_cbranch_vccz .LBB7_6
	s_branch .LBB7_40
.LBB7_30:                               ;   in Loop: Header=BB7_7 Depth=1
	s_cmp_le_i32 s28, s20
	s_mov_b32 s23, 0
	s_cbranch_scc0 .LBB7_32
; %bb.31:                               ;   in Loop: Header=BB7_7 Depth=1
	s_cmp_lg_u32 s28, s20
	s_mov_b32 s22, -1
	s_cselect_b32 s23, -1, 0
.LBB7_32:                               ;   in Loop: Header=BB7_7 Depth=1
	v_dual_mov_b32 v10, v7 :: v_dual_mov_b32 v9, v8
	s_mov_b32 s29, 2
	s_and_b32 vcc_lo, exec_lo, s23
	s_cbranch_vccz .LBB7_27
.LBB7_33:                               ;   in Loop: Header=BB7_7 Depth=1
	s_and_saveexec_b32 s29, s3
	s_cbranch_execz .LBB7_35
; %bb.34:                               ;   in Loop: Header=BB7_7 Depth=1
	s_add_i32 s22, s28, s7
	s_delay_alu instid0(SALU_CYCLE_1) | instskip(NEXT) | instid1(SALU_CYCLE_1)
	s_ashr_i32 s23, s22, 31
	s_lshl_b64 s[22:23], s[22:23], 2
	s_delay_alu instid0(SALU_CYCLE_1)
	s_add_u32 s22, s10, s22
	s_addc_u32 s23, s11, s23
	global_load_b32 v9, v2, s[22:23] glc
	s_waitcnt vmcnt(0)
	v_cmp_ne_u32_e32 vcc_lo, 0, v9
	s_cbranch_vccz .LBB7_41
.LBB7_35:                               ;   in Loop: Header=BB7_7 Depth=1
	s_or_b32 exec_lo, exec_lo, s29
	v_mov_b32_e32 v10, 0
	s_waitcnt_vscnt null, 0x0
	s_barrier
	buffer_gl0_inv
	buffer_gl1_inv
	buffer_gl0_inv
	s_and_saveexec_b32 s22, s2
	s_cbranch_execz .LBB7_37
; %bb.36:                               ;   in Loop: Header=BB7_7 Depth=1
	s_mul_i32 s23, s28, s9
	s_mul_hi_u32 s29, s28, s8
	s_ashr_i32 s30, s28, 31
	s_add_i32 s23, s29, s23
	s_mul_i32 s30, s30, s8
	s_mul_i32 s28, s28, s8
	s_add_i32 s29, s23, s30
	s_delay_alu instid0(SALU_CYCLE_1) | instskip(NEXT) | instid1(SALU_CYCLE_1)
	s_lshl_b64 s[28:29], s[28:29], 2
	v_add_co_u32 v9, vcc_lo, v3, s28
	v_add_co_ci_u32_e32 v10, vcc_lo, s29, v4, vcc_lo
	global_load_b32 v9, v[9:10], off
	s_waitcnt vmcnt(0)
	v_fma_f32 v10, -v1, v9, v7
.LBB7_37:                               ;   in Loop: Header=BB7_7 Depth=1
	s_or_b32 exec_lo, exec_lo, s22
	v_mov_b32_e32 v9, v8
	s_mov_b32 s29, 0
	s_branch .LBB7_28
.LBB7_38:                               ;   in Loop: Header=BB7_7 Depth=1
	v_div_scale_f32 v9, null, v1, v1, 1.0
	v_div_scale_f32 v12, vcc_lo, 1.0, v1, 1.0
	s_mov_b32 s29, 2
	s_delay_alu instid0(VALU_DEP_2) | instskip(SKIP_2) | instid1(VALU_DEP_1)
	v_rcp_f32_e32 v10, v9
	s_waitcnt_depctr 0xfff
	v_fma_f32 v11, -v9, v10, 1.0
	v_fmac_f32_e32 v10, v11, v10
	s_delay_alu instid0(VALU_DEP_1) | instskip(NEXT) | instid1(VALU_DEP_1)
	v_mul_f32_e32 v11, v12, v10
	v_fma_f32 v13, -v9, v11, v12
	s_delay_alu instid0(VALU_DEP_1) | instskip(NEXT) | instid1(VALU_DEP_1)
	v_fmac_f32_e32 v11, v13, v10
	v_fma_f32 v9, -v9, v11, v12
	s_delay_alu instid0(VALU_DEP_1) | instskip(SKIP_1) | instid1(VALU_DEP_2)
	v_div_fmas_f32 v9, v9, v10, v11
	v_mov_b32_e32 v10, v7
	v_div_fixup_f32 v1, v9, v1, 1.0
	s_delay_alu instid0(VALU_DEP_1)
	v_cndmask_b32_e64 v9, v8, v1, s1
	s_cmp_gt_i32 s29, 3
	s_mov_b32 s22, -1
	s_cbranch_scc0 .LBB7_29
.LBB7_39:                               ;   in Loop: Header=BB7_7 Depth=1
	s_branch .LBB7_6
.LBB7_40:                               ;   in Loop: Header=BB7_7 Depth=1
                                        ; implicit-def: $sgpr27
	v_dual_mov_b32 v7, v10 :: v_dual_mov_b32 v8, v9
	s_and_not1_b32 vcc_lo, exec_lo, s22
	s_cbranch_vccnz .LBB7_7
	s_branch .LBB7_46
.LBB7_41:                               ;   in Loop: Header=BB7_7 Depth=1
	s_mov_b32 s30, 0
	s_branch .LBB7_43
	.p2align	6
.LBB7_42:                               ;   in Loop: Header=BB7_43 Depth=2
	global_load_b32 v9, v2, s[22:23] glc
	s_cmpk_lt_u32 s30, 0xf43
	s_cselect_b32 s31, -1, 0
	s_delay_alu instid0(SALU_CYCLE_1)
	s_cmp_lg_u32 s31, 0
	s_addc_u32 s30, s30, 0
	s_waitcnt vmcnt(0)
	v_cmp_ne_u32_e32 vcc_lo, 0, v9
	s_cbranch_vccnz .LBB7_35
.LBB7_43:                               ;   Parent Loop BB7_7 Depth=1
                                        ; =>  This Loop Header: Depth=2
                                        ;       Child Loop BB7_44 Depth 3
	s_cmp_eq_u32 s30, 0
	s_mov_b32 s31, s30
	s_cbranch_scc1 .LBB7_42
.LBB7_44:                               ;   Parent Loop BB7_7 Depth=1
                                        ;     Parent Loop BB7_43 Depth=2
                                        ; =>    This Inner Loop Header: Depth=3
	s_add_i32 s31, s31, -1
	s_sleep 1
	s_cmp_eq_u32 s31, 0
	s_cbranch_scc0 .LBB7_44
	s_branch .LBB7_42
.LBB7_45:
	v_mov_b32_e32 v10, v7
.LBB7_46:
	s_and_saveexec_b32 s0, s2
	s_cbranch_execz .LBB7_48
; %bb.47:
	s_delay_alu instid0(VALU_DEP_1) | instskip(SKIP_3) | instid1(VALU_DEP_1)
	v_mul_f32_e32 v1, v9, v10
	s_cmp_eq_u32 s6, 0
	s_cselect_b32 vcc_lo, -1, 0
	s_lshl_b64 s[2:3], s[18:19], 2
	v_cndmask_b32_e32 v5, v10, v1, vcc_lo
	v_add_co_u32 v1, vcc_lo, v3, s2
	v_add_co_ci_u32_e32 v2, vcc_lo, s3, v4, vcc_lo
	global_store_b32 v[1:2], v5, off
.LBB7_48:
	s_or_b32 exec_lo, exec_lo, s0
	s_waitcnt_vscnt null, 0x0
	buffer_gl1_inv
	buffer_gl0_inv
	s_barrier
	buffer_gl0_inv
	s_mov_b32 s0, exec_lo
	v_cmpx_eq_u32_e32 0, v0
	s_cbranch_execz .LBB7_50
; %bb.49:
	s_add_i32 s0, s20, s7
	v_dual_mov_b32 v0, 0 :: v_dual_mov_b32 v1, 1
	s_ashr_i32 s1, s0, 31
	s_delay_alu instid0(SALU_CYCLE_1) | instskip(NEXT) | instid1(SALU_CYCLE_1)
	s_lshl_b64 s[0:1], s[0:1], 2
	s_add_u32 s0, s10, s0
	s_addc_u32 s1, s11, s1
	global_store_b32 v0, v1, s[0:1]
.LBB7_50:
	s_nop 0
	s_sendmsg sendmsg(MSG_DEALLOC_VGPRS)
	s_endpgm
	.section	.rodata,"a",@progbits
	.p2align	6, 0x0
	.amdhsa_kernel _ZN9rocsparseL5csrsmILj512ELj64ELb1EiifEEv20rocsparse_operation_T3_S2_NS_24const_host_device_scalarIT4_EEPKT2_PKS2_PKS4_PS4_lPiSA_PS2_21rocsparse_index_base_20rocsparse_fill_mode_20rocsparse_diag_type_b
		.amdhsa_group_segment_fixed_size 4096
		.amdhsa_private_segment_fixed_size 0
		.amdhsa_kernarg_size 104
		.amdhsa_user_sgpr_count 15
		.amdhsa_user_sgpr_dispatch_ptr 0
		.amdhsa_user_sgpr_queue_ptr 0
		.amdhsa_user_sgpr_kernarg_segment_ptr 1
		.amdhsa_user_sgpr_dispatch_id 0
		.amdhsa_user_sgpr_private_segment_size 0
		.amdhsa_wavefront_size32 1
		.amdhsa_uses_dynamic_stack 0
		.amdhsa_enable_private_segment 0
		.amdhsa_system_sgpr_workgroup_id_x 1
		.amdhsa_system_sgpr_workgroup_id_y 0
		.amdhsa_system_sgpr_workgroup_id_z 0
		.amdhsa_system_sgpr_workgroup_info 0
		.amdhsa_system_vgpr_workitem_id 0
		.amdhsa_next_free_vgpr 14
		.amdhsa_next_free_sgpr 32
		.amdhsa_reserve_vcc 1
		.amdhsa_float_round_mode_32 0
		.amdhsa_float_round_mode_16_64 0
		.amdhsa_float_denorm_mode_32 3
		.amdhsa_float_denorm_mode_16_64 3
		.amdhsa_dx10_clamp 1
		.amdhsa_ieee_mode 1
		.amdhsa_fp16_overflow 0
		.amdhsa_workgroup_processor_mode 1
		.amdhsa_memory_ordered 1
		.amdhsa_forward_progress 0
		.amdhsa_shared_vgpr_count 0
		.amdhsa_exception_fp_ieee_invalid_op 0
		.amdhsa_exception_fp_denorm_src 0
		.amdhsa_exception_fp_ieee_div_zero 0
		.amdhsa_exception_fp_ieee_overflow 0
		.amdhsa_exception_fp_ieee_underflow 0
		.amdhsa_exception_fp_ieee_inexact 0
		.amdhsa_exception_int_div_zero 0
	.end_amdhsa_kernel
	.section	.text._ZN9rocsparseL5csrsmILj512ELj64ELb1EiifEEv20rocsparse_operation_T3_S2_NS_24const_host_device_scalarIT4_EEPKT2_PKS2_PKS4_PS4_lPiSA_PS2_21rocsparse_index_base_20rocsparse_fill_mode_20rocsparse_diag_type_b,"axG",@progbits,_ZN9rocsparseL5csrsmILj512ELj64ELb1EiifEEv20rocsparse_operation_T3_S2_NS_24const_host_device_scalarIT4_EEPKT2_PKS2_PKS4_PS4_lPiSA_PS2_21rocsparse_index_base_20rocsparse_fill_mode_20rocsparse_diag_type_b,comdat
.Lfunc_end7:
	.size	_ZN9rocsparseL5csrsmILj512ELj64ELb1EiifEEv20rocsparse_operation_T3_S2_NS_24const_host_device_scalarIT4_EEPKT2_PKS2_PKS4_PS4_lPiSA_PS2_21rocsparse_index_base_20rocsparse_fill_mode_20rocsparse_diag_type_b, .Lfunc_end7-_ZN9rocsparseL5csrsmILj512ELj64ELb1EiifEEv20rocsparse_operation_T3_S2_NS_24const_host_device_scalarIT4_EEPKT2_PKS2_PKS4_PS4_lPiSA_PS2_21rocsparse_index_base_20rocsparse_fill_mode_20rocsparse_diag_type_b
                                        ; -- End function
	.section	.AMDGPU.csdata,"",@progbits
; Kernel info:
; codeLenInByte = 1716
; NumSgprs: 34
; NumVgprs: 14
; ScratchSize: 0
; MemoryBound: 0
; FloatMode: 240
; IeeeMode: 1
; LDSByteSize: 4096 bytes/workgroup (compile time only)
; SGPRBlocks: 4
; VGPRBlocks: 1
; NumSGPRsForWavesPerEU: 34
; NumVGPRsForWavesPerEU: 14
; Occupancy: 16
; WaveLimiterHint : 1
; COMPUTE_PGM_RSRC2:SCRATCH_EN: 0
; COMPUTE_PGM_RSRC2:USER_SGPR: 15
; COMPUTE_PGM_RSRC2:TRAP_HANDLER: 0
; COMPUTE_PGM_RSRC2:TGID_X_EN: 1
; COMPUTE_PGM_RSRC2:TGID_Y_EN: 0
; COMPUTE_PGM_RSRC2:TGID_Z_EN: 0
; COMPUTE_PGM_RSRC2:TIDIG_COMP_CNT: 0
	.section	.text._ZN9rocsparseL5csrsmILj512ELj64ELb0EiifEEv20rocsparse_operation_T3_S2_NS_24const_host_device_scalarIT4_EEPKT2_PKS2_PKS4_PS4_lPiSA_PS2_21rocsparse_index_base_20rocsparse_fill_mode_20rocsparse_diag_type_b,"axG",@progbits,_ZN9rocsparseL5csrsmILj512ELj64ELb0EiifEEv20rocsparse_operation_T3_S2_NS_24const_host_device_scalarIT4_EEPKT2_PKS2_PKS4_PS4_lPiSA_PS2_21rocsparse_index_base_20rocsparse_fill_mode_20rocsparse_diag_type_b,comdat
	.globl	_ZN9rocsparseL5csrsmILj512ELj64ELb0EiifEEv20rocsparse_operation_T3_S2_NS_24const_host_device_scalarIT4_EEPKT2_PKS2_PKS4_PS4_lPiSA_PS2_21rocsparse_index_base_20rocsparse_fill_mode_20rocsparse_diag_type_b ; -- Begin function _ZN9rocsparseL5csrsmILj512ELj64ELb0EiifEEv20rocsparse_operation_T3_S2_NS_24const_host_device_scalarIT4_EEPKT2_PKS2_PKS4_PS4_lPiSA_PS2_21rocsparse_index_base_20rocsparse_fill_mode_20rocsparse_diag_type_b
	.p2align	8
	.type	_ZN9rocsparseL5csrsmILj512ELj64ELb0EiifEEv20rocsparse_operation_T3_S2_NS_24const_host_device_scalarIT4_EEPKT2_PKS2_PKS4_PS4_lPiSA_PS2_21rocsparse_index_base_20rocsparse_fill_mode_20rocsparse_diag_type_b,@function
_ZN9rocsparseL5csrsmILj512ELj64ELb0EiifEEv20rocsparse_operation_T3_S2_NS_24const_host_device_scalarIT4_EEPKT2_PKS2_PKS4_PS4_lPiSA_PS2_21rocsparse_index_base_20rocsparse_fill_mode_20rocsparse_diag_type_b: ; @_ZN9rocsparseL5csrsmILj512ELj64ELb0EiifEEv20rocsparse_operation_T3_S2_NS_24const_host_device_scalarIT4_EEPKT2_PKS2_PKS4_PS4_lPiSA_PS2_21rocsparse_index_base_20rocsparse_fill_mode_20rocsparse_diag_type_b
; %bb.0:
	s_clause 0x3
	s_load_b128 s[4:7], s[0:1], 0x58
	s_load_b64 s[2:3], s[0:1], 0x48
	s_load_b128 s[16:19], s[0:1], 0x10
	s_load_b64 s[12:13], s[0:1], 0x30
	s_waitcnt lgkmcnt(0)
	s_bitcmp1_b32 s7, 0
	s_cselect_b32 s7, -1, 0
	s_delay_alu instid0(SALU_CYCLE_1)
	s_and_b32 vcc_lo, exec_lo, s7
	s_cbranch_vccnz .LBB8_2
; %bb.1:
	s_load_b32 s16, s[16:17], 0x0
.LBB8_2:
	s_load_b64 s[24:25], s[0:1], 0x4
	v_mov_b32_e32 v7, 0
	s_waitcnt lgkmcnt(0)
	v_cvt_f32_u32_e32 v1, s24
	s_sub_i32 s8, 0, s24
	s_delay_alu instid0(VALU_DEP_1) | instskip(SKIP_2) | instid1(VALU_DEP_1)
	v_rcp_iflag_f32_e32 v1, v1
	s_waitcnt_depctr 0xfff
	v_mul_f32_e32 v1, 0x4f7ffffe, v1
	v_cvt_u32_f32_e32 v1, v1
	s_delay_alu instid0(VALU_DEP_1) | instskip(NEXT) | instid1(VALU_DEP_1)
	v_readfirstlane_b32 s7, v1
	s_mul_i32 s8, s8, s7
	s_delay_alu instid0(SALU_CYCLE_1) | instskip(NEXT) | instid1(SALU_CYCLE_1)
	s_mul_hi_u32 s8, s7, s8
	s_add_i32 s7, s7, s8
	s_delay_alu instid0(SALU_CYCLE_1) | instskip(NEXT) | instid1(SALU_CYCLE_1)
	s_mul_hi_u32 s7, s15, s7
	s_mul_i32 s8, s7, s24
	s_add_i32 s9, s7, 1
	s_sub_i32 s8, s15, s8
	s_delay_alu instid0(SALU_CYCLE_1)
	s_sub_i32 s10, s8, s24
	s_cmp_ge_u32 s8, s24
	s_cselect_b32 s7, s9, s7
	s_cselect_b32 s8, s10, s8
	s_add_i32 s9, s7, 1
	s_cmp_ge_u32 s8, s24
	s_cselect_b32 s14, s9, s7
	s_delay_alu instid0(SALU_CYCLE_1) | instskip(SKIP_2) | instid1(SALU_CYCLE_1)
	s_mul_i32 s7, s14, s24
	v_lshl_or_b32 v1, s14, 9, v0
	s_sub_i32 s8, s15, s7
	s_ashr_i32 s9, s8, 31
	s_delay_alu instid0(VALU_DEP_1) | instskip(SKIP_1) | instid1(SALU_CYCLE_1)
	v_ashrrev_i32_e32 v2, 31, v1
	s_lshl_b64 s[8:9], s[8:9], 2
	s_add_u32 s2, s2, s8
	s_addc_u32 s3, s3, s9
	s_load_b32 s20, s[2:3], 0x0
	s_load_b128 s[8:11], s[0:1], 0x38
	s_waitcnt lgkmcnt(0)
	s_ashr_i32 s21, s20, 31
	s_delay_alu instid0(SALU_CYCLE_1)
	s_lshl_b64 s[2:3], s[20:21], 2
	s_mul_i32 s14, s21, s8
	s_add_u32 s2, s18, s2
	s_addc_u32 s3, s19, s3
	s_mul_i32 s18, s20, s8
	s_load_b64 s[22:23], s[2:3], 0x0
	s_mul_i32 s2, s20, s9
	s_mul_hi_u32 s3, s20, s8
	s_delay_alu instid0(SALU_CYCLE_1) | instskip(SKIP_2) | instid1(VALU_DEP_1)
	s_add_i32 s3, s3, s2
	v_cmp_gt_i32_e64 s2, s25, v1
	s_add_i32 s19, s3, s14
	s_and_saveexec_b32 s3, s2
	s_cbranch_execz .LBB8_4
; %bb.3:
	v_add_co_u32 v3, vcc_lo, s18, v1
	v_add_co_ci_u32_e32 v4, vcc_lo, s19, v2, vcc_lo
	s_delay_alu instid0(VALU_DEP_1) | instskip(NEXT) | instid1(VALU_DEP_1)
	v_lshlrev_b64 v[3:4], 2, v[3:4]
	v_add_co_u32 v3, vcc_lo, s12, v3
	s_delay_alu instid0(VALU_DEP_2)
	v_add_co_ci_u32_e32 v4, vcc_lo, s13, v4, vcc_lo
	global_load_b32 v3, v[3:4], off
	s_waitcnt vmcnt(0)
	v_mul_f32_e32 v7, s16, v3
.LBB8_4:
	s_or_b32 exec_lo, exec_lo, s3
	v_lshlrev_b64 v[1:2], 2, v[1:2]
	v_mov_b32_e32 v9, 1.0
	v_cmp_eq_u32_e64 s3, 0, v0
	s_waitcnt lgkmcnt(0)
	s_cmp_ge_i32 s22, s23
	s_delay_alu instid0(VALU_DEP_3)
	v_add_co_u32 v3, vcc_lo, s12, v1
	v_add_co_ci_u32_e32 v4, vcc_lo, s13, v2, vcc_lo
	s_cbranch_scc1 .LBB8_42
; %bb.5:
	s_clause 0x1
	s_load_b64 s[16:17], s[0:1], 0x50
	s_load_b128 s[12:15], s[0:1], 0x20
	v_dual_mov_b32 v8, 1.0 :: v_dual_lshlrev_b32 v5, 2, v0
	s_sub_i32 s21, s22, s4
	s_sub_i32 s24, s23, s4
	s_cmp_lg_u32 s6, 0
	s_delay_alu instid0(VALU_DEP_1)
	v_or_b32_e32 v6, 0x800, v5
	s_cselect_b32 s25, -1, 0
	v_cmp_ne_u32_e64 s0, 0, v0
	s_add_i32 s26, s20, s4
	v_mov_b32_e32 v2, 0
	s_cmp_eq_u32 s6, 0
	s_mov_b32 s27, s21
	s_cselect_b32 s1, -1, 0
	s_branch .LBB8_7
.LBB8_6:                                ;   in Loop: Header=BB8_7 Depth=1
	s_add_i32 s27, s27, 1
	s_delay_alu instid0(SALU_CYCLE_1)
	s_cmp_ge_i32 s27, s24
	s_cselect_b32 s22, -1, 0
	v_dual_mov_b32 v7, v10 :: v_dual_mov_b32 v8, v9
	s_and_not1_b32 vcc_lo, exec_lo, s22
	s_cbranch_vccz .LBB8_43
.LBB8_7:                                ; =>This Loop Header: Depth=1
                                        ;     Child Loop BB8_35 Depth 2
	s_sub_i32 s22, s27, s21
	s_delay_alu instid0(SALU_CYCLE_1) | instskip(NEXT) | instid1(SALU_CYCLE_1)
	s_and_b32 s22, s22, 0x1ff
	s_cmp_lg_u32 s22, 0
	s_cbranch_scc1 .LBB8_11
; %bb.8:                                ;   in Loop: Header=BB8_7 Depth=1
	s_sub_i32 s23, s24, s27
	v_mov_b32_e32 v1, -1
	v_cmp_gt_u32_e32 vcc_lo, s23, v0
	v_mov_b32_e32 v9, -1.0
	s_and_saveexec_b32 s23, vcc_lo
	s_cbranch_execz .LBB8_10
; %bb.9:                                ;   in Loop: Header=BB8_7 Depth=1
	v_add_nc_u32_e32 v1, s27, v0
	s_delay_alu instid0(VALU_DEP_1) | instskip(SKIP_1) | instid1(VALU_DEP_1)
	v_lshlrev_b64 v[9:10], 2, v[1:2]
	s_waitcnt lgkmcnt(0)
	v_add_co_u32 v11, vcc_lo, s12, v9
	s_delay_alu instid0(VALU_DEP_2)
	v_add_co_ci_u32_e32 v12, vcc_lo, s13, v10, vcc_lo
	v_add_co_u32 v9, vcc_lo, s14, v9
	v_add_co_ci_u32_e32 v10, vcc_lo, s15, v10, vcc_lo
	global_load_b32 v1, v[11:12], off
	global_load_b32 v9, v[9:10], off
	s_waitcnt vmcnt(1)
	v_subrev_nc_u32_e32 v1, s4, v1
.LBB8_10:                               ;   in Loop: Header=BB8_7 Depth=1
	s_or_b32 exec_lo, exec_lo, s23
	ds_store_b32 v5, v1
	s_waitcnt vmcnt(0)
	ds_store_b32 v6, v9
.LBB8_11:                               ;   in Loop: Header=BB8_7 Depth=1
	s_lshl_b32 s22, s22, 2
	s_waitcnt lgkmcnt(0)
	v_mov_b32_e32 v1, s22
	s_waitcnt_vscnt null, 0x0
	s_barrier
	buffer_gl0_inv
	ds_load_2addr_stride64_b32 v[9:10], v1 offset1:8
	s_waitcnt lgkmcnt(0)
	v_readfirstlane_b32 s28, v9
	v_cmp_neq_f32_e32 vcc_lo, 0, v10
	s_delay_alu instid0(VALU_DEP_2) | instskip(SKIP_1) | instid1(SALU_CYCLE_1)
	s_cmp_lg_u32 s28, s20
	s_cselect_b32 s22, -1, 0
	s_or_b32 s22, s25, s22
	s_delay_alu instid0(SALU_CYCLE_1) | instskip(SKIP_2) | instid1(SALU_CYCLE_1)
	s_or_b32 vcc_lo, vcc_lo, s22
	v_cndmask_b32_e32 v1, 1.0, v10, vcc_lo
	s_or_b32 s22, s0, vcc_lo
	s_xor_b32 s23, s22, -1
	s_delay_alu instid0(SALU_CYCLE_1)
	s_and_saveexec_b32 s22, s23
	s_cbranch_execz .LBB8_15
; %bb.12:                               ;   in Loop: Header=BB8_7 Depth=1
	v_mbcnt_lo_u32_b32 v1, exec_lo, 0
	s_mov_b32 s23, exec_lo
	s_delay_alu instid0(VALU_DEP_1)
	v_cmpx_eq_u32_e32 0, v1
	s_cbranch_execz .LBB8_14
; %bb.13:                               ;   in Loop: Header=BB8_7 Depth=1
	v_mov_b32_e32 v1, s26
	global_atomic_min_i32 v2, v1, s[16:17]
.LBB8_14:                               ;   in Loop: Header=BB8_7 Depth=1
	s_or_b32 exec_lo, exec_lo, s23
	v_mov_b32_e32 v1, 1.0
.LBB8_15:                               ;   in Loop: Header=BB8_7 Depth=1
	s_or_b32 exec_lo, exec_lo, s22
	s_cmp_lt_i32 s5, 1
	s_mov_b32 s22, 0
	s_cbranch_scc1 .LBB8_20
; %bb.16:                               ;   in Loop: Header=BB8_7 Depth=1
	s_cmp_eq_u32 s5, 1
	s_cbranch_scc0 .LBB8_21
; %bb.17:                               ;   in Loop: Header=BB8_7 Depth=1
	v_mov_b32_e32 v9, v8
	s_cmp_ge_i32 s28, s20
	s_mov_b32 s23, 0
	s_cbranch_scc0 .LBB8_23
; %bb.18:                               ;   in Loop: Header=BB8_7 Depth=1
	s_cmp_eq_u32 s28, s20
	s_cbranch_scc0 .LBB8_22
; %bb.19:                               ;   in Loop: Header=BB8_7 Depth=1
	v_div_scale_f32 v9, null, v1, v1, 1.0
	s_delay_alu instid0(VALU_DEP_1) | instskip(SKIP_2) | instid1(VALU_DEP_1)
	v_rcp_f32_e32 v10, v9
	s_waitcnt_depctr 0xfff
	v_fma_f32 v11, -v9, v10, 1.0
	v_fmac_f32_e32 v10, v11, v10
	v_div_scale_f32 v11, vcc_lo, 1.0, v1, 1.0
	s_delay_alu instid0(VALU_DEP_1) | instskip(NEXT) | instid1(VALU_DEP_1)
	v_mul_f32_e32 v12, v11, v10
	v_fma_f32 v13, -v9, v12, v11
	s_delay_alu instid0(VALU_DEP_1) | instskip(NEXT) | instid1(VALU_DEP_1)
	v_fmac_f32_e32 v12, v13, v10
	v_fma_f32 v9, -v9, v12, v11
	s_delay_alu instid0(VALU_DEP_1) | instskip(NEXT) | instid1(VALU_DEP_1)
	v_div_fmas_f32 v9, v9, v10, v12
	v_div_fixup_f32 v9, v9, v1, 1.0
	s_delay_alu instid0(VALU_DEP_1)
	v_cndmask_b32_e64 v9, v8, v9, s1
	s_branch .LBB8_23
.LBB8_20:                               ;   in Loop: Header=BB8_7 Depth=1
	s_mov_b32 s23, 0
                                        ; implicit-def: $vgpr10
                                        ; implicit-def: $vgpr9
                                        ; implicit-def: $sgpr29
	s_cbranch_execnz .LBB8_24
	s_branch .LBB8_26
.LBB8_21:                               ;   in Loop: Header=BB8_7 Depth=1
	s_mov_b32 s23, -1
                                        ; implicit-def: $vgpr10
                                        ; implicit-def: $vgpr9
                                        ; implicit-def: $sgpr29
	s_branch .LBB8_26
.LBB8_22:                               ;   in Loop: Header=BB8_7 Depth=1
	s_mov_b32 s23, -1
                                        ; implicit-def: $vgpr9
.LBB8_23:                               ;   in Loop: Header=BB8_7 Depth=1
	v_mov_b32_e32 v10, v7
	s_mov_b32 s29, 4
	s_branch .LBB8_26
.LBB8_24:                               ;   in Loop: Header=BB8_7 Depth=1
	s_cmp_eq_u32 s5, 0
	s_cbranch_scc1 .LBB8_30
; %bb.25:                               ;   in Loop: Header=BB8_7 Depth=1
	s_mov_b32 s23, -1
                                        ; implicit-def: $vgpr10
                                        ; implicit-def: $vgpr9
                                        ; implicit-def: $sgpr29
.LBB8_26:                               ;   in Loop: Header=BB8_7 Depth=1
	s_delay_alu instid0(SALU_CYCLE_1)
	s_and_b32 vcc_lo, exec_lo, s23
	s_cbranch_vccnz .LBB8_33
.LBB8_27:                               ;   in Loop: Header=BB8_7 Depth=1
	s_and_b32 vcc_lo, exec_lo, s22
	s_cbranch_vccnz .LBB8_39
.LBB8_28:                               ;   in Loop: Header=BB8_7 Depth=1
	s_cmp_gt_i32 s29, 3
	s_mov_b32 s22, -1
	s_cbranch_scc1 .LBB8_40
.LBB8_29:                               ;   in Loop: Header=BB8_7 Depth=1
	s_cmp_eq_u32 s29, 0
	s_cselect_b32 s23, -1, 0
	s_delay_alu instid0(SALU_CYCLE_1)
	s_and_not1_b32 vcc_lo, exec_lo, s23
	s_cbranch_vccz .LBB8_6
	s_branch .LBB8_41
.LBB8_30:                               ;   in Loop: Header=BB8_7 Depth=1
	s_cmp_le_i32 s28, s20
	s_mov_b32 s23, 0
	s_cbranch_scc0 .LBB8_32
; %bb.31:                               ;   in Loop: Header=BB8_7 Depth=1
	s_cmp_lg_u32 s28, s20
	s_mov_b32 s22, -1
	s_cselect_b32 s23, -1, 0
.LBB8_32:                               ;   in Loop: Header=BB8_7 Depth=1
	v_dual_mov_b32 v10, v7 :: v_dual_mov_b32 v9, v8
	s_mov_b32 s29, 2
	s_and_b32 vcc_lo, exec_lo, s23
	s_cbranch_vccz .LBB8_27
.LBB8_33:                               ;   in Loop: Header=BB8_7 Depth=1
	s_and_saveexec_b32 s29, s3
	s_cbranch_execz .LBB8_36
; %bb.34:                               ;   in Loop: Header=BB8_7 Depth=1
	s_add_i32 s22, s28, s7
	s_delay_alu instid0(SALU_CYCLE_1) | instskip(NEXT) | instid1(SALU_CYCLE_1)
	s_ashr_i32 s23, s22, 31
	s_lshl_b64 s[22:23], s[22:23], 2
	s_delay_alu instid0(SALU_CYCLE_1)
	s_add_u32 s22, s10, s22
	s_addc_u32 s23, s11, s23
	global_load_b32 v9, v2, s[22:23] glc
	s_waitcnt vmcnt(0)
	v_cmp_ne_u32_e32 vcc_lo, 0, v9
	s_cbranch_vccnz .LBB8_36
.LBB8_35:                               ;   Parent Loop BB8_7 Depth=1
                                        ; =>  This Inner Loop Header: Depth=2
	global_load_b32 v9, v2, s[22:23] glc
	s_waitcnt vmcnt(0)
	v_cmp_eq_u32_e32 vcc_lo, 0, v9
	s_cbranch_vccnz .LBB8_35
.LBB8_36:                               ;   in Loop: Header=BB8_7 Depth=1
	s_or_b32 exec_lo, exec_lo, s29
	v_mov_b32_e32 v10, 0
	s_waitcnt_vscnt null, 0x0
	s_barrier
	buffer_gl0_inv
	buffer_gl1_inv
	buffer_gl0_inv
	s_and_saveexec_b32 s22, s2
	s_cbranch_execz .LBB8_38
; %bb.37:                               ;   in Loop: Header=BB8_7 Depth=1
	s_mul_i32 s23, s28, s9
	s_mul_hi_u32 s29, s28, s8
	s_ashr_i32 s30, s28, 31
	s_add_i32 s23, s29, s23
	s_mul_i32 s30, s30, s8
	s_mul_i32 s28, s28, s8
	s_add_i32 s29, s23, s30
	s_delay_alu instid0(SALU_CYCLE_1) | instskip(NEXT) | instid1(SALU_CYCLE_1)
	s_lshl_b64 s[28:29], s[28:29], 2
	v_add_co_u32 v9, vcc_lo, v3, s28
	v_add_co_ci_u32_e32 v10, vcc_lo, s29, v4, vcc_lo
	global_load_b32 v9, v[9:10], off
	s_waitcnt vmcnt(0)
	v_fma_f32 v10, -v1, v9, v7
.LBB8_38:                               ;   in Loop: Header=BB8_7 Depth=1
	s_or_b32 exec_lo, exec_lo, s22
	v_mov_b32_e32 v9, v8
	s_mov_b32 s29, 0
	s_branch .LBB8_28
.LBB8_39:                               ;   in Loop: Header=BB8_7 Depth=1
	v_div_scale_f32 v9, null, v1, v1, 1.0
	v_div_scale_f32 v12, vcc_lo, 1.0, v1, 1.0
	s_mov_b32 s29, 2
	s_delay_alu instid0(VALU_DEP_2) | instskip(SKIP_2) | instid1(VALU_DEP_1)
	v_rcp_f32_e32 v10, v9
	s_waitcnt_depctr 0xfff
	v_fma_f32 v11, -v9, v10, 1.0
	v_fmac_f32_e32 v10, v11, v10
	s_delay_alu instid0(VALU_DEP_1) | instskip(NEXT) | instid1(VALU_DEP_1)
	v_mul_f32_e32 v11, v12, v10
	v_fma_f32 v13, -v9, v11, v12
	s_delay_alu instid0(VALU_DEP_1) | instskip(NEXT) | instid1(VALU_DEP_1)
	v_fmac_f32_e32 v11, v13, v10
	v_fma_f32 v9, -v9, v11, v12
	s_delay_alu instid0(VALU_DEP_1) | instskip(SKIP_1) | instid1(VALU_DEP_2)
	v_div_fmas_f32 v9, v9, v10, v11
	v_mov_b32_e32 v10, v7
	v_div_fixup_f32 v1, v9, v1, 1.0
	s_delay_alu instid0(VALU_DEP_1)
	v_cndmask_b32_e64 v9, v8, v1, s1
	s_cmp_gt_i32 s29, 3
	s_mov_b32 s22, -1
	s_cbranch_scc0 .LBB8_29
.LBB8_40:                               ;   in Loop: Header=BB8_7 Depth=1
	s_branch .LBB8_6
.LBB8_41:                               ;   in Loop: Header=BB8_7 Depth=1
                                        ; implicit-def: $sgpr27
	v_dual_mov_b32 v7, v10 :: v_dual_mov_b32 v8, v9
	s_and_not1_b32 vcc_lo, exec_lo, s22
	s_cbranch_vccnz .LBB8_7
	s_branch .LBB8_43
.LBB8_42:
	v_mov_b32_e32 v10, v7
.LBB8_43:
	s_and_saveexec_b32 s0, s2
	s_cbranch_execz .LBB8_45
; %bb.44:
	s_delay_alu instid0(VALU_DEP_1) | instskip(SKIP_3) | instid1(VALU_DEP_1)
	v_mul_f32_e32 v1, v9, v10
	s_cmp_eq_u32 s6, 0
	s_cselect_b32 vcc_lo, -1, 0
	s_lshl_b64 s[2:3], s[18:19], 2
	v_cndmask_b32_e32 v5, v10, v1, vcc_lo
	v_add_co_u32 v1, vcc_lo, v3, s2
	v_add_co_ci_u32_e32 v2, vcc_lo, s3, v4, vcc_lo
	global_store_b32 v[1:2], v5, off
.LBB8_45:
	s_or_b32 exec_lo, exec_lo, s0
	s_waitcnt_vscnt null, 0x0
	buffer_gl1_inv
	buffer_gl0_inv
	s_barrier
	buffer_gl0_inv
	s_mov_b32 s0, exec_lo
	v_cmpx_eq_u32_e32 0, v0
	s_cbranch_execz .LBB8_47
; %bb.46:
	s_add_i32 s0, s20, s7
	v_dual_mov_b32 v0, 0 :: v_dual_mov_b32 v1, 1
	s_ashr_i32 s1, s0, 31
	s_delay_alu instid0(SALU_CYCLE_1) | instskip(NEXT) | instid1(SALU_CYCLE_1)
	s_lshl_b64 s[0:1], s[0:1], 2
	s_add_u32 s0, s10, s0
	s_addc_u32 s1, s11, s1
	global_store_b32 v0, v1, s[0:1]
.LBB8_47:
	s_nop 0
	s_sendmsg sendmsg(MSG_DEALLOC_VGPRS)
	s_endpgm
	.section	.rodata,"a",@progbits
	.p2align	6, 0x0
	.amdhsa_kernel _ZN9rocsparseL5csrsmILj512ELj64ELb0EiifEEv20rocsparse_operation_T3_S2_NS_24const_host_device_scalarIT4_EEPKT2_PKS2_PKS4_PS4_lPiSA_PS2_21rocsparse_index_base_20rocsparse_fill_mode_20rocsparse_diag_type_b
		.amdhsa_group_segment_fixed_size 4096
		.amdhsa_private_segment_fixed_size 0
		.amdhsa_kernarg_size 104
		.amdhsa_user_sgpr_count 15
		.amdhsa_user_sgpr_dispatch_ptr 0
		.amdhsa_user_sgpr_queue_ptr 0
		.amdhsa_user_sgpr_kernarg_segment_ptr 1
		.amdhsa_user_sgpr_dispatch_id 0
		.amdhsa_user_sgpr_private_segment_size 0
		.amdhsa_wavefront_size32 1
		.amdhsa_uses_dynamic_stack 0
		.amdhsa_enable_private_segment 0
		.amdhsa_system_sgpr_workgroup_id_x 1
		.amdhsa_system_sgpr_workgroup_id_y 0
		.amdhsa_system_sgpr_workgroup_id_z 0
		.amdhsa_system_sgpr_workgroup_info 0
		.amdhsa_system_vgpr_workitem_id 0
		.amdhsa_next_free_vgpr 14
		.amdhsa_next_free_sgpr 31
		.amdhsa_reserve_vcc 1
		.amdhsa_float_round_mode_32 0
		.amdhsa_float_round_mode_16_64 0
		.amdhsa_float_denorm_mode_32 3
		.amdhsa_float_denorm_mode_16_64 3
		.amdhsa_dx10_clamp 1
		.amdhsa_ieee_mode 1
		.amdhsa_fp16_overflow 0
		.amdhsa_workgroup_processor_mode 1
		.amdhsa_memory_ordered 1
		.amdhsa_forward_progress 0
		.amdhsa_shared_vgpr_count 0
		.amdhsa_exception_fp_ieee_invalid_op 0
		.amdhsa_exception_fp_denorm_src 0
		.amdhsa_exception_fp_ieee_div_zero 0
		.amdhsa_exception_fp_ieee_overflow 0
		.amdhsa_exception_fp_ieee_underflow 0
		.amdhsa_exception_fp_ieee_inexact 0
		.amdhsa_exception_int_div_zero 0
	.end_amdhsa_kernel
	.section	.text._ZN9rocsparseL5csrsmILj512ELj64ELb0EiifEEv20rocsparse_operation_T3_S2_NS_24const_host_device_scalarIT4_EEPKT2_PKS2_PKS4_PS4_lPiSA_PS2_21rocsparse_index_base_20rocsparse_fill_mode_20rocsparse_diag_type_b,"axG",@progbits,_ZN9rocsparseL5csrsmILj512ELj64ELb0EiifEEv20rocsparse_operation_T3_S2_NS_24const_host_device_scalarIT4_EEPKT2_PKS2_PKS4_PS4_lPiSA_PS2_21rocsparse_index_base_20rocsparse_fill_mode_20rocsparse_diag_type_b,comdat
.Lfunc_end8:
	.size	_ZN9rocsparseL5csrsmILj512ELj64ELb0EiifEEv20rocsparse_operation_T3_S2_NS_24const_host_device_scalarIT4_EEPKT2_PKS2_PKS4_PS4_lPiSA_PS2_21rocsparse_index_base_20rocsparse_fill_mode_20rocsparse_diag_type_b, .Lfunc_end8-_ZN9rocsparseL5csrsmILj512ELj64ELb0EiifEEv20rocsparse_operation_T3_S2_NS_24const_host_device_scalarIT4_EEPKT2_PKS2_PKS4_PS4_lPiSA_PS2_21rocsparse_index_base_20rocsparse_fill_mode_20rocsparse_diag_type_b
                                        ; -- End function
	.section	.AMDGPU.csdata,"",@progbits
; Kernel info:
; codeLenInByte = 1656
; NumSgprs: 33
; NumVgprs: 14
; ScratchSize: 0
; MemoryBound: 0
; FloatMode: 240
; IeeeMode: 1
; LDSByteSize: 4096 bytes/workgroup (compile time only)
; SGPRBlocks: 4
; VGPRBlocks: 1
; NumSGPRsForWavesPerEU: 33
; NumVGPRsForWavesPerEU: 14
; Occupancy: 16
; WaveLimiterHint : 1
; COMPUTE_PGM_RSRC2:SCRATCH_EN: 0
; COMPUTE_PGM_RSRC2:USER_SGPR: 15
; COMPUTE_PGM_RSRC2:TRAP_HANDLER: 0
; COMPUTE_PGM_RSRC2:TGID_X_EN: 1
; COMPUTE_PGM_RSRC2:TGID_Y_EN: 0
; COMPUTE_PGM_RSRC2:TGID_Z_EN: 0
; COMPUTE_PGM_RSRC2:TIDIG_COMP_CNT: 0
	.section	.text._ZN9rocsparseL5csrsmILj1024ELj64ELb1EiifEEv20rocsparse_operation_T3_S2_NS_24const_host_device_scalarIT4_EEPKT2_PKS2_PKS4_PS4_lPiSA_PS2_21rocsparse_index_base_20rocsparse_fill_mode_20rocsparse_diag_type_b,"axG",@progbits,_ZN9rocsparseL5csrsmILj1024ELj64ELb1EiifEEv20rocsparse_operation_T3_S2_NS_24const_host_device_scalarIT4_EEPKT2_PKS2_PKS4_PS4_lPiSA_PS2_21rocsparse_index_base_20rocsparse_fill_mode_20rocsparse_diag_type_b,comdat
	.globl	_ZN9rocsparseL5csrsmILj1024ELj64ELb1EiifEEv20rocsparse_operation_T3_S2_NS_24const_host_device_scalarIT4_EEPKT2_PKS2_PKS4_PS4_lPiSA_PS2_21rocsparse_index_base_20rocsparse_fill_mode_20rocsparse_diag_type_b ; -- Begin function _ZN9rocsparseL5csrsmILj1024ELj64ELb1EiifEEv20rocsparse_operation_T3_S2_NS_24const_host_device_scalarIT4_EEPKT2_PKS2_PKS4_PS4_lPiSA_PS2_21rocsparse_index_base_20rocsparse_fill_mode_20rocsparse_diag_type_b
	.p2align	8
	.type	_ZN9rocsparseL5csrsmILj1024ELj64ELb1EiifEEv20rocsparse_operation_T3_S2_NS_24const_host_device_scalarIT4_EEPKT2_PKS2_PKS4_PS4_lPiSA_PS2_21rocsparse_index_base_20rocsparse_fill_mode_20rocsparse_diag_type_b,@function
_ZN9rocsparseL5csrsmILj1024ELj64ELb1EiifEEv20rocsparse_operation_T3_S2_NS_24const_host_device_scalarIT4_EEPKT2_PKS2_PKS4_PS4_lPiSA_PS2_21rocsparse_index_base_20rocsparse_fill_mode_20rocsparse_diag_type_b: ; @_ZN9rocsparseL5csrsmILj1024ELj64ELb1EiifEEv20rocsparse_operation_T3_S2_NS_24const_host_device_scalarIT4_EEPKT2_PKS2_PKS4_PS4_lPiSA_PS2_21rocsparse_index_base_20rocsparse_fill_mode_20rocsparse_diag_type_b
; %bb.0:
	s_clause 0x3
	s_load_b128 s[4:7], s[0:1], 0x58
	s_load_b64 s[2:3], s[0:1], 0x48
	s_load_b128 s[16:19], s[0:1], 0x10
	s_load_b64 s[12:13], s[0:1], 0x30
	s_waitcnt lgkmcnt(0)
	s_bitcmp1_b32 s7, 0
	s_cselect_b32 s7, -1, 0
	s_delay_alu instid0(SALU_CYCLE_1)
	s_and_b32 vcc_lo, exec_lo, s7
	s_cbranch_vccnz .LBB9_2
; %bb.1:
	s_load_b32 s16, s[16:17], 0x0
.LBB9_2:
	s_load_b64 s[24:25], s[0:1], 0x4
	v_mov_b32_e32 v7, 0
	s_waitcnt lgkmcnt(0)
	v_cvt_f32_u32_e32 v1, s24
	s_sub_i32 s8, 0, s24
	s_delay_alu instid0(VALU_DEP_1) | instskip(SKIP_2) | instid1(VALU_DEP_1)
	v_rcp_iflag_f32_e32 v1, v1
	s_waitcnt_depctr 0xfff
	v_mul_f32_e32 v1, 0x4f7ffffe, v1
	v_cvt_u32_f32_e32 v1, v1
	s_delay_alu instid0(VALU_DEP_1) | instskip(NEXT) | instid1(VALU_DEP_1)
	v_readfirstlane_b32 s7, v1
	s_mul_i32 s8, s8, s7
	s_delay_alu instid0(SALU_CYCLE_1) | instskip(NEXT) | instid1(SALU_CYCLE_1)
	s_mul_hi_u32 s8, s7, s8
	s_add_i32 s7, s7, s8
	s_delay_alu instid0(SALU_CYCLE_1) | instskip(NEXT) | instid1(SALU_CYCLE_1)
	s_mul_hi_u32 s7, s15, s7
	s_mul_i32 s8, s7, s24
	s_add_i32 s9, s7, 1
	s_sub_i32 s8, s15, s8
	s_delay_alu instid0(SALU_CYCLE_1)
	s_sub_i32 s10, s8, s24
	s_cmp_ge_u32 s8, s24
	s_cselect_b32 s7, s9, s7
	s_cselect_b32 s8, s10, s8
	s_add_i32 s9, s7, 1
	s_cmp_ge_u32 s8, s24
	s_cselect_b32 s14, s9, s7
	s_delay_alu instid0(SALU_CYCLE_1) | instskip(SKIP_2) | instid1(SALU_CYCLE_1)
	s_mul_i32 s7, s14, s24
	v_lshl_or_b32 v1, s14, 10, v0
	s_sub_i32 s8, s15, s7
	s_ashr_i32 s9, s8, 31
	s_delay_alu instid0(VALU_DEP_1) | instskip(SKIP_1) | instid1(SALU_CYCLE_1)
	v_ashrrev_i32_e32 v2, 31, v1
	s_lshl_b64 s[8:9], s[8:9], 2
	s_add_u32 s2, s2, s8
	s_addc_u32 s3, s3, s9
	s_load_b32 s20, s[2:3], 0x0
	s_load_b128 s[8:11], s[0:1], 0x38
	s_waitcnt lgkmcnt(0)
	s_ashr_i32 s21, s20, 31
	s_delay_alu instid0(SALU_CYCLE_1)
	s_lshl_b64 s[2:3], s[20:21], 2
	s_mul_i32 s14, s21, s8
	s_add_u32 s2, s18, s2
	s_addc_u32 s3, s19, s3
	s_mul_i32 s18, s20, s8
	s_load_b64 s[22:23], s[2:3], 0x0
	s_mul_i32 s2, s20, s9
	s_mul_hi_u32 s3, s20, s8
	s_delay_alu instid0(SALU_CYCLE_1) | instskip(SKIP_2) | instid1(VALU_DEP_1)
	s_add_i32 s3, s3, s2
	v_cmp_gt_i32_e64 s2, s25, v1
	s_add_i32 s19, s3, s14
	s_and_saveexec_b32 s3, s2
	s_cbranch_execz .LBB9_4
; %bb.3:
	v_add_co_u32 v3, vcc_lo, s18, v1
	v_add_co_ci_u32_e32 v4, vcc_lo, s19, v2, vcc_lo
	s_delay_alu instid0(VALU_DEP_1) | instskip(NEXT) | instid1(VALU_DEP_1)
	v_lshlrev_b64 v[3:4], 2, v[3:4]
	v_add_co_u32 v3, vcc_lo, s12, v3
	s_delay_alu instid0(VALU_DEP_2)
	v_add_co_ci_u32_e32 v4, vcc_lo, s13, v4, vcc_lo
	global_load_b32 v3, v[3:4], off
	s_waitcnt vmcnt(0)
	v_mul_f32_e32 v7, s16, v3
.LBB9_4:
	s_or_b32 exec_lo, exec_lo, s3
	v_lshlrev_b64 v[1:2], 2, v[1:2]
	v_mov_b32_e32 v9, 1.0
	v_cmp_eq_u32_e64 s3, 0, v0
	s_waitcnt lgkmcnt(0)
	s_cmp_ge_i32 s22, s23
	s_delay_alu instid0(VALU_DEP_3)
	v_add_co_u32 v3, vcc_lo, s12, v1
	v_add_co_ci_u32_e32 v4, vcc_lo, s13, v2, vcc_lo
	s_cbranch_scc1 .LBB9_45
; %bb.5:
	s_clause 0x1
	s_load_b64 s[16:17], s[0:1], 0x50
	s_load_b128 s[12:15], s[0:1], 0x20
	v_dual_mov_b32 v8, 1.0 :: v_dual_lshlrev_b32 v5, 2, v0
	s_sub_i32 s21, s22, s4
	s_sub_i32 s24, s23, s4
	s_cmp_lg_u32 s6, 0
	s_delay_alu instid0(VALU_DEP_1)
	v_or_b32_e32 v6, 0x1000, v5
	s_cselect_b32 s25, -1, 0
	v_cmp_ne_u32_e64 s0, 0, v0
	s_add_i32 s26, s20, s4
	v_mov_b32_e32 v2, 0
	s_cmp_eq_u32 s6, 0
	s_mov_b32 s27, s21
	s_cselect_b32 s1, -1, 0
	s_branch .LBB9_7
.LBB9_6:                                ;   in Loop: Header=BB9_7 Depth=1
	s_add_i32 s27, s27, 1
	s_delay_alu instid0(SALU_CYCLE_1)
	s_cmp_ge_i32 s27, s24
	s_cselect_b32 s22, -1, 0
	v_dual_mov_b32 v7, v10 :: v_dual_mov_b32 v8, v9
	s_and_not1_b32 vcc_lo, exec_lo, s22
	s_cbranch_vccz .LBB9_46
.LBB9_7:                                ; =>This Loop Header: Depth=1
                                        ;     Child Loop BB9_43 Depth 2
                                        ;       Child Loop BB9_44 Depth 3
	s_sub_i32 s22, s27, s21
	s_delay_alu instid0(SALU_CYCLE_1) | instskip(NEXT) | instid1(SALU_CYCLE_1)
	s_and_b32 s22, s22, 0x3ff
	s_cmp_lg_u32 s22, 0
	s_cbranch_scc1 .LBB9_11
; %bb.8:                                ;   in Loop: Header=BB9_7 Depth=1
	s_sub_i32 s23, s24, s27
	v_mov_b32_e32 v1, -1
	v_cmp_gt_u32_e32 vcc_lo, s23, v0
	v_mov_b32_e32 v9, -1.0
	s_and_saveexec_b32 s23, vcc_lo
	s_cbranch_execz .LBB9_10
; %bb.9:                                ;   in Loop: Header=BB9_7 Depth=1
	v_add_nc_u32_e32 v1, s27, v0
	s_delay_alu instid0(VALU_DEP_1) | instskip(SKIP_1) | instid1(VALU_DEP_1)
	v_lshlrev_b64 v[9:10], 2, v[1:2]
	s_waitcnt lgkmcnt(0)
	v_add_co_u32 v11, vcc_lo, s12, v9
	s_delay_alu instid0(VALU_DEP_2)
	v_add_co_ci_u32_e32 v12, vcc_lo, s13, v10, vcc_lo
	v_add_co_u32 v9, vcc_lo, s14, v9
	v_add_co_ci_u32_e32 v10, vcc_lo, s15, v10, vcc_lo
	global_load_b32 v1, v[11:12], off
	global_load_b32 v9, v[9:10], off
	s_waitcnt vmcnt(1)
	v_subrev_nc_u32_e32 v1, s4, v1
.LBB9_10:                               ;   in Loop: Header=BB9_7 Depth=1
	s_or_b32 exec_lo, exec_lo, s23
	ds_store_b32 v5, v1
	s_waitcnt vmcnt(0)
	ds_store_b32 v6, v9
.LBB9_11:                               ;   in Loop: Header=BB9_7 Depth=1
	s_lshl_b32 s22, s22, 2
	s_waitcnt lgkmcnt(0)
	v_mov_b32_e32 v1, s22
	s_waitcnt_vscnt null, 0x0
	s_barrier
	buffer_gl0_inv
	ds_load_2addr_stride64_b32 v[9:10], v1 offset1:16
	s_waitcnt lgkmcnt(0)
	v_readfirstlane_b32 s28, v9
	v_cmp_neq_f32_e32 vcc_lo, 0, v10
	s_delay_alu instid0(VALU_DEP_2) | instskip(SKIP_1) | instid1(SALU_CYCLE_1)
	s_cmp_lg_u32 s28, s20
	s_cselect_b32 s22, -1, 0
	s_or_b32 s22, s25, s22
	s_delay_alu instid0(SALU_CYCLE_1) | instskip(SKIP_2) | instid1(SALU_CYCLE_1)
	s_or_b32 vcc_lo, vcc_lo, s22
	v_cndmask_b32_e32 v1, 1.0, v10, vcc_lo
	s_or_b32 s22, s0, vcc_lo
	s_xor_b32 s23, s22, -1
	s_delay_alu instid0(SALU_CYCLE_1)
	s_and_saveexec_b32 s22, s23
	s_cbranch_execz .LBB9_15
; %bb.12:                               ;   in Loop: Header=BB9_7 Depth=1
	v_mbcnt_lo_u32_b32 v1, exec_lo, 0
	s_mov_b32 s23, exec_lo
	s_delay_alu instid0(VALU_DEP_1)
	v_cmpx_eq_u32_e32 0, v1
	s_cbranch_execz .LBB9_14
; %bb.13:                               ;   in Loop: Header=BB9_7 Depth=1
	v_mov_b32_e32 v1, s26
	global_atomic_min_i32 v2, v1, s[16:17]
.LBB9_14:                               ;   in Loop: Header=BB9_7 Depth=1
	s_or_b32 exec_lo, exec_lo, s23
	v_mov_b32_e32 v1, 1.0
.LBB9_15:                               ;   in Loop: Header=BB9_7 Depth=1
	s_or_b32 exec_lo, exec_lo, s22
	s_cmp_lt_i32 s5, 1
	s_mov_b32 s22, 0
	s_cbranch_scc1 .LBB9_20
; %bb.16:                               ;   in Loop: Header=BB9_7 Depth=1
	s_cmp_eq_u32 s5, 1
	s_cbranch_scc0 .LBB9_21
; %bb.17:                               ;   in Loop: Header=BB9_7 Depth=1
	v_mov_b32_e32 v9, v8
	s_cmp_ge_i32 s28, s20
	s_mov_b32 s23, 0
	s_cbranch_scc0 .LBB9_23
; %bb.18:                               ;   in Loop: Header=BB9_7 Depth=1
	s_cmp_eq_u32 s28, s20
	s_cbranch_scc0 .LBB9_22
; %bb.19:                               ;   in Loop: Header=BB9_7 Depth=1
	v_div_scale_f32 v9, null, v1, v1, 1.0
	s_delay_alu instid0(VALU_DEP_1) | instskip(SKIP_2) | instid1(VALU_DEP_1)
	v_rcp_f32_e32 v10, v9
	s_waitcnt_depctr 0xfff
	v_fma_f32 v11, -v9, v10, 1.0
	v_fmac_f32_e32 v10, v11, v10
	v_div_scale_f32 v11, vcc_lo, 1.0, v1, 1.0
	s_delay_alu instid0(VALU_DEP_1) | instskip(NEXT) | instid1(VALU_DEP_1)
	v_mul_f32_e32 v12, v11, v10
	v_fma_f32 v13, -v9, v12, v11
	s_delay_alu instid0(VALU_DEP_1) | instskip(NEXT) | instid1(VALU_DEP_1)
	v_fmac_f32_e32 v12, v13, v10
	v_fma_f32 v9, -v9, v12, v11
	s_delay_alu instid0(VALU_DEP_1) | instskip(NEXT) | instid1(VALU_DEP_1)
	v_div_fmas_f32 v9, v9, v10, v12
	v_div_fixup_f32 v9, v9, v1, 1.0
	s_delay_alu instid0(VALU_DEP_1)
	v_cndmask_b32_e64 v9, v8, v9, s1
	s_branch .LBB9_23
.LBB9_20:                               ;   in Loop: Header=BB9_7 Depth=1
	s_mov_b32 s23, 0
                                        ; implicit-def: $vgpr10
                                        ; implicit-def: $vgpr9
                                        ; implicit-def: $sgpr29
	s_cbranch_execnz .LBB9_24
	s_branch .LBB9_26
.LBB9_21:                               ;   in Loop: Header=BB9_7 Depth=1
	s_mov_b32 s23, -1
                                        ; implicit-def: $vgpr10
                                        ; implicit-def: $vgpr9
                                        ; implicit-def: $sgpr29
	s_branch .LBB9_26
.LBB9_22:                               ;   in Loop: Header=BB9_7 Depth=1
	s_mov_b32 s23, -1
                                        ; implicit-def: $vgpr9
.LBB9_23:                               ;   in Loop: Header=BB9_7 Depth=1
	v_mov_b32_e32 v10, v7
	s_mov_b32 s29, 4
	s_branch .LBB9_26
.LBB9_24:                               ;   in Loop: Header=BB9_7 Depth=1
	s_cmp_eq_u32 s5, 0
	s_cbranch_scc1 .LBB9_30
; %bb.25:                               ;   in Loop: Header=BB9_7 Depth=1
	s_mov_b32 s23, -1
                                        ; implicit-def: $vgpr10
                                        ; implicit-def: $vgpr9
                                        ; implicit-def: $sgpr29
.LBB9_26:                               ;   in Loop: Header=BB9_7 Depth=1
	s_delay_alu instid0(SALU_CYCLE_1)
	s_and_b32 vcc_lo, exec_lo, s23
	s_cbranch_vccnz .LBB9_33
.LBB9_27:                               ;   in Loop: Header=BB9_7 Depth=1
	s_and_b32 vcc_lo, exec_lo, s22
	s_cbranch_vccnz .LBB9_38
.LBB9_28:                               ;   in Loop: Header=BB9_7 Depth=1
	s_cmp_gt_i32 s29, 3
	s_mov_b32 s22, -1
	s_cbranch_scc1 .LBB9_39
.LBB9_29:                               ;   in Loop: Header=BB9_7 Depth=1
	s_cmp_eq_u32 s29, 0
	s_cselect_b32 s23, -1, 0
	s_delay_alu instid0(SALU_CYCLE_1)
	s_and_not1_b32 vcc_lo, exec_lo, s23
	s_cbranch_vccz .LBB9_6
	s_branch .LBB9_40
.LBB9_30:                               ;   in Loop: Header=BB9_7 Depth=1
	s_cmp_le_i32 s28, s20
	s_mov_b32 s23, 0
	s_cbranch_scc0 .LBB9_32
; %bb.31:                               ;   in Loop: Header=BB9_7 Depth=1
	s_cmp_lg_u32 s28, s20
	s_mov_b32 s22, -1
	s_cselect_b32 s23, -1, 0
.LBB9_32:                               ;   in Loop: Header=BB9_7 Depth=1
	v_dual_mov_b32 v10, v7 :: v_dual_mov_b32 v9, v8
	s_mov_b32 s29, 2
	s_and_b32 vcc_lo, exec_lo, s23
	s_cbranch_vccz .LBB9_27
.LBB9_33:                               ;   in Loop: Header=BB9_7 Depth=1
	s_and_saveexec_b32 s29, s3
	s_cbranch_execz .LBB9_35
; %bb.34:                               ;   in Loop: Header=BB9_7 Depth=1
	s_add_i32 s22, s28, s7
	s_delay_alu instid0(SALU_CYCLE_1) | instskip(NEXT) | instid1(SALU_CYCLE_1)
	s_ashr_i32 s23, s22, 31
	s_lshl_b64 s[22:23], s[22:23], 2
	s_delay_alu instid0(SALU_CYCLE_1)
	s_add_u32 s22, s10, s22
	s_addc_u32 s23, s11, s23
	global_load_b32 v9, v2, s[22:23] glc
	s_waitcnt vmcnt(0)
	v_cmp_ne_u32_e32 vcc_lo, 0, v9
	s_cbranch_vccz .LBB9_41
.LBB9_35:                               ;   in Loop: Header=BB9_7 Depth=1
	s_or_b32 exec_lo, exec_lo, s29
	v_mov_b32_e32 v10, 0
	s_waitcnt_vscnt null, 0x0
	s_barrier
	buffer_gl0_inv
	buffer_gl1_inv
	buffer_gl0_inv
	s_and_saveexec_b32 s22, s2
	s_cbranch_execz .LBB9_37
; %bb.36:                               ;   in Loop: Header=BB9_7 Depth=1
	s_mul_i32 s23, s28, s9
	s_mul_hi_u32 s29, s28, s8
	s_ashr_i32 s30, s28, 31
	s_add_i32 s23, s29, s23
	s_mul_i32 s30, s30, s8
	s_mul_i32 s28, s28, s8
	s_add_i32 s29, s23, s30
	s_delay_alu instid0(SALU_CYCLE_1) | instskip(NEXT) | instid1(SALU_CYCLE_1)
	s_lshl_b64 s[28:29], s[28:29], 2
	v_add_co_u32 v9, vcc_lo, v3, s28
	v_add_co_ci_u32_e32 v10, vcc_lo, s29, v4, vcc_lo
	global_load_b32 v9, v[9:10], off
	s_waitcnt vmcnt(0)
	v_fma_f32 v10, -v1, v9, v7
.LBB9_37:                               ;   in Loop: Header=BB9_7 Depth=1
	s_or_b32 exec_lo, exec_lo, s22
	v_mov_b32_e32 v9, v8
	s_mov_b32 s29, 0
	s_branch .LBB9_28
.LBB9_38:                               ;   in Loop: Header=BB9_7 Depth=1
	v_div_scale_f32 v9, null, v1, v1, 1.0
	v_div_scale_f32 v12, vcc_lo, 1.0, v1, 1.0
	s_mov_b32 s29, 2
	s_delay_alu instid0(VALU_DEP_2) | instskip(SKIP_2) | instid1(VALU_DEP_1)
	v_rcp_f32_e32 v10, v9
	s_waitcnt_depctr 0xfff
	v_fma_f32 v11, -v9, v10, 1.0
	v_fmac_f32_e32 v10, v11, v10
	s_delay_alu instid0(VALU_DEP_1) | instskip(NEXT) | instid1(VALU_DEP_1)
	v_mul_f32_e32 v11, v12, v10
	v_fma_f32 v13, -v9, v11, v12
	s_delay_alu instid0(VALU_DEP_1) | instskip(NEXT) | instid1(VALU_DEP_1)
	v_fmac_f32_e32 v11, v13, v10
	v_fma_f32 v9, -v9, v11, v12
	s_delay_alu instid0(VALU_DEP_1) | instskip(SKIP_1) | instid1(VALU_DEP_2)
	v_div_fmas_f32 v9, v9, v10, v11
	v_mov_b32_e32 v10, v7
	v_div_fixup_f32 v1, v9, v1, 1.0
	s_delay_alu instid0(VALU_DEP_1)
	v_cndmask_b32_e64 v9, v8, v1, s1
	s_cmp_gt_i32 s29, 3
	s_mov_b32 s22, -1
	s_cbranch_scc0 .LBB9_29
.LBB9_39:                               ;   in Loop: Header=BB9_7 Depth=1
	s_branch .LBB9_6
.LBB9_40:                               ;   in Loop: Header=BB9_7 Depth=1
                                        ; implicit-def: $sgpr27
	v_dual_mov_b32 v7, v10 :: v_dual_mov_b32 v8, v9
	s_and_not1_b32 vcc_lo, exec_lo, s22
	s_cbranch_vccnz .LBB9_7
	s_branch .LBB9_46
.LBB9_41:                               ;   in Loop: Header=BB9_7 Depth=1
	s_mov_b32 s30, 0
	s_branch .LBB9_43
	.p2align	6
.LBB9_42:                               ;   in Loop: Header=BB9_43 Depth=2
	global_load_b32 v9, v2, s[22:23] glc
	s_cmpk_lt_u32 s30, 0xf43
	s_cselect_b32 s31, -1, 0
	s_delay_alu instid0(SALU_CYCLE_1)
	s_cmp_lg_u32 s31, 0
	s_addc_u32 s30, s30, 0
	s_waitcnt vmcnt(0)
	v_cmp_ne_u32_e32 vcc_lo, 0, v9
	s_cbranch_vccnz .LBB9_35
.LBB9_43:                               ;   Parent Loop BB9_7 Depth=1
                                        ; =>  This Loop Header: Depth=2
                                        ;       Child Loop BB9_44 Depth 3
	s_cmp_eq_u32 s30, 0
	s_mov_b32 s31, s30
	s_cbranch_scc1 .LBB9_42
.LBB9_44:                               ;   Parent Loop BB9_7 Depth=1
                                        ;     Parent Loop BB9_43 Depth=2
                                        ; =>    This Inner Loop Header: Depth=3
	s_add_i32 s31, s31, -1
	s_sleep 1
	s_cmp_eq_u32 s31, 0
	s_cbranch_scc0 .LBB9_44
	s_branch .LBB9_42
.LBB9_45:
	v_mov_b32_e32 v10, v7
.LBB9_46:
	s_and_saveexec_b32 s0, s2
	s_cbranch_execz .LBB9_48
; %bb.47:
	s_delay_alu instid0(VALU_DEP_1) | instskip(SKIP_3) | instid1(VALU_DEP_1)
	v_mul_f32_e32 v1, v9, v10
	s_cmp_eq_u32 s6, 0
	s_cselect_b32 vcc_lo, -1, 0
	s_lshl_b64 s[2:3], s[18:19], 2
	v_cndmask_b32_e32 v5, v10, v1, vcc_lo
	v_add_co_u32 v1, vcc_lo, v3, s2
	v_add_co_ci_u32_e32 v2, vcc_lo, s3, v4, vcc_lo
	global_store_b32 v[1:2], v5, off
.LBB9_48:
	s_or_b32 exec_lo, exec_lo, s0
	s_waitcnt_vscnt null, 0x0
	buffer_gl1_inv
	buffer_gl0_inv
	s_barrier
	buffer_gl0_inv
	s_mov_b32 s0, exec_lo
	v_cmpx_eq_u32_e32 0, v0
	s_cbranch_execz .LBB9_50
; %bb.49:
	s_add_i32 s0, s20, s7
	v_dual_mov_b32 v0, 0 :: v_dual_mov_b32 v1, 1
	s_ashr_i32 s1, s0, 31
	s_delay_alu instid0(SALU_CYCLE_1) | instskip(NEXT) | instid1(SALU_CYCLE_1)
	s_lshl_b64 s[0:1], s[0:1], 2
	s_add_u32 s0, s10, s0
	s_addc_u32 s1, s11, s1
	global_store_b32 v0, v1, s[0:1]
.LBB9_50:
	s_nop 0
	s_sendmsg sendmsg(MSG_DEALLOC_VGPRS)
	s_endpgm
	.section	.rodata,"a",@progbits
	.p2align	6, 0x0
	.amdhsa_kernel _ZN9rocsparseL5csrsmILj1024ELj64ELb1EiifEEv20rocsparse_operation_T3_S2_NS_24const_host_device_scalarIT4_EEPKT2_PKS2_PKS4_PS4_lPiSA_PS2_21rocsparse_index_base_20rocsparse_fill_mode_20rocsparse_diag_type_b
		.amdhsa_group_segment_fixed_size 8192
		.amdhsa_private_segment_fixed_size 0
		.amdhsa_kernarg_size 104
		.amdhsa_user_sgpr_count 15
		.amdhsa_user_sgpr_dispatch_ptr 0
		.amdhsa_user_sgpr_queue_ptr 0
		.amdhsa_user_sgpr_kernarg_segment_ptr 1
		.amdhsa_user_sgpr_dispatch_id 0
		.amdhsa_user_sgpr_private_segment_size 0
		.amdhsa_wavefront_size32 1
		.amdhsa_uses_dynamic_stack 0
		.amdhsa_enable_private_segment 0
		.amdhsa_system_sgpr_workgroup_id_x 1
		.amdhsa_system_sgpr_workgroup_id_y 0
		.amdhsa_system_sgpr_workgroup_id_z 0
		.amdhsa_system_sgpr_workgroup_info 0
		.amdhsa_system_vgpr_workitem_id 0
		.amdhsa_next_free_vgpr 14
		.amdhsa_next_free_sgpr 32
		.amdhsa_reserve_vcc 1
		.amdhsa_float_round_mode_32 0
		.amdhsa_float_round_mode_16_64 0
		.amdhsa_float_denorm_mode_32 3
		.amdhsa_float_denorm_mode_16_64 3
		.amdhsa_dx10_clamp 1
		.amdhsa_ieee_mode 1
		.amdhsa_fp16_overflow 0
		.amdhsa_workgroup_processor_mode 1
		.amdhsa_memory_ordered 1
		.amdhsa_forward_progress 0
		.amdhsa_shared_vgpr_count 0
		.amdhsa_exception_fp_ieee_invalid_op 0
		.amdhsa_exception_fp_denorm_src 0
		.amdhsa_exception_fp_ieee_div_zero 0
		.amdhsa_exception_fp_ieee_overflow 0
		.amdhsa_exception_fp_ieee_underflow 0
		.amdhsa_exception_fp_ieee_inexact 0
		.amdhsa_exception_int_div_zero 0
	.end_amdhsa_kernel
	.section	.text._ZN9rocsparseL5csrsmILj1024ELj64ELb1EiifEEv20rocsparse_operation_T3_S2_NS_24const_host_device_scalarIT4_EEPKT2_PKS2_PKS4_PS4_lPiSA_PS2_21rocsparse_index_base_20rocsparse_fill_mode_20rocsparse_diag_type_b,"axG",@progbits,_ZN9rocsparseL5csrsmILj1024ELj64ELb1EiifEEv20rocsparse_operation_T3_S2_NS_24const_host_device_scalarIT4_EEPKT2_PKS2_PKS4_PS4_lPiSA_PS2_21rocsparse_index_base_20rocsparse_fill_mode_20rocsparse_diag_type_b,comdat
.Lfunc_end9:
	.size	_ZN9rocsparseL5csrsmILj1024ELj64ELb1EiifEEv20rocsparse_operation_T3_S2_NS_24const_host_device_scalarIT4_EEPKT2_PKS2_PKS4_PS4_lPiSA_PS2_21rocsparse_index_base_20rocsparse_fill_mode_20rocsparse_diag_type_b, .Lfunc_end9-_ZN9rocsparseL5csrsmILj1024ELj64ELb1EiifEEv20rocsparse_operation_T3_S2_NS_24const_host_device_scalarIT4_EEPKT2_PKS2_PKS4_PS4_lPiSA_PS2_21rocsparse_index_base_20rocsparse_fill_mode_20rocsparse_diag_type_b
                                        ; -- End function
	.section	.AMDGPU.csdata,"",@progbits
; Kernel info:
; codeLenInByte = 1716
; NumSgprs: 34
; NumVgprs: 14
; ScratchSize: 0
; MemoryBound: 0
; FloatMode: 240
; IeeeMode: 1
; LDSByteSize: 8192 bytes/workgroup (compile time only)
; SGPRBlocks: 4
; VGPRBlocks: 1
; NumSGPRsForWavesPerEU: 34
; NumVGPRsForWavesPerEU: 14
; Occupancy: 16
; WaveLimiterHint : 1
; COMPUTE_PGM_RSRC2:SCRATCH_EN: 0
; COMPUTE_PGM_RSRC2:USER_SGPR: 15
; COMPUTE_PGM_RSRC2:TRAP_HANDLER: 0
; COMPUTE_PGM_RSRC2:TGID_X_EN: 1
; COMPUTE_PGM_RSRC2:TGID_Y_EN: 0
; COMPUTE_PGM_RSRC2:TGID_Z_EN: 0
; COMPUTE_PGM_RSRC2:TIDIG_COMP_CNT: 0
	.section	.text._ZN9rocsparseL5csrsmILj1024ELj64ELb0EiifEEv20rocsparse_operation_T3_S2_NS_24const_host_device_scalarIT4_EEPKT2_PKS2_PKS4_PS4_lPiSA_PS2_21rocsparse_index_base_20rocsparse_fill_mode_20rocsparse_diag_type_b,"axG",@progbits,_ZN9rocsparseL5csrsmILj1024ELj64ELb0EiifEEv20rocsparse_operation_T3_S2_NS_24const_host_device_scalarIT4_EEPKT2_PKS2_PKS4_PS4_lPiSA_PS2_21rocsparse_index_base_20rocsparse_fill_mode_20rocsparse_diag_type_b,comdat
	.globl	_ZN9rocsparseL5csrsmILj1024ELj64ELb0EiifEEv20rocsparse_operation_T3_S2_NS_24const_host_device_scalarIT4_EEPKT2_PKS2_PKS4_PS4_lPiSA_PS2_21rocsparse_index_base_20rocsparse_fill_mode_20rocsparse_diag_type_b ; -- Begin function _ZN9rocsparseL5csrsmILj1024ELj64ELb0EiifEEv20rocsparse_operation_T3_S2_NS_24const_host_device_scalarIT4_EEPKT2_PKS2_PKS4_PS4_lPiSA_PS2_21rocsparse_index_base_20rocsparse_fill_mode_20rocsparse_diag_type_b
	.p2align	8
	.type	_ZN9rocsparseL5csrsmILj1024ELj64ELb0EiifEEv20rocsparse_operation_T3_S2_NS_24const_host_device_scalarIT4_EEPKT2_PKS2_PKS4_PS4_lPiSA_PS2_21rocsparse_index_base_20rocsparse_fill_mode_20rocsparse_diag_type_b,@function
_ZN9rocsparseL5csrsmILj1024ELj64ELb0EiifEEv20rocsparse_operation_T3_S2_NS_24const_host_device_scalarIT4_EEPKT2_PKS2_PKS4_PS4_lPiSA_PS2_21rocsparse_index_base_20rocsparse_fill_mode_20rocsparse_diag_type_b: ; @_ZN9rocsparseL5csrsmILj1024ELj64ELb0EiifEEv20rocsparse_operation_T3_S2_NS_24const_host_device_scalarIT4_EEPKT2_PKS2_PKS4_PS4_lPiSA_PS2_21rocsparse_index_base_20rocsparse_fill_mode_20rocsparse_diag_type_b
; %bb.0:
	s_clause 0x3
	s_load_b128 s[4:7], s[0:1], 0x58
	s_load_b64 s[2:3], s[0:1], 0x48
	s_load_b128 s[16:19], s[0:1], 0x10
	s_load_b64 s[12:13], s[0:1], 0x30
	s_waitcnt lgkmcnt(0)
	s_bitcmp1_b32 s7, 0
	s_cselect_b32 s7, -1, 0
	s_delay_alu instid0(SALU_CYCLE_1)
	s_and_b32 vcc_lo, exec_lo, s7
	s_cbranch_vccnz .LBB10_2
; %bb.1:
	s_load_b32 s16, s[16:17], 0x0
.LBB10_2:
	s_load_b64 s[24:25], s[0:1], 0x4
	v_mov_b32_e32 v7, 0
	s_waitcnt lgkmcnt(0)
	v_cvt_f32_u32_e32 v1, s24
	s_sub_i32 s8, 0, s24
	s_delay_alu instid0(VALU_DEP_1) | instskip(SKIP_2) | instid1(VALU_DEP_1)
	v_rcp_iflag_f32_e32 v1, v1
	s_waitcnt_depctr 0xfff
	v_mul_f32_e32 v1, 0x4f7ffffe, v1
	v_cvt_u32_f32_e32 v1, v1
	s_delay_alu instid0(VALU_DEP_1) | instskip(NEXT) | instid1(VALU_DEP_1)
	v_readfirstlane_b32 s7, v1
	s_mul_i32 s8, s8, s7
	s_delay_alu instid0(SALU_CYCLE_1) | instskip(NEXT) | instid1(SALU_CYCLE_1)
	s_mul_hi_u32 s8, s7, s8
	s_add_i32 s7, s7, s8
	s_delay_alu instid0(SALU_CYCLE_1) | instskip(NEXT) | instid1(SALU_CYCLE_1)
	s_mul_hi_u32 s7, s15, s7
	s_mul_i32 s8, s7, s24
	s_add_i32 s9, s7, 1
	s_sub_i32 s8, s15, s8
	s_delay_alu instid0(SALU_CYCLE_1)
	s_sub_i32 s10, s8, s24
	s_cmp_ge_u32 s8, s24
	s_cselect_b32 s7, s9, s7
	s_cselect_b32 s8, s10, s8
	s_add_i32 s9, s7, 1
	s_cmp_ge_u32 s8, s24
	s_cselect_b32 s14, s9, s7
	s_delay_alu instid0(SALU_CYCLE_1) | instskip(SKIP_2) | instid1(SALU_CYCLE_1)
	s_mul_i32 s7, s14, s24
	v_lshl_or_b32 v1, s14, 10, v0
	s_sub_i32 s8, s15, s7
	s_ashr_i32 s9, s8, 31
	s_delay_alu instid0(VALU_DEP_1) | instskip(SKIP_1) | instid1(SALU_CYCLE_1)
	v_ashrrev_i32_e32 v2, 31, v1
	s_lshl_b64 s[8:9], s[8:9], 2
	s_add_u32 s2, s2, s8
	s_addc_u32 s3, s3, s9
	s_load_b32 s20, s[2:3], 0x0
	s_load_b128 s[8:11], s[0:1], 0x38
	s_waitcnt lgkmcnt(0)
	s_ashr_i32 s21, s20, 31
	s_delay_alu instid0(SALU_CYCLE_1)
	s_lshl_b64 s[2:3], s[20:21], 2
	s_mul_i32 s14, s21, s8
	s_add_u32 s2, s18, s2
	s_addc_u32 s3, s19, s3
	s_mul_i32 s18, s20, s8
	s_load_b64 s[22:23], s[2:3], 0x0
	s_mul_i32 s2, s20, s9
	s_mul_hi_u32 s3, s20, s8
	s_delay_alu instid0(SALU_CYCLE_1) | instskip(SKIP_2) | instid1(VALU_DEP_1)
	s_add_i32 s3, s3, s2
	v_cmp_gt_i32_e64 s2, s25, v1
	s_add_i32 s19, s3, s14
	s_and_saveexec_b32 s3, s2
	s_cbranch_execz .LBB10_4
; %bb.3:
	v_add_co_u32 v3, vcc_lo, s18, v1
	v_add_co_ci_u32_e32 v4, vcc_lo, s19, v2, vcc_lo
	s_delay_alu instid0(VALU_DEP_1) | instskip(NEXT) | instid1(VALU_DEP_1)
	v_lshlrev_b64 v[3:4], 2, v[3:4]
	v_add_co_u32 v3, vcc_lo, s12, v3
	s_delay_alu instid0(VALU_DEP_2)
	v_add_co_ci_u32_e32 v4, vcc_lo, s13, v4, vcc_lo
	global_load_b32 v3, v[3:4], off
	s_waitcnt vmcnt(0)
	v_mul_f32_e32 v7, s16, v3
.LBB10_4:
	s_or_b32 exec_lo, exec_lo, s3
	v_lshlrev_b64 v[1:2], 2, v[1:2]
	v_mov_b32_e32 v9, 1.0
	v_cmp_eq_u32_e64 s3, 0, v0
	s_waitcnt lgkmcnt(0)
	s_cmp_ge_i32 s22, s23
	s_delay_alu instid0(VALU_DEP_3)
	v_add_co_u32 v3, vcc_lo, s12, v1
	v_add_co_ci_u32_e32 v4, vcc_lo, s13, v2, vcc_lo
	s_cbranch_scc1 .LBB10_42
; %bb.5:
	s_clause 0x1
	s_load_b64 s[16:17], s[0:1], 0x50
	s_load_b128 s[12:15], s[0:1], 0x20
	v_dual_mov_b32 v8, 1.0 :: v_dual_lshlrev_b32 v5, 2, v0
	s_sub_i32 s21, s22, s4
	s_sub_i32 s24, s23, s4
	s_cmp_lg_u32 s6, 0
	s_delay_alu instid0(VALU_DEP_1)
	v_or_b32_e32 v6, 0x1000, v5
	s_cselect_b32 s25, -1, 0
	v_cmp_ne_u32_e64 s0, 0, v0
	s_add_i32 s26, s20, s4
	v_mov_b32_e32 v2, 0
	s_cmp_eq_u32 s6, 0
	s_mov_b32 s27, s21
	s_cselect_b32 s1, -1, 0
	s_branch .LBB10_7
.LBB10_6:                               ;   in Loop: Header=BB10_7 Depth=1
	s_add_i32 s27, s27, 1
	s_delay_alu instid0(SALU_CYCLE_1)
	s_cmp_ge_i32 s27, s24
	s_cselect_b32 s22, -1, 0
	v_dual_mov_b32 v7, v10 :: v_dual_mov_b32 v8, v9
	s_and_not1_b32 vcc_lo, exec_lo, s22
	s_cbranch_vccz .LBB10_43
.LBB10_7:                               ; =>This Loop Header: Depth=1
                                        ;     Child Loop BB10_35 Depth 2
	s_sub_i32 s22, s27, s21
	s_delay_alu instid0(SALU_CYCLE_1) | instskip(NEXT) | instid1(SALU_CYCLE_1)
	s_and_b32 s22, s22, 0x3ff
	s_cmp_lg_u32 s22, 0
	s_cbranch_scc1 .LBB10_11
; %bb.8:                                ;   in Loop: Header=BB10_7 Depth=1
	s_sub_i32 s23, s24, s27
	v_mov_b32_e32 v1, -1
	v_cmp_gt_u32_e32 vcc_lo, s23, v0
	v_mov_b32_e32 v9, -1.0
	s_and_saveexec_b32 s23, vcc_lo
	s_cbranch_execz .LBB10_10
; %bb.9:                                ;   in Loop: Header=BB10_7 Depth=1
	v_add_nc_u32_e32 v1, s27, v0
	s_delay_alu instid0(VALU_DEP_1) | instskip(SKIP_1) | instid1(VALU_DEP_1)
	v_lshlrev_b64 v[9:10], 2, v[1:2]
	s_waitcnt lgkmcnt(0)
	v_add_co_u32 v11, vcc_lo, s12, v9
	s_delay_alu instid0(VALU_DEP_2)
	v_add_co_ci_u32_e32 v12, vcc_lo, s13, v10, vcc_lo
	v_add_co_u32 v9, vcc_lo, s14, v9
	v_add_co_ci_u32_e32 v10, vcc_lo, s15, v10, vcc_lo
	global_load_b32 v1, v[11:12], off
	global_load_b32 v9, v[9:10], off
	s_waitcnt vmcnt(1)
	v_subrev_nc_u32_e32 v1, s4, v1
.LBB10_10:                              ;   in Loop: Header=BB10_7 Depth=1
	s_or_b32 exec_lo, exec_lo, s23
	ds_store_b32 v5, v1
	s_waitcnt vmcnt(0)
	ds_store_b32 v6, v9
.LBB10_11:                              ;   in Loop: Header=BB10_7 Depth=1
	s_lshl_b32 s22, s22, 2
	s_waitcnt lgkmcnt(0)
	v_mov_b32_e32 v1, s22
	s_waitcnt_vscnt null, 0x0
	s_barrier
	buffer_gl0_inv
	ds_load_2addr_stride64_b32 v[9:10], v1 offset1:16
	s_waitcnt lgkmcnt(0)
	v_readfirstlane_b32 s28, v9
	v_cmp_neq_f32_e32 vcc_lo, 0, v10
	s_delay_alu instid0(VALU_DEP_2) | instskip(SKIP_1) | instid1(SALU_CYCLE_1)
	s_cmp_lg_u32 s28, s20
	s_cselect_b32 s22, -1, 0
	s_or_b32 s22, s25, s22
	s_delay_alu instid0(SALU_CYCLE_1) | instskip(SKIP_2) | instid1(SALU_CYCLE_1)
	s_or_b32 vcc_lo, vcc_lo, s22
	v_cndmask_b32_e32 v1, 1.0, v10, vcc_lo
	s_or_b32 s22, s0, vcc_lo
	s_xor_b32 s23, s22, -1
	s_delay_alu instid0(SALU_CYCLE_1)
	s_and_saveexec_b32 s22, s23
	s_cbranch_execz .LBB10_15
; %bb.12:                               ;   in Loop: Header=BB10_7 Depth=1
	v_mbcnt_lo_u32_b32 v1, exec_lo, 0
	s_mov_b32 s23, exec_lo
	s_delay_alu instid0(VALU_DEP_1)
	v_cmpx_eq_u32_e32 0, v1
	s_cbranch_execz .LBB10_14
; %bb.13:                               ;   in Loop: Header=BB10_7 Depth=1
	v_mov_b32_e32 v1, s26
	global_atomic_min_i32 v2, v1, s[16:17]
.LBB10_14:                              ;   in Loop: Header=BB10_7 Depth=1
	s_or_b32 exec_lo, exec_lo, s23
	v_mov_b32_e32 v1, 1.0
.LBB10_15:                              ;   in Loop: Header=BB10_7 Depth=1
	s_or_b32 exec_lo, exec_lo, s22
	s_cmp_lt_i32 s5, 1
	s_mov_b32 s22, 0
	s_cbranch_scc1 .LBB10_20
; %bb.16:                               ;   in Loop: Header=BB10_7 Depth=1
	s_cmp_eq_u32 s5, 1
	s_cbranch_scc0 .LBB10_21
; %bb.17:                               ;   in Loop: Header=BB10_7 Depth=1
	v_mov_b32_e32 v9, v8
	s_cmp_ge_i32 s28, s20
	s_mov_b32 s23, 0
	s_cbranch_scc0 .LBB10_23
; %bb.18:                               ;   in Loop: Header=BB10_7 Depth=1
	s_cmp_eq_u32 s28, s20
	s_cbranch_scc0 .LBB10_22
; %bb.19:                               ;   in Loop: Header=BB10_7 Depth=1
	v_div_scale_f32 v9, null, v1, v1, 1.0
	s_delay_alu instid0(VALU_DEP_1) | instskip(SKIP_2) | instid1(VALU_DEP_1)
	v_rcp_f32_e32 v10, v9
	s_waitcnt_depctr 0xfff
	v_fma_f32 v11, -v9, v10, 1.0
	v_fmac_f32_e32 v10, v11, v10
	v_div_scale_f32 v11, vcc_lo, 1.0, v1, 1.0
	s_delay_alu instid0(VALU_DEP_1) | instskip(NEXT) | instid1(VALU_DEP_1)
	v_mul_f32_e32 v12, v11, v10
	v_fma_f32 v13, -v9, v12, v11
	s_delay_alu instid0(VALU_DEP_1) | instskip(NEXT) | instid1(VALU_DEP_1)
	v_fmac_f32_e32 v12, v13, v10
	v_fma_f32 v9, -v9, v12, v11
	s_delay_alu instid0(VALU_DEP_1) | instskip(NEXT) | instid1(VALU_DEP_1)
	v_div_fmas_f32 v9, v9, v10, v12
	v_div_fixup_f32 v9, v9, v1, 1.0
	s_delay_alu instid0(VALU_DEP_1)
	v_cndmask_b32_e64 v9, v8, v9, s1
	s_branch .LBB10_23
.LBB10_20:                              ;   in Loop: Header=BB10_7 Depth=1
	s_mov_b32 s23, 0
                                        ; implicit-def: $vgpr10
                                        ; implicit-def: $vgpr9
                                        ; implicit-def: $sgpr29
	s_cbranch_execnz .LBB10_24
	s_branch .LBB10_26
.LBB10_21:                              ;   in Loop: Header=BB10_7 Depth=1
	s_mov_b32 s23, -1
                                        ; implicit-def: $vgpr10
                                        ; implicit-def: $vgpr9
                                        ; implicit-def: $sgpr29
	s_branch .LBB10_26
.LBB10_22:                              ;   in Loop: Header=BB10_7 Depth=1
	s_mov_b32 s23, -1
                                        ; implicit-def: $vgpr9
.LBB10_23:                              ;   in Loop: Header=BB10_7 Depth=1
	v_mov_b32_e32 v10, v7
	s_mov_b32 s29, 4
	s_branch .LBB10_26
.LBB10_24:                              ;   in Loop: Header=BB10_7 Depth=1
	s_cmp_eq_u32 s5, 0
	s_cbranch_scc1 .LBB10_30
; %bb.25:                               ;   in Loop: Header=BB10_7 Depth=1
	s_mov_b32 s23, -1
                                        ; implicit-def: $vgpr10
                                        ; implicit-def: $vgpr9
                                        ; implicit-def: $sgpr29
.LBB10_26:                              ;   in Loop: Header=BB10_7 Depth=1
	s_delay_alu instid0(SALU_CYCLE_1)
	s_and_b32 vcc_lo, exec_lo, s23
	s_cbranch_vccnz .LBB10_33
.LBB10_27:                              ;   in Loop: Header=BB10_7 Depth=1
	s_and_b32 vcc_lo, exec_lo, s22
	s_cbranch_vccnz .LBB10_39
.LBB10_28:                              ;   in Loop: Header=BB10_7 Depth=1
	s_cmp_gt_i32 s29, 3
	s_mov_b32 s22, -1
	s_cbranch_scc1 .LBB10_40
.LBB10_29:                              ;   in Loop: Header=BB10_7 Depth=1
	s_cmp_eq_u32 s29, 0
	s_cselect_b32 s23, -1, 0
	s_delay_alu instid0(SALU_CYCLE_1)
	s_and_not1_b32 vcc_lo, exec_lo, s23
	s_cbranch_vccz .LBB10_6
	s_branch .LBB10_41
.LBB10_30:                              ;   in Loop: Header=BB10_7 Depth=1
	s_cmp_le_i32 s28, s20
	s_mov_b32 s23, 0
	s_cbranch_scc0 .LBB10_32
; %bb.31:                               ;   in Loop: Header=BB10_7 Depth=1
	s_cmp_lg_u32 s28, s20
	s_mov_b32 s22, -1
	s_cselect_b32 s23, -1, 0
.LBB10_32:                              ;   in Loop: Header=BB10_7 Depth=1
	v_dual_mov_b32 v10, v7 :: v_dual_mov_b32 v9, v8
	s_mov_b32 s29, 2
	s_and_b32 vcc_lo, exec_lo, s23
	s_cbranch_vccz .LBB10_27
.LBB10_33:                              ;   in Loop: Header=BB10_7 Depth=1
	s_and_saveexec_b32 s29, s3
	s_cbranch_execz .LBB10_36
; %bb.34:                               ;   in Loop: Header=BB10_7 Depth=1
	s_add_i32 s22, s28, s7
	s_delay_alu instid0(SALU_CYCLE_1) | instskip(NEXT) | instid1(SALU_CYCLE_1)
	s_ashr_i32 s23, s22, 31
	s_lshl_b64 s[22:23], s[22:23], 2
	s_delay_alu instid0(SALU_CYCLE_1)
	s_add_u32 s22, s10, s22
	s_addc_u32 s23, s11, s23
	global_load_b32 v9, v2, s[22:23] glc
	s_waitcnt vmcnt(0)
	v_cmp_ne_u32_e32 vcc_lo, 0, v9
	s_cbranch_vccnz .LBB10_36
.LBB10_35:                              ;   Parent Loop BB10_7 Depth=1
                                        ; =>  This Inner Loop Header: Depth=2
	global_load_b32 v9, v2, s[22:23] glc
	s_waitcnt vmcnt(0)
	v_cmp_eq_u32_e32 vcc_lo, 0, v9
	s_cbranch_vccnz .LBB10_35
.LBB10_36:                              ;   in Loop: Header=BB10_7 Depth=1
	s_or_b32 exec_lo, exec_lo, s29
	v_mov_b32_e32 v10, 0
	s_waitcnt_vscnt null, 0x0
	s_barrier
	buffer_gl0_inv
	buffer_gl1_inv
	buffer_gl0_inv
	s_and_saveexec_b32 s22, s2
	s_cbranch_execz .LBB10_38
; %bb.37:                               ;   in Loop: Header=BB10_7 Depth=1
	s_mul_i32 s23, s28, s9
	s_mul_hi_u32 s29, s28, s8
	s_ashr_i32 s30, s28, 31
	s_add_i32 s23, s29, s23
	s_mul_i32 s30, s30, s8
	s_mul_i32 s28, s28, s8
	s_add_i32 s29, s23, s30
	s_delay_alu instid0(SALU_CYCLE_1) | instskip(NEXT) | instid1(SALU_CYCLE_1)
	s_lshl_b64 s[28:29], s[28:29], 2
	v_add_co_u32 v9, vcc_lo, v3, s28
	v_add_co_ci_u32_e32 v10, vcc_lo, s29, v4, vcc_lo
	global_load_b32 v9, v[9:10], off
	s_waitcnt vmcnt(0)
	v_fma_f32 v10, -v1, v9, v7
.LBB10_38:                              ;   in Loop: Header=BB10_7 Depth=1
	s_or_b32 exec_lo, exec_lo, s22
	v_mov_b32_e32 v9, v8
	s_mov_b32 s29, 0
	s_branch .LBB10_28
.LBB10_39:                              ;   in Loop: Header=BB10_7 Depth=1
	v_div_scale_f32 v9, null, v1, v1, 1.0
	v_div_scale_f32 v12, vcc_lo, 1.0, v1, 1.0
	s_mov_b32 s29, 2
	s_delay_alu instid0(VALU_DEP_2) | instskip(SKIP_2) | instid1(VALU_DEP_1)
	v_rcp_f32_e32 v10, v9
	s_waitcnt_depctr 0xfff
	v_fma_f32 v11, -v9, v10, 1.0
	v_fmac_f32_e32 v10, v11, v10
	s_delay_alu instid0(VALU_DEP_1) | instskip(NEXT) | instid1(VALU_DEP_1)
	v_mul_f32_e32 v11, v12, v10
	v_fma_f32 v13, -v9, v11, v12
	s_delay_alu instid0(VALU_DEP_1) | instskip(NEXT) | instid1(VALU_DEP_1)
	v_fmac_f32_e32 v11, v13, v10
	v_fma_f32 v9, -v9, v11, v12
	s_delay_alu instid0(VALU_DEP_1) | instskip(SKIP_1) | instid1(VALU_DEP_2)
	v_div_fmas_f32 v9, v9, v10, v11
	v_mov_b32_e32 v10, v7
	v_div_fixup_f32 v1, v9, v1, 1.0
	s_delay_alu instid0(VALU_DEP_1)
	v_cndmask_b32_e64 v9, v8, v1, s1
	s_cmp_gt_i32 s29, 3
	s_mov_b32 s22, -1
	s_cbranch_scc0 .LBB10_29
.LBB10_40:                              ;   in Loop: Header=BB10_7 Depth=1
	s_branch .LBB10_6
.LBB10_41:                              ;   in Loop: Header=BB10_7 Depth=1
                                        ; implicit-def: $sgpr27
	v_dual_mov_b32 v7, v10 :: v_dual_mov_b32 v8, v9
	s_and_not1_b32 vcc_lo, exec_lo, s22
	s_cbranch_vccnz .LBB10_7
	s_branch .LBB10_43
.LBB10_42:
	v_mov_b32_e32 v10, v7
.LBB10_43:
	s_and_saveexec_b32 s0, s2
	s_cbranch_execz .LBB10_45
; %bb.44:
	s_delay_alu instid0(VALU_DEP_1) | instskip(SKIP_3) | instid1(VALU_DEP_1)
	v_mul_f32_e32 v1, v9, v10
	s_cmp_eq_u32 s6, 0
	s_cselect_b32 vcc_lo, -1, 0
	s_lshl_b64 s[2:3], s[18:19], 2
	v_cndmask_b32_e32 v5, v10, v1, vcc_lo
	v_add_co_u32 v1, vcc_lo, v3, s2
	v_add_co_ci_u32_e32 v2, vcc_lo, s3, v4, vcc_lo
	global_store_b32 v[1:2], v5, off
.LBB10_45:
	s_or_b32 exec_lo, exec_lo, s0
	s_waitcnt_vscnt null, 0x0
	buffer_gl1_inv
	buffer_gl0_inv
	s_barrier
	buffer_gl0_inv
	s_mov_b32 s0, exec_lo
	v_cmpx_eq_u32_e32 0, v0
	s_cbranch_execz .LBB10_47
; %bb.46:
	s_add_i32 s0, s20, s7
	v_dual_mov_b32 v0, 0 :: v_dual_mov_b32 v1, 1
	s_ashr_i32 s1, s0, 31
	s_delay_alu instid0(SALU_CYCLE_1) | instskip(NEXT) | instid1(SALU_CYCLE_1)
	s_lshl_b64 s[0:1], s[0:1], 2
	s_add_u32 s0, s10, s0
	s_addc_u32 s1, s11, s1
	global_store_b32 v0, v1, s[0:1]
.LBB10_47:
	s_nop 0
	s_sendmsg sendmsg(MSG_DEALLOC_VGPRS)
	s_endpgm
	.section	.rodata,"a",@progbits
	.p2align	6, 0x0
	.amdhsa_kernel _ZN9rocsparseL5csrsmILj1024ELj64ELb0EiifEEv20rocsparse_operation_T3_S2_NS_24const_host_device_scalarIT4_EEPKT2_PKS2_PKS4_PS4_lPiSA_PS2_21rocsparse_index_base_20rocsparse_fill_mode_20rocsparse_diag_type_b
		.amdhsa_group_segment_fixed_size 8192
		.amdhsa_private_segment_fixed_size 0
		.amdhsa_kernarg_size 104
		.amdhsa_user_sgpr_count 15
		.amdhsa_user_sgpr_dispatch_ptr 0
		.amdhsa_user_sgpr_queue_ptr 0
		.amdhsa_user_sgpr_kernarg_segment_ptr 1
		.amdhsa_user_sgpr_dispatch_id 0
		.amdhsa_user_sgpr_private_segment_size 0
		.amdhsa_wavefront_size32 1
		.amdhsa_uses_dynamic_stack 0
		.amdhsa_enable_private_segment 0
		.amdhsa_system_sgpr_workgroup_id_x 1
		.amdhsa_system_sgpr_workgroup_id_y 0
		.amdhsa_system_sgpr_workgroup_id_z 0
		.amdhsa_system_sgpr_workgroup_info 0
		.amdhsa_system_vgpr_workitem_id 0
		.amdhsa_next_free_vgpr 14
		.amdhsa_next_free_sgpr 31
		.amdhsa_reserve_vcc 1
		.amdhsa_float_round_mode_32 0
		.amdhsa_float_round_mode_16_64 0
		.amdhsa_float_denorm_mode_32 3
		.amdhsa_float_denorm_mode_16_64 3
		.amdhsa_dx10_clamp 1
		.amdhsa_ieee_mode 1
		.amdhsa_fp16_overflow 0
		.amdhsa_workgroup_processor_mode 1
		.amdhsa_memory_ordered 1
		.amdhsa_forward_progress 0
		.amdhsa_shared_vgpr_count 0
		.amdhsa_exception_fp_ieee_invalid_op 0
		.amdhsa_exception_fp_denorm_src 0
		.amdhsa_exception_fp_ieee_div_zero 0
		.amdhsa_exception_fp_ieee_overflow 0
		.amdhsa_exception_fp_ieee_underflow 0
		.amdhsa_exception_fp_ieee_inexact 0
		.amdhsa_exception_int_div_zero 0
	.end_amdhsa_kernel
	.section	.text._ZN9rocsparseL5csrsmILj1024ELj64ELb0EiifEEv20rocsparse_operation_T3_S2_NS_24const_host_device_scalarIT4_EEPKT2_PKS2_PKS4_PS4_lPiSA_PS2_21rocsparse_index_base_20rocsparse_fill_mode_20rocsparse_diag_type_b,"axG",@progbits,_ZN9rocsparseL5csrsmILj1024ELj64ELb0EiifEEv20rocsparse_operation_T3_S2_NS_24const_host_device_scalarIT4_EEPKT2_PKS2_PKS4_PS4_lPiSA_PS2_21rocsparse_index_base_20rocsparse_fill_mode_20rocsparse_diag_type_b,comdat
.Lfunc_end10:
	.size	_ZN9rocsparseL5csrsmILj1024ELj64ELb0EiifEEv20rocsparse_operation_T3_S2_NS_24const_host_device_scalarIT4_EEPKT2_PKS2_PKS4_PS4_lPiSA_PS2_21rocsparse_index_base_20rocsparse_fill_mode_20rocsparse_diag_type_b, .Lfunc_end10-_ZN9rocsparseL5csrsmILj1024ELj64ELb0EiifEEv20rocsparse_operation_T3_S2_NS_24const_host_device_scalarIT4_EEPKT2_PKS2_PKS4_PS4_lPiSA_PS2_21rocsparse_index_base_20rocsparse_fill_mode_20rocsparse_diag_type_b
                                        ; -- End function
	.section	.AMDGPU.csdata,"",@progbits
; Kernel info:
; codeLenInByte = 1656
; NumSgprs: 33
; NumVgprs: 14
; ScratchSize: 0
; MemoryBound: 0
; FloatMode: 240
; IeeeMode: 1
; LDSByteSize: 8192 bytes/workgroup (compile time only)
; SGPRBlocks: 4
; VGPRBlocks: 1
; NumSGPRsForWavesPerEU: 33
; NumVGPRsForWavesPerEU: 14
; Occupancy: 16
; WaveLimiterHint : 1
; COMPUTE_PGM_RSRC2:SCRATCH_EN: 0
; COMPUTE_PGM_RSRC2:USER_SGPR: 15
; COMPUTE_PGM_RSRC2:TRAP_HANDLER: 0
; COMPUTE_PGM_RSRC2:TGID_X_EN: 1
; COMPUTE_PGM_RSRC2:TGID_Y_EN: 0
; COMPUTE_PGM_RSRC2:TGID_Z_EN: 0
; COMPUTE_PGM_RSRC2:TIDIG_COMP_CNT: 0
	.section	.text._ZN9rocsparseL23csrsm_solve_copy_y_to_BILj1024EdEEvlPT0_lPKS1_,"axG",@progbits,_ZN9rocsparseL23csrsm_solve_copy_y_to_BILj1024EdEEvlPT0_lPKS1_,comdat
	.globl	_ZN9rocsparseL23csrsm_solve_copy_y_to_BILj1024EdEEvlPT0_lPKS1_ ; -- Begin function _ZN9rocsparseL23csrsm_solve_copy_y_to_BILj1024EdEEvlPT0_lPKS1_
	.p2align	8
	.type	_ZN9rocsparseL23csrsm_solve_copy_y_to_BILj1024EdEEvlPT0_lPKS1_,@function
_ZN9rocsparseL23csrsm_solve_copy_y_to_BILj1024EdEEvlPT0_lPKS1_: ; @_ZN9rocsparseL23csrsm_solve_copy_y_to_BILj1024EdEEvlPT0_lPKS1_
; %bb.0:
	s_load_b256 s[0:7], s[0:1], 0x0
	v_lshl_or_b32 v0, s15, 10, v0
	v_mov_b32_e32 v1, 0
	s_waitcnt lgkmcnt(0)
	s_delay_alu instid0(VALU_DEP_1)
	v_cmp_gt_u64_e32 vcc_lo, s[0:1], v[0:1]
	s_and_saveexec_b32 s0, vcc_lo
	s_cbranch_execz .LBB11_2
; %bb.1:
	v_lshlrev_b64 v[1:2], 3, v[0:1]
	v_mad_u64_u32 v[3:4], null, v0, s4, 0
	s_delay_alu instid0(VALU_DEP_2) | instskip(NEXT) | instid1(VALU_DEP_3)
	v_add_co_u32 v1, vcc_lo, s6, v1
	v_add_co_ci_u32_e32 v2, vcc_lo, s7, v2, vcc_lo
	s_delay_alu instid0(VALU_DEP_3) | instskip(SKIP_2) | instid1(VALU_DEP_1)
	v_mad_u64_u32 v[5:6], null, v0, s5, v[4:5]
	global_load_b64 v[1:2], v[1:2], off
	v_mov_b32_e32 v4, v5
	v_lshlrev_b64 v[3:4], 3, v[3:4]
	s_delay_alu instid0(VALU_DEP_1) | instskip(NEXT) | instid1(VALU_DEP_2)
	v_add_co_u32 v3, vcc_lo, s2, v3
	v_add_co_ci_u32_e32 v4, vcc_lo, s3, v4, vcc_lo
	s_waitcnt vmcnt(0)
	global_store_b64 v[3:4], v[1:2], off
.LBB11_2:
	s_nop 0
	s_sendmsg sendmsg(MSG_DEALLOC_VGPRS)
	s_endpgm
	.section	.rodata,"a",@progbits
	.p2align	6, 0x0
	.amdhsa_kernel _ZN9rocsparseL23csrsm_solve_copy_y_to_BILj1024EdEEvlPT0_lPKS1_
		.amdhsa_group_segment_fixed_size 0
		.amdhsa_private_segment_fixed_size 0
		.amdhsa_kernarg_size 32
		.amdhsa_user_sgpr_count 15
		.amdhsa_user_sgpr_dispatch_ptr 0
		.amdhsa_user_sgpr_queue_ptr 0
		.amdhsa_user_sgpr_kernarg_segment_ptr 1
		.amdhsa_user_sgpr_dispatch_id 0
		.amdhsa_user_sgpr_private_segment_size 0
		.amdhsa_wavefront_size32 1
		.amdhsa_uses_dynamic_stack 0
		.amdhsa_enable_private_segment 0
		.amdhsa_system_sgpr_workgroup_id_x 1
		.amdhsa_system_sgpr_workgroup_id_y 0
		.amdhsa_system_sgpr_workgroup_id_z 0
		.amdhsa_system_sgpr_workgroup_info 0
		.amdhsa_system_vgpr_workitem_id 0
		.amdhsa_next_free_vgpr 7
		.amdhsa_next_free_sgpr 16
		.amdhsa_reserve_vcc 1
		.amdhsa_float_round_mode_32 0
		.amdhsa_float_round_mode_16_64 0
		.amdhsa_float_denorm_mode_32 3
		.amdhsa_float_denorm_mode_16_64 3
		.amdhsa_dx10_clamp 1
		.amdhsa_ieee_mode 1
		.amdhsa_fp16_overflow 0
		.amdhsa_workgroup_processor_mode 1
		.amdhsa_memory_ordered 1
		.amdhsa_forward_progress 0
		.amdhsa_shared_vgpr_count 0
		.amdhsa_exception_fp_ieee_invalid_op 0
		.amdhsa_exception_fp_denorm_src 0
		.amdhsa_exception_fp_ieee_div_zero 0
		.amdhsa_exception_fp_ieee_overflow 0
		.amdhsa_exception_fp_ieee_underflow 0
		.amdhsa_exception_fp_ieee_inexact 0
		.amdhsa_exception_int_div_zero 0
	.end_amdhsa_kernel
	.section	.text._ZN9rocsparseL23csrsm_solve_copy_y_to_BILj1024EdEEvlPT0_lPKS1_,"axG",@progbits,_ZN9rocsparseL23csrsm_solve_copy_y_to_BILj1024EdEEvlPT0_lPKS1_,comdat
.Lfunc_end11:
	.size	_ZN9rocsparseL23csrsm_solve_copy_y_to_BILj1024EdEEvlPT0_lPKS1_, .Lfunc_end11-_ZN9rocsparseL23csrsm_solve_copy_y_to_BILj1024EdEEvlPT0_lPKS1_
                                        ; -- End function
	.section	.AMDGPU.csdata,"",@progbits
; Kernel info:
; codeLenInByte = 144
; NumSgprs: 18
; NumVgprs: 7
; ScratchSize: 0
; MemoryBound: 0
; FloatMode: 240
; IeeeMode: 1
; LDSByteSize: 0 bytes/workgroup (compile time only)
; SGPRBlocks: 2
; VGPRBlocks: 0
; NumSGPRsForWavesPerEU: 18
; NumVGPRsForWavesPerEU: 7
; Occupancy: 16
; WaveLimiterHint : 0
; COMPUTE_PGM_RSRC2:SCRATCH_EN: 0
; COMPUTE_PGM_RSRC2:USER_SGPR: 15
; COMPUTE_PGM_RSRC2:TRAP_HANDLER: 0
; COMPUTE_PGM_RSRC2:TGID_X_EN: 1
; COMPUTE_PGM_RSRC2:TGID_Y_EN: 0
; COMPUTE_PGM_RSRC2:TGID_Z_EN: 0
; COMPUTE_PGM_RSRC2:TIDIG_COMP_CNT: 0
	.section	.text._ZN9rocsparseL5csrsmILj64ELj64ELb1EiidEEv20rocsparse_operation_T3_S2_NS_24const_host_device_scalarIT4_EEPKT2_PKS2_PKS4_PS4_lPiSA_PS2_21rocsparse_index_base_20rocsparse_fill_mode_20rocsparse_diag_type_b,"axG",@progbits,_ZN9rocsparseL5csrsmILj64ELj64ELb1EiidEEv20rocsparse_operation_T3_S2_NS_24const_host_device_scalarIT4_EEPKT2_PKS2_PKS4_PS4_lPiSA_PS2_21rocsparse_index_base_20rocsparse_fill_mode_20rocsparse_diag_type_b,comdat
	.globl	_ZN9rocsparseL5csrsmILj64ELj64ELb1EiidEEv20rocsparse_operation_T3_S2_NS_24const_host_device_scalarIT4_EEPKT2_PKS2_PKS4_PS4_lPiSA_PS2_21rocsparse_index_base_20rocsparse_fill_mode_20rocsparse_diag_type_b ; -- Begin function _ZN9rocsparseL5csrsmILj64ELj64ELb1EiidEEv20rocsparse_operation_T3_S2_NS_24const_host_device_scalarIT4_EEPKT2_PKS2_PKS4_PS4_lPiSA_PS2_21rocsparse_index_base_20rocsparse_fill_mode_20rocsparse_diag_type_b
	.p2align	8
	.type	_ZN9rocsparseL5csrsmILj64ELj64ELb1EiidEEv20rocsparse_operation_T3_S2_NS_24const_host_device_scalarIT4_EEPKT2_PKS2_PKS4_PS4_lPiSA_PS2_21rocsparse_index_base_20rocsparse_fill_mode_20rocsparse_diag_type_b,@function
_ZN9rocsparseL5csrsmILj64ELj64ELb1EiidEEv20rocsparse_operation_T3_S2_NS_24const_host_device_scalarIT4_EEPKT2_PKS2_PKS4_PS4_lPiSA_PS2_21rocsparse_index_base_20rocsparse_fill_mode_20rocsparse_diag_type_b: ; @_ZN9rocsparseL5csrsmILj64ELj64ELb1EiidEEv20rocsparse_operation_T3_S2_NS_24const_host_device_scalarIT4_EEPKT2_PKS2_PKS4_PS4_lPiSA_PS2_21rocsparse_index_base_20rocsparse_fill_mode_20rocsparse_diag_type_b
; %bb.0:
	s_clause 0x3
	s_load_b128 s[4:7], s[0:1], 0x58
	s_load_b128 s[16:19], s[0:1], 0x10
	s_load_b64 s[2:3], s[0:1], 0x48
	s_load_b64 s[12:13], s[0:1], 0x30
	s_waitcnt lgkmcnt(0)
	s_bitcmp1_b32 s7, 0
	v_dual_mov_b32 v1, s16 :: v_dual_mov_b32 v2, s17
	s_cselect_b32 s7, -1, 0
	s_delay_alu instid0(SALU_CYCLE_1)
	s_and_b32 vcc_lo, exec_lo, s7
	s_cbranch_vccnz .LBB12_2
; %bb.1:
	v_dual_mov_b32 v1, s16 :: v_dual_mov_b32 v2, s17
	flat_load_b64 v[1:2], v[1:2]
.LBB12_2:
	s_load_b64 s[20:21], s[0:1], 0x4
	s_waitcnt lgkmcnt(0)
	v_cvt_f32_u32_e32 v3, s20
	s_sub_i32 s8, 0, s20
	s_delay_alu instid0(VALU_DEP_1) | instskip(SKIP_2) | instid1(VALU_DEP_1)
	v_rcp_iflag_f32_e32 v3, v3
	s_waitcnt_depctr 0xfff
	v_mul_f32_e32 v3, 0x4f7ffffe, v3
	v_cvt_u32_f32_e32 v3, v3
	s_delay_alu instid0(VALU_DEP_1) | instskip(SKIP_2) | instid1(VALU_DEP_3)
	v_readfirstlane_b32 s7, v3
	v_mov_b32_e32 v3, 0
	v_mov_b32_e32 v4, 0
	s_mul_i32 s8, s8, s7
	s_delay_alu instid0(SALU_CYCLE_1) | instskip(NEXT) | instid1(SALU_CYCLE_1)
	s_mul_hi_u32 s8, s7, s8
	s_add_i32 s7, s7, s8
	s_delay_alu instid0(SALU_CYCLE_1) | instskip(NEXT) | instid1(SALU_CYCLE_1)
	s_mul_hi_u32 s7, s15, s7
	s_mul_i32 s8, s7, s20
	s_add_i32 s9, s7, 1
	s_sub_i32 s8, s15, s8
	s_delay_alu instid0(SALU_CYCLE_1)
	s_sub_i32 s10, s8, s20
	s_cmp_ge_u32 s8, s20
	s_cselect_b32 s7, s9, s7
	s_cselect_b32 s8, s10, s8
	s_add_i32 s9, s7, 1
	s_cmp_ge_u32 s8, s20
	s_cselect_b32 s14, s9, s7
	s_delay_alu instid0(SALU_CYCLE_1) | instskip(SKIP_2) | instid1(SALU_CYCLE_1)
	s_mul_i32 s7, s14, s20
	v_lshl_or_b32 v5, s14, 6, v0
	s_sub_i32 s8, s15, s7
	s_ashr_i32 s9, s8, 31
	s_delay_alu instid0(VALU_DEP_1) | instskip(SKIP_1) | instid1(SALU_CYCLE_1)
	v_ashrrev_i32_e32 v6, 31, v5
	s_lshl_b64 s[8:9], s[8:9], 2
	s_add_u32 s2, s2, s8
	s_addc_u32 s3, s3, s9
	s_load_b32 s16, s[2:3], 0x0
	s_load_b128 s[8:11], s[0:1], 0x38
	s_waitcnt lgkmcnt(0)
	s_ashr_i32 s17, s16, 31
	s_delay_alu instid0(SALU_CYCLE_1)
	s_lshl_b64 s[2:3], s[16:17], 2
	s_mul_i32 s14, s17, s8
	s_add_u32 s2, s18, s2
	s_addc_u32 s3, s19, s3
	s_mul_i32 s18, s16, s8
	s_load_b64 s[22:23], s[2:3], 0x0
	s_mul_i32 s2, s16, s9
	s_mul_hi_u32 s3, s16, s8
	s_delay_alu instid0(SALU_CYCLE_1) | instskip(SKIP_2) | instid1(VALU_DEP_1)
	s_add_i32 s3, s3, s2
	v_cmp_gt_i32_e64 s2, s21, v5
	s_add_i32 s19, s3, s14
	s_and_saveexec_b32 s3, s2
	s_cbranch_execz .LBB12_4
; %bb.3:
	v_add_co_u32 v3, vcc_lo, s18, v5
	v_add_co_ci_u32_e32 v4, vcc_lo, s19, v6, vcc_lo
	s_delay_alu instid0(VALU_DEP_1) | instskip(NEXT) | instid1(VALU_DEP_1)
	v_lshlrev_b64 v[3:4], 3, v[3:4]
	v_add_co_u32 v3, vcc_lo, s12, v3
	s_delay_alu instid0(VALU_DEP_2)
	v_add_co_ci_u32_e32 v4, vcc_lo, s13, v4, vcc_lo
	global_load_b64 v[3:4], v[3:4], off
	s_waitcnt vmcnt(0)
	v_mul_f64 v[3:4], v[1:2], v[3:4]
.LBB12_4:
	s_or_b32 exec_lo, exec_lo, s3
	s_waitcnt vmcnt(0)
	v_lshlrev_b64 v[1:2], 3, v[5:6]
	v_mov_b32_e32 v9, 0
	v_mov_b32_e32 v10, 0x3ff00000
	v_cmp_eq_u32_e64 s3, 0, v0
	s_waitcnt lgkmcnt(0)
	s_cmp_ge_i32 s22, s23
	v_add_co_u32 v13, vcc_lo, s12, v1
	v_add_co_ci_u32_e32 v14, vcc_lo, s13, v2, vcc_lo
	s_cbranch_scc1 .LBB12_46
; %bb.5:
	s_clause 0x1
	s_load_b64 s[20:21], s[0:1], 0x50
	s_load_b128 s[12:15], s[0:1], 0x20
	s_sub_i32 s17, s22, s4
	s_sub_i32 s24, s23, s4
	s_cmp_lg_u32 s6, 0
	v_dual_mov_b32 v5, 0 :: v_dual_lshlrev_b32 v16, 3, v0
	v_lshl_or_b32 v15, v0, 2, 0x200
	s_cselect_b32 s25, -1, 0
	v_cmp_ne_u32_e64 s0, 0, v0
	s_add_i32 s26, s16, s4
	v_mov_b32_e32 v6, 0x3ff00000
	v_mov_b32_e32 v2, 0
	s_cmp_eq_u32 s6, 0
	s_mov_b32 s27, s17
	s_cselect_b32 s1, -1, 0
	s_branch .LBB12_8
.LBB12_6:                               ;   in Loop: Header=BB12_8 Depth=1
	s_add_i32 s27, s27, 1
	s_delay_alu instid0(SALU_CYCLE_1)
	s_cmp_ge_i32 s27, s24
	s_cselect_b32 s22, -1, 0
.LBB12_7:                               ;   in Loop: Header=BB12_8 Depth=1
	s_delay_alu instid0(VALU_DEP_2)
	v_dual_mov_b32 v3, v11 :: v_dual_mov_b32 v4, v12
	v_dual_mov_b32 v5, v9 :: v_dual_mov_b32 v6, v10
	s_and_not1_b32 vcc_lo, exec_lo, s22
	s_cbranch_vccz .LBB12_47
.LBB12_8:                               ; =>This Loop Header: Depth=1
                                        ;     Child Loop BB12_44 Depth 2
                                        ;       Child Loop BB12_45 Depth 3
	s_sub_i32 s22, s27, s17
	s_delay_alu instid0(SALU_CYCLE_1) | instskip(NEXT) | instid1(SALU_CYCLE_1)
	s_and_b32 s22, s22, 63
	s_cmp_lg_u32 s22, 0
	s_cbranch_scc1 .LBB12_12
; %bb.9:                                ;   in Loop: Header=BB12_8 Depth=1
	s_sub_i32 s23, s24, s27
	v_mov_b32_e32 v7, 0
	v_dual_mov_b32 v8, 0xbff00000 :: v_dual_mov_b32 v1, -1
	v_cmp_gt_u32_e32 vcc_lo, s23, v0
	s_and_saveexec_b32 s23, vcc_lo
	s_cbranch_execz .LBB12_11
; %bb.10:                               ;   in Loop: Header=BB12_8 Depth=1
	v_add_nc_u32_e32 v1, s27, v0
	s_delay_alu instid0(VALU_DEP_1) | instskip(SKIP_2) | instid1(VALU_DEP_2)
	v_lshlrev_b64 v[7:8], 2, v[1:2]
	v_lshlrev_b64 v[9:10], 3, v[1:2]
	s_waitcnt lgkmcnt(0)
	v_add_co_u32 v7, vcc_lo, s12, v7
	s_delay_alu instid0(VALU_DEP_3)
	v_add_co_ci_u32_e32 v8, vcc_lo, s13, v8, vcc_lo
	global_load_b32 v1, v[7:8], off
	v_add_co_u32 v7, vcc_lo, s14, v9
	v_add_co_ci_u32_e32 v8, vcc_lo, s15, v10, vcc_lo
	global_load_b64 v[7:8], v[7:8], off
	s_waitcnt vmcnt(1)
	v_subrev_nc_u32_e32 v1, s4, v1
.LBB12_11:                              ;   in Loop: Header=BB12_8 Depth=1
	s_or_b32 exec_lo, exec_lo, s23
	ds_store_b32 v15, v1
	s_waitcnt vmcnt(0)
	ds_store_b64 v16, v[7:8]
.LBB12_12:                              ;   in Loop: Header=BB12_8 Depth=1
	s_lshl_b32 s23, s22, 3
	s_waitcnt lgkmcnt(0)
	v_mov_b32_e32 v1, s23
	s_waitcnt_vscnt null, 0x0
	s_barrier
	buffer_gl0_inv
	s_lshl_b32 s22, s22, 2
	ds_load_b64 v[7:8], v1
	v_mov_b32_e32 v1, s22
	ds_load_b32 v1, v1 offset:512
	s_waitcnt lgkmcnt(1)
	v_cmp_neq_f64_e32 vcc_lo, 0, v[7:8]
	s_waitcnt lgkmcnt(0)
	v_readfirstlane_b32 s28, v1
	s_delay_alu instid0(VALU_DEP_1) | instskip(SKIP_1) | instid1(SALU_CYCLE_1)
	s_cmp_lg_u32 s28, s16
	s_cselect_b32 s22, -1, 0
	s_or_b32 s22, s25, s22
	s_delay_alu instid0(SALU_CYCLE_1) | instskip(SKIP_3) | instid1(SALU_CYCLE_1)
	s_or_b32 vcc_lo, vcc_lo, s22
	v_cndmask_b32_e32 v8, 0x3ff00000, v8, vcc_lo
	v_cndmask_b32_e32 v7, 0, v7, vcc_lo
	s_or_b32 s22, s0, vcc_lo
	s_xor_b32 s23, s22, -1
	s_delay_alu instid0(SALU_CYCLE_1)
	s_and_saveexec_b32 s22, s23
	s_cbranch_execz .LBB12_16
; %bb.13:                               ;   in Loop: Header=BB12_8 Depth=1
	v_mbcnt_lo_u32_b32 v1, exec_lo, 0
	s_mov_b32 s23, exec_lo
	s_delay_alu instid0(VALU_DEP_1)
	v_cmpx_eq_u32_e32 0, v1
	s_cbranch_execz .LBB12_15
; %bb.14:                               ;   in Loop: Header=BB12_8 Depth=1
	v_mov_b32_e32 v1, s26
	global_atomic_min_i32 v2, v1, s[20:21]
.LBB12_15:                              ;   in Loop: Header=BB12_8 Depth=1
	s_or_b32 exec_lo, exec_lo, s23
	v_mov_b32_e32 v7, 0
	v_mov_b32_e32 v8, 0x3ff00000
.LBB12_16:                              ;   in Loop: Header=BB12_8 Depth=1
	s_or_b32 exec_lo, exec_lo, s22
	s_cmp_lt_i32 s5, 1
	s_mov_b32 s22, 0
	s_cbranch_scc1 .LBB12_21
; %bb.17:                               ;   in Loop: Header=BB12_8 Depth=1
	s_cmp_eq_u32 s5, 1
	s_cbranch_scc0 .LBB12_22
; %bb.18:                               ;   in Loop: Header=BB12_8 Depth=1
	v_dual_mov_b32 v10, v6 :: v_dual_mov_b32 v9, v5
	s_cmp_ge_i32 s28, s16
	s_mov_b32 s23, 0
	s_cbranch_scc0 .LBB12_24
; %bb.19:                               ;   in Loop: Header=BB12_8 Depth=1
	s_cmp_eq_u32 s28, s16
	s_cbranch_scc0 .LBB12_23
; %bb.20:                               ;   in Loop: Header=BB12_8 Depth=1
	v_div_scale_f64 v[9:10], null, v[7:8], v[7:8], 1.0
	v_div_scale_f64 v[19:20], vcc_lo, 1.0, v[7:8], 1.0
	s_delay_alu instid0(VALU_DEP_2) | instskip(SKIP_2) | instid1(VALU_DEP_1)
	v_rcp_f64_e32 v[11:12], v[9:10]
	s_waitcnt_depctr 0xfff
	v_fma_f64 v[17:18], -v[9:10], v[11:12], 1.0
	v_fma_f64 v[11:12], v[11:12], v[17:18], v[11:12]
	s_delay_alu instid0(VALU_DEP_1) | instskip(NEXT) | instid1(VALU_DEP_1)
	v_fma_f64 v[17:18], -v[9:10], v[11:12], 1.0
	v_fma_f64 v[11:12], v[11:12], v[17:18], v[11:12]
	s_delay_alu instid0(VALU_DEP_1) | instskip(NEXT) | instid1(VALU_DEP_1)
	v_mul_f64 v[17:18], v[19:20], v[11:12]
	v_fma_f64 v[9:10], -v[9:10], v[17:18], v[19:20]
	s_delay_alu instid0(VALU_DEP_1) | instskip(NEXT) | instid1(VALU_DEP_1)
	v_div_fmas_f64 v[9:10], v[9:10], v[11:12], v[17:18]
	v_div_fixup_f64 v[9:10], v[9:10], v[7:8], 1.0
	s_delay_alu instid0(VALU_DEP_1) | instskip(NEXT) | instid1(VALU_DEP_2)
	v_cndmask_b32_e64 v10, v6, v10, s1
	v_cndmask_b32_e64 v9, v5, v9, s1
	s_branch .LBB12_24
.LBB12_21:                              ;   in Loop: Header=BB12_8 Depth=1
	s_mov_b32 s23, 0
                                        ; implicit-def: $vgpr11_vgpr12
                                        ; implicit-def: $vgpr9_vgpr10
                                        ; implicit-def: $sgpr29
	s_cbranch_execnz .LBB12_25
	s_branch .LBB12_27
.LBB12_22:                              ;   in Loop: Header=BB12_8 Depth=1
	s_mov_b32 s23, -1
                                        ; implicit-def: $vgpr11_vgpr12
                                        ; implicit-def: $vgpr9_vgpr10
                                        ; implicit-def: $sgpr29
	s_branch .LBB12_27
.LBB12_23:                              ;   in Loop: Header=BB12_8 Depth=1
	s_mov_b32 s23, -1
                                        ; implicit-def: $vgpr9_vgpr10
.LBB12_24:                              ;   in Loop: Header=BB12_8 Depth=1
	v_dual_mov_b32 v12, v4 :: v_dual_mov_b32 v11, v3
	s_mov_b32 s29, 4
	s_branch .LBB12_27
.LBB12_25:                              ;   in Loop: Header=BB12_8 Depth=1
	s_cmp_eq_u32 s5, 0
	s_cbranch_scc1 .LBB12_31
; %bb.26:                               ;   in Loop: Header=BB12_8 Depth=1
	s_mov_b32 s23, -1
                                        ; implicit-def: $vgpr11_vgpr12
                                        ; implicit-def: $vgpr9_vgpr10
                                        ; implicit-def: $sgpr29
.LBB12_27:                              ;   in Loop: Header=BB12_8 Depth=1
	s_delay_alu instid0(SALU_CYCLE_1)
	s_and_b32 vcc_lo, exec_lo, s23
	s_cbranch_vccnz .LBB12_34
.LBB12_28:                              ;   in Loop: Header=BB12_8 Depth=1
	s_and_b32 vcc_lo, exec_lo, s22
	s_cbranch_vccnz .LBB12_39
.LBB12_29:                              ;   in Loop: Header=BB12_8 Depth=1
	s_cmp_gt_i32 s29, 3
	s_mov_b32 s22, -1
	s_cbranch_scc1 .LBB12_40
.LBB12_30:                              ;   in Loop: Header=BB12_8 Depth=1
	s_cmp_eq_u32 s29, 0
	s_cselect_b32 s23, -1, 0
	s_delay_alu instid0(SALU_CYCLE_1)
	s_and_not1_b32 vcc_lo, exec_lo, s23
	s_cbranch_vccz .LBB12_6
	s_branch .LBB12_41
.LBB12_31:                              ;   in Loop: Header=BB12_8 Depth=1
	s_cmp_le_i32 s28, s16
	s_mov_b32 s23, 0
	s_cbranch_scc0 .LBB12_33
; %bb.32:                               ;   in Loop: Header=BB12_8 Depth=1
	s_cmp_lg_u32 s28, s16
	s_mov_b32 s22, -1
	s_cselect_b32 s23, -1, 0
.LBB12_33:                              ;   in Loop: Header=BB12_8 Depth=1
	v_dual_mov_b32 v12, v4 :: v_dual_mov_b32 v11, v3
	v_dual_mov_b32 v10, v6 :: v_dual_mov_b32 v9, v5
	s_mov_b32 s29, 2
	s_and_b32 vcc_lo, exec_lo, s23
	s_cbranch_vccz .LBB12_28
.LBB12_34:                              ;   in Loop: Header=BB12_8 Depth=1
	s_and_saveexec_b32 s29, s3
	s_cbranch_execz .LBB12_36
; %bb.35:                               ;   in Loop: Header=BB12_8 Depth=1
	s_add_i32 s22, s28, s7
	s_delay_alu instid0(SALU_CYCLE_1) | instskip(NEXT) | instid1(SALU_CYCLE_1)
	s_ashr_i32 s23, s22, 31
	s_lshl_b64 s[22:23], s[22:23], 2
	s_delay_alu instid0(SALU_CYCLE_1)
	s_add_u32 s22, s10, s22
	s_addc_u32 s23, s11, s23
	global_load_b32 v1, v2, s[22:23] glc
	s_waitcnt vmcnt(0)
	v_cmp_ne_u32_e32 vcc_lo, 0, v1
	s_cbranch_vccz .LBB12_42
.LBB12_36:                              ;   in Loop: Header=BB12_8 Depth=1
	s_or_b32 exec_lo, exec_lo, s29
	v_mov_b32_e32 v11, 0
	v_mov_b32_e32 v12, 0
	s_waitcnt_vscnt null, 0x0
	s_barrier
	buffer_gl0_inv
	buffer_gl1_inv
	buffer_gl0_inv
	s_and_saveexec_b32 s22, s2
	s_cbranch_execz .LBB12_38
; %bb.37:                               ;   in Loop: Header=BB12_8 Depth=1
	s_mul_i32 s23, s28, s9
	s_mul_hi_u32 s29, s28, s8
	s_ashr_i32 s30, s28, 31
	s_add_i32 s23, s29, s23
	s_mul_i32 s30, s30, s8
	s_mul_i32 s28, s28, s8
	s_add_i32 s29, s23, s30
	s_delay_alu instid0(SALU_CYCLE_1) | instskip(NEXT) | instid1(SALU_CYCLE_1)
	s_lshl_b64 s[28:29], s[28:29], 3
	v_add_co_u32 v9, vcc_lo, v13, s28
	v_add_co_ci_u32_e32 v10, vcc_lo, s29, v14, vcc_lo
	global_load_b64 v[9:10], v[9:10], off
	s_waitcnt vmcnt(0)
	v_fma_f64 v[11:12], -v[7:8], v[9:10], v[3:4]
.LBB12_38:                              ;   in Loop: Header=BB12_8 Depth=1
	s_or_b32 exec_lo, exec_lo, s22
	v_dual_mov_b32 v10, v6 :: v_dual_mov_b32 v9, v5
	s_mov_b32 s29, 0
	s_branch .LBB12_29
.LBB12_39:                              ;   in Loop: Header=BB12_8 Depth=1
	v_div_scale_f64 v[9:10], null, v[7:8], v[7:8], 1.0
	v_div_scale_f64 v[19:20], vcc_lo, 1.0, v[7:8], 1.0
	s_mov_b32 s29, 2
	s_delay_alu instid0(VALU_DEP_2) | instskip(SKIP_2) | instid1(VALU_DEP_1)
	v_rcp_f64_e32 v[11:12], v[9:10]
	s_waitcnt_depctr 0xfff
	v_fma_f64 v[17:18], -v[9:10], v[11:12], 1.0
	v_fma_f64 v[11:12], v[11:12], v[17:18], v[11:12]
	s_delay_alu instid0(VALU_DEP_1) | instskip(NEXT) | instid1(VALU_DEP_1)
	v_fma_f64 v[17:18], -v[9:10], v[11:12], 1.0
	v_fma_f64 v[11:12], v[11:12], v[17:18], v[11:12]
	s_delay_alu instid0(VALU_DEP_1) | instskip(NEXT) | instid1(VALU_DEP_1)
	v_mul_f64 v[17:18], v[19:20], v[11:12]
	v_fma_f64 v[9:10], -v[9:10], v[17:18], v[19:20]
	s_delay_alu instid0(VALU_DEP_1) | instskip(SKIP_1) | instid1(VALU_DEP_2)
	v_div_fmas_f64 v[9:10], v[9:10], v[11:12], v[17:18]
	v_dual_mov_b32 v12, v4 :: v_dual_mov_b32 v11, v3
	v_div_fixup_f64 v[7:8], v[9:10], v[7:8], 1.0
	s_delay_alu instid0(VALU_DEP_1) | instskip(NEXT) | instid1(VALU_DEP_2)
	v_cndmask_b32_e64 v10, v6, v8, s1
	v_cndmask_b32_e64 v9, v5, v7, s1
	s_cmp_gt_i32 s29, 3
	s_mov_b32 s22, -1
	s_cbranch_scc0 .LBB12_30
.LBB12_40:                              ;   in Loop: Header=BB12_8 Depth=1
	s_branch .LBB12_6
.LBB12_41:                              ;   in Loop: Header=BB12_8 Depth=1
                                        ; implicit-def: $sgpr27
	s_branch .LBB12_7
.LBB12_42:                              ;   in Loop: Header=BB12_8 Depth=1
	s_mov_b32 s30, 0
	s_branch .LBB12_44
	.p2align	6
.LBB12_43:                              ;   in Loop: Header=BB12_44 Depth=2
	global_load_b32 v1, v2, s[22:23] glc
	s_cmpk_lt_u32 s30, 0xf43
	s_cselect_b32 s31, -1, 0
	s_delay_alu instid0(SALU_CYCLE_1)
	s_cmp_lg_u32 s31, 0
	s_addc_u32 s30, s30, 0
	s_waitcnt vmcnt(0)
	v_cmp_ne_u32_e32 vcc_lo, 0, v1
	s_cbranch_vccnz .LBB12_36
.LBB12_44:                              ;   Parent Loop BB12_8 Depth=1
                                        ; =>  This Loop Header: Depth=2
                                        ;       Child Loop BB12_45 Depth 3
	s_cmp_eq_u32 s30, 0
	s_mov_b32 s31, s30
	s_cbranch_scc1 .LBB12_43
.LBB12_45:                              ;   Parent Loop BB12_8 Depth=1
                                        ;     Parent Loop BB12_44 Depth=2
                                        ; =>    This Inner Loop Header: Depth=3
	s_add_i32 s31, s31, -1
	s_sleep 1
	s_cmp_eq_u32 s31, 0
	s_cbranch_scc0 .LBB12_45
	s_branch .LBB12_43
.LBB12_46:
	v_dual_mov_b32 v12, v4 :: v_dual_mov_b32 v11, v3
.LBB12_47:
	s_and_saveexec_b32 s0, s2
	s_cbranch_execz .LBB12_49
; %bb.48:
	s_delay_alu instid0(VALU_DEP_1) | instskip(SKIP_3) | instid1(VALU_DEP_1)
	v_mul_f64 v[1:2], v[9:10], v[11:12]
	s_cmp_eq_u32 s6, 0
	s_cselect_b32 vcc_lo, -1, 0
	s_lshl_b64 s[2:3], s[18:19], 3
	v_dual_cndmask_b32 v2, v12, v2 :: v_dual_cndmask_b32 v1, v11, v1
	v_add_co_u32 v3, vcc_lo, v13, s2
	v_add_co_ci_u32_e32 v4, vcc_lo, s3, v14, vcc_lo
	global_store_b64 v[3:4], v[1:2], off
.LBB12_49:
	s_or_b32 exec_lo, exec_lo, s0
	s_waitcnt_vscnt null, 0x0
	buffer_gl1_inv
	buffer_gl0_inv
	s_barrier
	buffer_gl0_inv
	s_mov_b32 s0, exec_lo
	v_cmpx_eq_u32_e32 0, v0
	s_cbranch_execz .LBB12_51
; %bb.50:
	s_add_i32 s0, s16, s7
	v_dual_mov_b32 v0, 0 :: v_dual_mov_b32 v1, 1
	s_ashr_i32 s1, s0, 31
	s_delay_alu instid0(SALU_CYCLE_1) | instskip(NEXT) | instid1(SALU_CYCLE_1)
	s_lshl_b64 s[0:1], s[0:1], 2
	s_add_u32 s0, s10, s0
	s_addc_u32 s1, s11, s1
	global_store_b32 v0, v1, s[0:1]
.LBB12_51:
	s_nop 0
	s_sendmsg sendmsg(MSG_DEALLOC_VGPRS)
	s_endpgm
	.section	.rodata,"a",@progbits
	.p2align	6, 0x0
	.amdhsa_kernel _ZN9rocsparseL5csrsmILj64ELj64ELb1EiidEEv20rocsparse_operation_T3_S2_NS_24const_host_device_scalarIT4_EEPKT2_PKS2_PKS4_PS4_lPiSA_PS2_21rocsparse_index_base_20rocsparse_fill_mode_20rocsparse_diag_type_b
		.amdhsa_group_segment_fixed_size 768
		.amdhsa_private_segment_fixed_size 0
		.amdhsa_kernarg_size 104
		.amdhsa_user_sgpr_count 15
		.amdhsa_user_sgpr_dispatch_ptr 0
		.amdhsa_user_sgpr_queue_ptr 0
		.amdhsa_user_sgpr_kernarg_segment_ptr 1
		.amdhsa_user_sgpr_dispatch_id 0
		.amdhsa_user_sgpr_private_segment_size 0
		.amdhsa_wavefront_size32 1
		.amdhsa_uses_dynamic_stack 0
		.amdhsa_enable_private_segment 0
		.amdhsa_system_sgpr_workgroup_id_x 1
		.amdhsa_system_sgpr_workgroup_id_y 0
		.amdhsa_system_sgpr_workgroup_id_z 0
		.amdhsa_system_sgpr_workgroup_info 0
		.amdhsa_system_vgpr_workitem_id 0
		.amdhsa_next_free_vgpr 21
		.amdhsa_next_free_sgpr 32
		.amdhsa_reserve_vcc 1
		.amdhsa_float_round_mode_32 0
		.amdhsa_float_round_mode_16_64 0
		.amdhsa_float_denorm_mode_32 3
		.amdhsa_float_denorm_mode_16_64 3
		.amdhsa_dx10_clamp 1
		.amdhsa_ieee_mode 1
		.amdhsa_fp16_overflow 0
		.amdhsa_workgroup_processor_mode 1
		.amdhsa_memory_ordered 1
		.amdhsa_forward_progress 0
		.amdhsa_shared_vgpr_count 0
		.amdhsa_exception_fp_ieee_invalid_op 0
		.amdhsa_exception_fp_denorm_src 0
		.amdhsa_exception_fp_ieee_div_zero 0
		.amdhsa_exception_fp_ieee_overflow 0
		.amdhsa_exception_fp_ieee_underflow 0
		.amdhsa_exception_fp_ieee_inexact 0
		.amdhsa_exception_int_div_zero 0
	.end_amdhsa_kernel
	.section	.text._ZN9rocsparseL5csrsmILj64ELj64ELb1EiidEEv20rocsparse_operation_T3_S2_NS_24const_host_device_scalarIT4_EEPKT2_PKS2_PKS4_PS4_lPiSA_PS2_21rocsparse_index_base_20rocsparse_fill_mode_20rocsparse_diag_type_b,"axG",@progbits,_ZN9rocsparseL5csrsmILj64ELj64ELb1EiidEEv20rocsparse_operation_T3_S2_NS_24const_host_device_scalarIT4_EEPKT2_PKS2_PKS4_PS4_lPiSA_PS2_21rocsparse_index_base_20rocsparse_fill_mode_20rocsparse_diag_type_b,comdat
.Lfunc_end12:
	.size	_ZN9rocsparseL5csrsmILj64ELj64ELb1EiidEEv20rocsparse_operation_T3_S2_NS_24const_host_device_scalarIT4_EEPKT2_PKS2_PKS4_PS4_lPiSA_PS2_21rocsparse_index_base_20rocsparse_fill_mode_20rocsparse_diag_type_b, .Lfunc_end12-_ZN9rocsparseL5csrsmILj64ELj64ELb1EiidEEv20rocsparse_operation_T3_S2_NS_24const_host_device_scalarIT4_EEPKT2_PKS2_PKS4_PS4_lPiSA_PS2_21rocsparse_index_base_20rocsparse_fill_mode_20rocsparse_diag_type_b
                                        ; -- End function
	.section	.AMDGPU.csdata,"",@progbits
; Kernel info:
; codeLenInByte = 1880
; NumSgprs: 34
; NumVgprs: 21
; ScratchSize: 0
; MemoryBound: 0
; FloatMode: 240
; IeeeMode: 1
; LDSByteSize: 768 bytes/workgroup (compile time only)
; SGPRBlocks: 4
; VGPRBlocks: 2
; NumSGPRsForWavesPerEU: 34
; NumVGPRsForWavesPerEU: 21
; Occupancy: 16
; WaveLimiterHint : 1
; COMPUTE_PGM_RSRC2:SCRATCH_EN: 0
; COMPUTE_PGM_RSRC2:USER_SGPR: 15
; COMPUTE_PGM_RSRC2:TRAP_HANDLER: 0
; COMPUTE_PGM_RSRC2:TGID_X_EN: 1
; COMPUTE_PGM_RSRC2:TGID_Y_EN: 0
; COMPUTE_PGM_RSRC2:TGID_Z_EN: 0
; COMPUTE_PGM_RSRC2:TIDIG_COMP_CNT: 0
	.section	.text._ZN9rocsparseL5csrsmILj64ELj64ELb0EiidEEv20rocsparse_operation_T3_S2_NS_24const_host_device_scalarIT4_EEPKT2_PKS2_PKS4_PS4_lPiSA_PS2_21rocsparse_index_base_20rocsparse_fill_mode_20rocsparse_diag_type_b,"axG",@progbits,_ZN9rocsparseL5csrsmILj64ELj64ELb0EiidEEv20rocsparse_operation_T3_S2_NS_24const_host_device_scalarIT4_EEPKT2_PKS2_PKS4_PS4_lPiSA_PS2_21rocsparse_index_base_20rocsparse_fill_mode_20rocsparse_diag_type_b,comdat
	.globl	_ZN9rocsparseL5csrsmILj64ELj64ELb0EiidEEv20rocsparse_operation_T3_S2_NS_24const_host_device_scalarIT4_EEPKT2_PKS2_PKS4_PS4_lPiSA_PS2_21rocsparse_index_base_20rocsparse_fill_mode_20rocsparse_diag_type_b ; -- Begin function _ZN9rocsparseL5csrsmILj64ELj64ELb0EiidEEv20rocsparse_operation_T3_S2_NS_24const_host_device_scalarIT4_EEPKT2_PKS2_PKS4_PS4_lPiSA_PS2_21rocsparse_index_base_20rocsparse_fill_mode_20rocsparse_diag_type_b
	.p2align	8
	.type	_ZN9rocsparseL5csrsmILj64ELj64ELb0EiidEEv20rocsparse_operation_T3_S2_NS_24const_host_device_scalarIT4_EEPKT2_PKS2_PKS4_PS4_lPiSA_PS2_21rocsparse_index_base_20rocsparse_fill_mode_20rocsparse_diag_type_b,@function
_ZN9rocsparseL5csrsmILj64ELj64ELb0EiidEEv20rocsparse_operation_T3_S2_NS_24const_host_device_scalarIT4_EEPKT2_PKS2_PKS4_PS4_lPiSA_PS2_21rocsparse_index_base_20rocsparse_fill_mode_20rocsparse_diag_type_b: ; @_ZN9rocsparseL5csrsmILj64ELj64ELb0EiidEEv20rocsparse_operation_T3_S2_NS_24const_host_device_scalarIT4_EEPKT2_PKS2_PKS4_PS4_lPiSA_PS2_21rocsparse_index_base_20rocsparse_fill_mode_20rocsparse_diag_type_b
; %bb.0:
	s_clause 0x3
	s_load_b128 s[4:7], s[0:1], 0x58
	s_load_b128 s[16:19], s[0:1], 0x10
	s_load_b64 s[2:3], s[0:1], 0x48
	s_load_b64 s[12:13], s[0:1], 0x30
	s_waitcnt lgkmcnt(0)
	s_bitcmp1_b32 s7, 0
	v_dual_mov_b32 v1, s16 :: v_dual_mov_b32 v2, s17
	s_cselect_b32 s7, -1, 0
	s_delay_alu instid0(SALU_CYCLE_1)
	s_and_b32 vcc_lo, exec_lo, s7
	s_cbranch_vccnz .LBB13_2
; %bb.1:
	v_dual_mov_b32 v1, s16 :: v_dual_mov_b32 v2, s17
	flat_load_b64 v[1:2], v[1:2]
.LBB13_2:
	s_load_b64 s[20:21], s[0:1], 0x4
	s_waitcnt lgkmcnt(0)
	v_cvt_f32_u32_e32 v3, s20
	s_sub_i32 s8, 0, s20
	s_delay_alu instid0(VALU_DEP_1) | instskip(SKIP_2) | instid1(VALU_DEP_1)
	v_rcp_iflag_f32_e32 v3, v3
	s_waitcnt_depctr 0xfff
	v_mul_f32_e32 v3, 0x4f7ffffe, v3
	v_cvt_u32_f32_e32 v3, v3
	s_delay_alu instid0(VALU_DEP_1) | instskip(SKIP_2) | instid1(VALU_DEP_3)
	v_readfirstlane_b32 s7, v3
	v_mov_b32_e32 v3, 0
	v_mov_b32_e32 v4, 0
	s_mul_i32 s8, s8, s7
	s_delay_alu instid0(SALU_CYCLE_1) | instskip(NEXT) | instid1(SALU_CYCLE_1)
	s_mul_hi_u32 s8, s7, s8
	s_add_i32 s7, s7, s8
	s_delay_alu instid0(SALU_CYCLE_1) | instskip(NEXT) | instid1(SALU_CYCLE_1)
	s_mul_hi_u32 s7, s15, s7
	s_mul_i32 s8, s7, s20
	s_add_i32 s9, s7, 1
	s_sub_i32 s8, s15, s8
	s_delay_alu instid0(SALU_CYCLE_1)
	s_sub_i32 s10, s8, s20
	s_cmp_ge_u32 s8, s20
	s_cselect_b32 s7, s9, s7
	s_cselect_b32 s8, s10, s8
	s_add_i32 s9, s7, 1
	s_cmp_ge_u32 s8, s20
	s_cselect_b32 s14, s9, s7
	s_delay_alu instid0(SALU_CYCLE_1) | instskip(SKIP_2) | instid1(SALU_CYCLE_1)
	s_mul_i32 s7, s14, s20
	v_lshl_or_b32 v5, s14, 6, v0
	s_sub_i32 s8, s15, s7
	s_ashr_i32 s9, s8, 31
	s_delay_alu instid0(VALU_DEP_1) | instskip(SKIP_1) | instid1(SALU_CYCLE_1)
	v_ashrrev_i32_e32 v6, 31, v5
	s_lshl_b64 s[8:9], s[8:9], 2
	s_add_u32 s2, s2, s8
	s_addc_u32 s3, s3, s9
	s_load_b32 s16, s[2:3], 0x0
	s_load_b128 s[8:11], s[0:1], 0x38
	s_waitcnt lgkmcnt(0)
	s_ashr_i32 s17, s16, 31
	s_delay_alu instid0(SALU_CYCLE_1)
	s_lshl_b64 s[2:3], s[16:17], 2
	s_mul_i32 s14, s17, s8
	s_add_u32 s2, s18, s2
	s_addc_u32 s3, s19, s3
	s_mul_i32 s18, s16, s8
	s_load_b64 s[22:23], s[2:3], 0x0
	s_mul_i32 s2, s16, s9
	s_mul_hi_u32 s3, s16, s8
	s_delay_alu instid0(SALU_CYCLE_1) | instskip(SKIP_2) | instid1(VALU_DEP_1)
	s_add_i32 s3, s3, s2
	v_cmp_gt_i32_e64 s2, s21, v5
	s_add_i32 s19, s3, s14
	s_and_saveexec_b32 s3, s2
	s_cbranch_execz .LBB13_4
; %bb.3:
	v_add_co_u32 v3, vcc_lo, s18, v5
	v_add_co_ci_u32_e32 v4, vcc_lo, s19, v6, vcc_lo
	s_delay_alu instid0(VALU_DEP_1) | instskip(NEXT) | instid1(VALU_DEP_1)
	v_lshlrev_b64 v[3:4], 3, v[3:4]
	v_add_co_u32 v3, vcc_lo, s12, v3
	s_delay_alu instid0(VALU_DEP_2)
	v_add_co_ci_u32_e32 v4, vcc_lo, s13, v4, vcc_lo
	global_load_b64 v[3:4], v[3:4], off
	s_waitcnt vmcnt(0)
	v_mul_f64 v[3:4], v[1:2], v[3:4]
.LBB13_4:
	s_or_b32 exec_lo, exec_lo, s3
	s_waitcnt vmcnt(0)
	v_lshlrev_b64 v[1:2], 3, v[5:6]
	v_mov_b32_e32 v9, 0
	v_mov_b32_e32 v10, 0x3ff00000
	v_cmp_eq_u32_e64 s3, 0, v0
	s_waitcnt lgkmcnt(0)
	s_cmp_ge_i32 s22, s23
	v_add_co_u32 v13, vcc_lo, s12, v1
	v_add_co_ci_u32_e32 v14, vcc_lo, s13, v2, vcc_lo
	s_cbranch_scc1 .LBB13_43
; %bb.5:
	s_clause 0x1
	s_load_b64 s[20:21], s[0:1], 0x50
	s_load_b128 s[12:15], s[0:1], 0x20
	s_sub_i32 s17, s22, s4
	s_sub_i32 s24, s23, s4
	s_cmp_lg_u32 s6, 0
	v_dual_mov_b32 v5, 0 :: v_dual_lshlrev_b32 v16, 3, v0
	v_lshl_or_b32 v15, v0, 2, 0x200
	s_cselect_b32 s25, -1, 0
	v_cmp_ne_u32_e64 s0, 0, v0
	s_add_i32 s26, s16, s4
	v_mov_b32_e32 v6, 0x3ff00000
	v_mov_b32_e32 v2, 0
	s_cmp_eq_u32 s6, 0
	s_mov_b32 s27, s17
	s_cselect_b32 s1, -1, 0
	s_branch .LBB13_8
.LBB13_6:                               ;   in Loop: Header=BB13_8 Depth=1
	s_add_i32 s27, s27, 1
	s_delay_alu instid0(SALU_CYCLE_1)
	s_cmp_ge_i32 s27, s24
	s_cselect_b32 s22, -1, 0
.LBB13_7:                               ;   in Loop: Header=BB13_8 Depth=1
	s_delay_alu instid0(VALU_DEP_2)
	v_dual_mov_b32 v3, v11 :: v_dual_mov_b32 v4, v12
	v_dual_mov_b32 v5, v9 :: v_dual_mov_b32 v6, v10
	s_and_not1_b32 vcc_lo, exec_lo, s22
	s_cbranch_vccz .LBB13_44
.LBB13_8:                               ; =>This Loop Header: Depth=1
                                        ;     Child Loop BB13_36 Depth 2
	s_sub_i32 s22, s27, s17
	s_delay_alu instid0(SALU_CYCLE_1) | instskip(NEXT) | instid1(SALU_CYCLE_1)
	s_and_b32 s22, s22, 63
	s_cmp_lg_u32 s22, 0
	s_cbranch_scc1 .LBB13_12
; %bb.9:                                ;   in Loop: Header=BB13_8 Depth=1
	s_sub_i32 s23, s24, s27
	v_mov_b32_e32 v7, 0
	v_dual_mov_b32 v8, 0xbff00000 :: v_dual_mov_b32 v1, -1
	v_cmp_gt_u32_e32 vcc_lo, s23, v0
	s_and_saveexec_b32 s23, vcc_lo
	s_cbranch_execz .LBB13_11
; %bb.10:                               ;   in Loop: Header=BB13_8 Depth=1
	v_add_nc_u32_e32 v1, s27, v0
	s_delay_alu instid0(VALU_DEP_1) | instskip(SKIP_2) | instid1(VALU_DEP_2)
	v_lshlrev_b64 v[7:8], 2, v[1:2]
	v_lshlrev_b64 v[9:10], 3, v[1:2]
	s_waitcnt lgkmcnt(0)
	v_add_co_u32 v7, vcc_lo, s12, v7
	s_delay_alu instid0(VALU_DEP_3)
	v_add_co_ci_u32_e32 v8, vcc_lo, s13, v8, vcc_lo
	global_load_b32 v1, v[7:8], off
	v_add_co_u32 v7, vcc_lo, s14, v9
	v_add_co_ci_u32_e32 v8, vcc_lo, s15, v10, vcc_lo
	global_load_b64 v[7:8], v[7:8], off
	s_waitcnt vmcnt(1)
	v_subrev_nc_u32_e32 v1, s4, v1
.LBB13_11:                              ;   in Loop: Header=BB13_8 Depth=1
	s_or_b32 exec_lo, exec_lo, s23
	ds_store_b32 v15, v1
	s_waitcnt vmcnt(0)
	ds_store_b64 v16, v[7:8]
.LBB13_12:                              ;   in Loop: Header=BB13_8 Depth=1
	s_lshl_b32 s23, s22, 3
	s_waitcnt lgkmcnt(0)
	v_mov_b32_e32 v1, s23
	s_waitcnt_vscnt null, 0x0
	s_barrier
	buffer_gl0_inv
	s_lshl_b32 s22, s22, 2
	ds_load_b64 v[7:8], v1
	v_mov_b32_e32 v1, s22
	ds_load_b32 v1, v1 offset:512
	s_waitcnt lgkmcnt(1)
	v_cmp_neq_f64_e32 vcc_lo, 0, v[7:8]
	s_waitcnt lgkmcnt(0)
	v_readfirstlane_b32 s28, v1
	s_delay_alu instid0(VALU_DEP_1) | instskip(SKIP_1) | instid1(SALU_CYCLE_1)
	s_cmp_lg_u32 s28, s16
	s_cselect_b32 s22, -1, 0
	s_or_b32 s22, s25, s22
	s_delay_alu instid0(SALU_CYCLE_1) | instskip(SKIP_3) | instid1(SALU_CYCLE_1)
	s_or_b32 vcc_lo, vcc_lo, s22
	v_cndmask_b32_e32 v8, 0x3ff00000, v8, vcc_lo
	v_cndmask_b32_e32 v7, 0, v7, vcc_lo
	s_or_b32 s22, s0, vcc_lo
	s_xor_b32 s23, s22, -1
	s_delay_alu instid0(SALU_CYCLE_1)
	s_and_saveexec_b32 s22, s23
	s_cbranch_execz .LBB13_16
; %bb.13:                               ;   in Loop: Header=BB13_8 Depth=1
	v_mbcnt_lo_u32_b32 v1, exec_lo, 0
	s_mov_b32 s23, exec_lo
	s_delay_alu instid0(VALU_DEP_1)
	v_cmpx_eq_u32_e32 0, v1
	s_cbranch_execz .LBB13_15
; %bb.14:                               ;   in Loop: Header=BB13_8 Depth=1
	v_mov_b32_e32 v1, s26
	global_atomic_min_i32 v2, v1, s[20:21]
.LBB13_15:                              ;   in Loop: Header=BB13_8 Depth=1
	s_or_b32 exec_lo, exec_lo, s23
	v_mov_b32_e32 v7, 0
	v_mov_b32_e32 v8, 0x3ff00000
.LBB13_16:                              ;   in Loop: Header=BB13_8 Depth=1
	s_or_b32 exec_lo, exec_lo, s22
	s_cmp_lt_i32 s5, 1
	s_mov_b32 s22, 0
	s_cbranch_scc1 .LBB13_21
; %bb.17:                               ;   in Loop: Header=BB13_8 Depth=1
	s_cmp_eq_u32 s5, 1
	s_cbranch_scc0 .LBB13_22
; %bb.18:                               ;   in Loop: Header=BB13_8 Depth=1
	v_dual_mov_b32 v10, v6 :: v_dual_mov_b32 v9, v5
	s_cmp_ge_i32 s28, s16
	s_mov_b32 s23, 0
	s_cbranch_scc0 .LBB13_24
; %bb.19:                               ;   in Loop: Header=BB13_8 Depth=1
	s_cmp_eq_u32 s28, s16
	s_cbranch_scc0 .LBB13_23
; %bb.20:                               ;   in Loop: Header=BB13_8 Depth=1
	v_div_scale_f64 v[9:10], null, v[7:8], v[7:8], 1.0
	v_div_scale_f64 v[19:20], vcc_lo, 1.0, v[7:8], 1.0
	s_delay_alu instid0(VALU_DEP_2) | instskip(SKIP_2) | instid1(VALU_DEP_1)
	v_rcp_f64_e32 v[11:12], v[9:10]
	s_waitcnt_depctr 0xfff
	v_fma_f64 v[17:18], -v[9:10], v[11:12], 1.0
	v_fma_f64 v[11:12], v[11:12], v[17:18], v[11:12]
	s_delay_alu instid0(VALU_DEP_1) | instskip(NEXT) | instid1(VALU_DEP_1)
	v_fma_f64 v[17:18], -v[9:10], v[11:12], 1.0
	v_fma_f64 v[11:12], v[11:12], v[17:18], v[11:12]
	s_delay_alu instid0(VALU_DEP_1) | instskip(NEXT) | instid1(VALU_DEP_1)
	v_mul_f64 v[17:18], v[19:20], v[11:12]
	v_fma_f64 v[9:10], -v[9:10], v[17:18], v[19:20]
	s_delay_alu instid0(VALU_DEP_1) | instskip(NEXT) | instid1(VALU_DEP_1)
	v_div_fmas_f64 v[9:10], v[9:10], v[11:12], v[17:18]
	v_div_fixup_f64 v[9:10], v[9:10], v[7:8], 1.0
	s_delay_alu instid0(VALU_DEP_1) | instskip(NEXT) | instid1(VALU_DEP_2)
	v_cndmask_b32_e64 v10, v6, v10, s1
	v_cndmask_b32_e64 v9, v5, v9, s1
	s_branch .LBB13_24
.LBB13_21:                              ;   in Loop: Header=BB13_8 Depth=1
	s_mov_b32 s23, 0
                                        ; implicit-def: $vgpr11_vgpr12
                                        ; implicit-def: $vgpr9_vgpr10
                                        ; implicit-def: $sgpr29
	s_cbranch_execnz .LBB13_25
	s_branch .LBB13_27
.LBB13_22:                              ;   in Loop: Header=BB13_8 Depth=1
	s_mov_b32 s23, -1
                                        ; implicit-def: $vgpr11_vgpr12
                                        ; implicit-def: $vgpr9_vgpr10
                                        ; implicit-def: $sgpr29
	s_branch .LBB13_27
.LBB13_23:                              ;   in Loop: Header=BB13_8 Depth=1
	s_mov_b32 s23, -1
                                        ; implicit-def: $vgpr9_vgpr10
.LBB13_24:                              ;   in Loop: Header=BB13_8 Depth=1
	v_dual_mov_b32 v12, v4 :: v_dual_mov_b32 v11, v3
	s_mov_b32 s29, 4
	s_branch .LBB13_27
.LBB13_25:                              ;   in Loop: Header=BB13_8 Depth=1
	s_cmp_eq_u32 s5, 0
	s_cbranch_scc1 .LBB13_31
; %bb.26:                               ;   in Loop: Header=BB13_8 Depth=1
	s_mov_b32 s23, -1
                                        ; implicit-def: $vgpr11_vgpr12
                                        ; implicit-def: $vgpr9_vgpr10
                                        ; implicit-def: $sgpr29
.LBB13_27:                              ;   in Loop: Header=BB13_8 Depth=1
	s_delay_alu instid0(SALU_CYCLE_1)
	s_and_b32 vcc_lo, exec_lo, s23
	s_cbranch_vccnz .LBB13_34
.LBB13_28:                              ;   in Loop: Header=BB13_8 Depth=1
	s_and_b32 vcc_lo, exec_lo, s22
	s_cbranch_vccnz .LBB13_40
.LBB13_29:                              ;   in Loop: Header=BB13_8 Depth=1
	s_cmp_gt_i32 s29, 3
	s_mov_b32 s22, -1
	s_cbranch_scc1 .LBB13_41
.LBB13_30:                              ;   in Loop: Header=BB13_8 Depth=1
	s_cmp_eq_u32 s29, 0
	s_cselect_b32 s23, -1, 0
	s_delay_alu instid0(SALU_CYCLE_1)
	s_and_not1_b32 vcc_lo, exec_lo, s23
	s_cbranch_vccz .LBB13_6
	s_branch .LBB13_42
.LBB13_31:                              ;   in Loop: Header=BB13_8 Depth=1
	s_cmp_le_i32 s28, s16
	s_mov_b32 s23, 0
	s_cbranch_scc0 .LBB13_33
; %bb.32:                               ;   in Loop: Header=BB13_8 Depth=1
	s_cmp_lg_u32 s28, s16
	s_mov_b32 s22, -1
	s_cselect_b32 s23, -1, 0
.LBB13_33:                              ;   in Loop: Header=BB13_8 Depth=1
	v_dual_mov_b32 v12, v4 :: v_dual_mov_b32 v11, v3
	v_dual_mov_b32 v10, v6 :: v_dual_mov_b32 v9, v5
	s_mov_b32 s29, 2
	s_and_b32 vcc_lo, exec_lo, s23
	s_cbranch_vccz .LBB13_28
.LBB13_34:                              ;   in Loop: Header=BB13_8 Depth=1
	s_and_saveexec_b32 s29, s3
	s_cbranch_execz .LBB13_37
; %bb.35:                               ;   in Loop: Header=BB13_8 Depth=1
	s_add_i32 s22, s28, s7
	s_delay_alu instid0(SALU_CYCLE_1) | instskip(NEXT) | instid1(SALU_CYCLE_1)
	s_ashr_i32 s23, s22, 31
	s_lshl_b64 s[22:23], s[22:23], 2
	s_delay_alu instid0(SALU_CYCLE_1)
	s_add_u32 s22, s10, s22
	s_addc_u32 s23, s11, s23
	global_load_b32 v1, v2, s[22:23] glc
	s_waitcnt vmcnt(0)
	v_cmp_ne_u32_e32 vcc_lo, 0, v1
	s_cbranch_vccnz .LBB13_37
.LBB13_36:                              ;   Parent Loop BB13_8 Depth=1
                                        ; =>  This Inner Loop Header: Depth=2
	global_load_b32 v1, v2, s[22:23] glc
	s_waitcnt vmcnt(0)
	v_cmp_eq_u32_e32 vcc_lo, 0, v1
	s_cbranch_vccnz .LBB13_36
.LBB13_37:                              ;   in Loop: Header=BB13_8 Depth=1
	s_or_b32 exec_lo, exec_lo, s29
	v_mov_b32_e32 v11, 0
	v_mov_b32_e32 v12, 0
	s_waitcnt_vscnt null, 0x0
	s_barrier
	buffer_gl0_inv
	buffer_gl1_inv
	buffer_gl0_inv
	s_and_saveexec_b32 s22, s2
	s_cbranch_execz .LBB13_39
; %bb.38:                               ;   in Loop: Header=BB13_8 Depth=1
	s_mul_i32 s23, s28, s9
	s_mul_hi_u32 s29, s28, s8
	s_ashr_i32 s30, s28, 31
	s_add_i32 s23, s29, s23
	s_mul_i32 s30, s30, s8
	s_mul_i32 s28, s28, s8
	s_add_i32 s29, s23, s30
	s_delay_alu instid0(SALU_CYCLE_1) | instskip(NEXT) | instid1(SALU_CYCLE_1)
	s_lshl_b64 s[28:29], s[28:29], 3
	v_add_co_u32 v9, vcc_lo, v13, s28
	v_add_co_ci_u32_e32 v10, vcc_lo, s29, v14, vcc_lo
	global_load_b64 v[9:10], v[9:10], off
	s_waitcnt vmcnt(0)
	v_fma_f64 v[11:12], -v[7:8], v[9:10], v[3:4]
.LBB13_39:                              ;   in Loop: Header=BB13_8 Depth=1
	s_or_b32 exec_lo, exec_lo, s22
	v_dual_mov_b32 v10, v6 :: v_dual_mov_b32 v9, v5
	s_mov_b32 s29, 0
	s_branch .LBB13_29
.LBB13_40:                              ;   in Loop: Header=BB13_8 Depth=1
	v_div_scale_f64 v[9:10], null, v[7:8], v[7:8], 1.0
	v_div_scale_f64 v[19:20], vcc_lo, 1.0, v[7:8], 1.0
	s_mov_b32 s29, 2
	s_delay_alu instid0(VALU_DEP_2) | instskip(SKIP_2) | instid1(VALU_DEP_1)
	v_rcp_f64_e32 v[11:12], v[9:10]
	s_waitcnt_depctr 0xfff
	v_fma_f64 v[17:18], -v[9:10], v[11:12], 1.0
	v_fma_f64 v[11:12], v[11:12], v[17:18], v[11:12]
	s_delay_alu instid0(VALU_DEP_1) | instskip(NEXT) | instid1(VALU_DEP_1)
	v_fma_f64 v[17:18], -v[9:10], v[11:12], 1.0
	v_fma_f64 v[11:12], v[11:12], v[17:18], v[11:12]
	s_delay_alu instid0(VALU_DEP_1) | instskip(NEXT) | instid1(VALU_DEP_1)
	v_mul_f64 v[17:18], v[19:20], v[11:12]
	v_fma_f64 v[9:10], -v[9:10], v[17:18], v[19:20]
	s_delay_alu instid0(VALU_DEP_1) | instskip(SKIP_1) | instid1(VALU_DEP_2)
	v_div_fmas_f64 v[9:10], v[9:10], v[11:12], v[17:18]
	v_dual_mov_b32 v12, v4 :: v_dual_mov_b32 v11, v3
	v_div_fixup_f64 v[7:8], v[9:10], v[7:8], 1.0
	s_delay_alu instid0(VALU_DEP_1) | instskip(NEXT) | instid1(VALU_DEP_2)
	v_cndmask_b32_e64 v10, v6, v8, s1
	v_cndmask_b32_e64 v9, v5, v7, s1
	s_cmp_gt_i32 s29, 3
	s_mov_b32 s22, -1
	s_cbranch_scc0 .LBB13_30
.LBB13_41:                              ;   in Loop: Header=BB13_8 Depth=1
	s_branch .LBB13_6
.LBB13_42:                              ;   in Loop: Header=BB13_8 Depth=1
                                        ; implicit-def: $sgpr27
	s_branch .LBB13_7
.LBB13_43:
	v_dual_mov_b32 v12, v4 :: v_dual_mov_b32 v11, v3
.LBB13_44:
	s_and_saveexec_b32 s0, s2
	s_cbranch_execz .LBB13_46
; %bb.45:
	s_delay_alu instid0(VALU_DEP_1) | instskip(SKIP_3) | instid1(VALU_DEP_1)
	v_mul_f64 v[1:2], v[9:10], v[11:12]
	s_cmp_eq_u32 s6, 0
	s_cselect_b32 vcc_lo, -1, 0
	s_lshl_b64 s[2:3], s[18:19], 3
	v_dual_cndmask_b32 v2, v12, v2 :: v_dual_cndmask_b32 v1, v11, v1
	v_add_co_u32 v3, vcc_lo, v13, s2
	v_add_co_ci_u32_e32 v4, vcc_lo, s3, v14, vcc_lo
	global_store_b64 v[3:4], v[1:2], off
.LBB13_46:
	s_or_b32 exec_lo, exec_lo, s0
	s_waitcnt_vscnt null, 0x0
	buffer_gl1_inv
	buffer_gl0_inv
	s_barrier
	buffer_gl0_inv
	s_mov_b32 s0, exec_lo
	v_cmpx_eq_u32_e32 0, v0
	s_cbranch_execz .LBB13_48
; %bb.47:
	s_add_i32 s0, s16, s7
	v_dual_mov_b32 v0, 0 :: v_dual_mov_b32 v1, 1
	s_ashr_i32 s1, s0, 31
	s_delay_alu instid0(SALU_CYCLE_1) | instskip(NEXT) | instid1(SALU_CYCLE_1)
	s_lshl_b64 s[0:1], s[0:1], 2
	s_add_u32 s0, s10, s0
	s_addc_u32 s1, s11, s1
	global_store_b32 v0, v1, s[0:1]
.LBB13_48:
	s_nop 0
	s_sendmsg sendmsg(MSG_DEALLOC_VGPRS)
	s_endpgm
	.section	.rodata,"a",@progbits
	.p2align	6, 0x0
	.amdhsa_kernel _ZN9rocsparseL5csrsmILj64ELj64ELb0EiidEEv20rocsparse_operation_T3_S2_NS_24const_host_device_scalarIT4_EEPKT2_PKS2_PKS4_PS4_lPiSA_PS2_21rocsparse_index_base_20rocsparse_fill_mode_20rocsparse_diag_type_b
		.amdhsa_group_segment_fixed_size 768
		.amdhsa_private_segment_fixed_size 0
		.amdhsa_kernarg_size 104
		.amdhsa_user_sgpr_count 15
		.amdhsa_user_sgpr_dispatch_ptr 0
		.amdhsa_user_sgpr_queue_ptr 0
		.amdhsa_user_sgpr_kernarg_segment_ptr 1
		.amdhsa_user_sgpr_dispatch_id 0
		.amdhsa_user_sgpr_private_segment_size 0
		.amdhsa_wavefront_size32 1
		.amdhsa_uses_dynamic_stack 0
		.amdhsa_enable_private_segment 0
		.amdhsa_system_sgpr_workgroup_id_x 1
		.amdhsa_system_sgpr_workgroup_id_y 0
		.amdhsa_system_sgpr_workgroup_id_z 0
		.amdhsa_system_sgpr_workgroup_info 0
		.amdhsa_system_vgpr_workitem_id 0
		.amdhsa_next_free_vgpr 21
		.amdhsa_next_free_sgpr 31
		.amdhsa_reserve_vcc 1
		.amdhsa_float_round_mode_32 0
		.amdhsa_float_round_mode_16_64 0
		.amdhsa_float_denorm_mode_32 3
		.amdhsa_float_denorm_mode_16_64 3
		.amdhsa_dx10_clamp 1
		.amdhsa_ieee_mode 1
		.amdhsa_fp16_overflow 0
		.amdhsa_workgroup_processor_mode 1
		.amdhsa_memory_ordered 1
		.amdhsa_forward_progress 0
		.amdhsa_shared_vgpr_count 0
		.amdhsa_exception_fp_ieee_invalid_op 0
		.amdhsa_exception_fp_denorm_src 0
		.amdhsa_exception_fp_ieee_div_zero 0
		.amdhsa_exception_fp_ieee_overflow 0
		.amdhsa_exception_fp_ieee_underflow 0
		.amdhsa_exception_fp_ieee_inexact 0
		.amdhsa_exception_int_div_zero 0
	.end_amdhsa_kernel
	.section	.text._ZN9rocsparseL5csrsmILj64ELj64ELb0EiidEEv20rocsparse_operation_T3_S2_NS_24const_host_device_scalarIT4_EEPKT2_PKS2_PKS4_PS4_lPiSA_PS2_21rocsparse_index_base_20rocsparse_fill_mode_20rocsparse_diag_type_b,"axG",@progbits,_ZN9rocsparseL5csrsmILj64ELj64ELb0EiidEEv20rocsparse_operation_T3_S2_NS_24const_host_device_scalarIT4_EEPKT2_PKS2_PKS4_PS4_lPiSA_PS2_21rocsparse_index_base_20rocsparse_fill_mode_20rocsparse_diag_type_b,comdat
.Lfunc_end13:
	.size	_ZN9rocsparseL5csrsmILj64ELj64ELb0EiidEEv20rocsparse_operation_T3_S2_NS_24const_host_device_scalarIT4_EEPKT2_PKS2_PKS4_PS4_lPiSA_PS2_21rocsparse_index_base_20rocsparse_fill_mode_20rocsparse_diag_type_b, .Lfunc_end13-_ZN9rocsparseL5csrsmILj64ELj64ELb0EiidEEv20rocsparse_operation_T3_S2_NS_24const_host_device_scalarIT4_EEPKT2_PKS2_PKS4_PS4_lPiSA_PS2_21rocsparse_index_base_20rocsparse_fill_mode_20rocsparse_diag_type_b
                                        ; -- End function
	.section	.AMDGPU.csdata,"",@progbits
; Kernel info:
; codeLenInByte = 1820
; NumSgprs: 33
; NumVgprs: 21
; ScratchSize: 0
; MemoryBound: 0
; FloatMode: 240
; IeeeMode: 1
; LDSByteSize: 768 bytes/workgroup (compile time only)
; SGPRBlocks: 4
; VGPRBlocks: 2
; NumSGPRsForWavesPerEU: 33
; NumVGPRsForWavesPerEU: 21
; Occupancy: 16
; WaveLimiterHint : 1
; COMPUTE_PGM_RSRC2:SCRATCH_EN: 0
; COMPUTE_PGM_RSRC2:USER_SGPR: 15
; COMPUTE_PGM_RSRC2:TRAP_HANDLER: 0
; COMPUTE_PGM_RSRC2:TGID_X_EN: 1
; COMPUTE_PGM_RSRC2:TGID_Y_EN: 0
; COMPUTE_PGM_RSRC2:TGID_Z_EN: 0
; COMPUTE_PGM_RSRC2:TIDIG_COMP_CNT: 0
	.section	.text._ZN9rocsparseL5csrsmILj128ELj64ELb1EiidEEv20rocsparse_operation_T3_S2_NS_24const_host_device_scalarIT4_EEPKT2_PKS2_PKS4_PS4_lPiSA_PS2_21rocsparse_index_base_20rocsparse_fill_mode_20rocsparse_diag_type_b,"axG",@progbits,_ZN9rocsparseL5csrsmILj128ELj64ELb1EiidEEv20rocsparse_operation_T3_S2_NS_24const_host_device_scalarIT4_EEPKT2_PKS2_PKS4_PS4_lPiSA_PS2_21rocsparse_index_base_20rocsparse_fill_mode_20rocsparse_diag_type_b,comdat
	.globl	_ZN9rocsparseL5csrsmILj128ELj64ELb1EiidEEv20rocsparse_operation_T3_S2_NS_24const_host_device_scalarIT4_EEPKT2_PKS2_PKS4_PS4_lPiSA_PS2_21rocsparse_index_base_20rocsparse_fill_mode_20rocsparse_diag_type_b ; -- Begin function _ZN9rocsparseL5csrsmILj128ELj64ELb1EiidEEv20rocsparse_operation_T3_S2_NS_24const_host_device_scalarIT4_EEPKT2_PKS2_PKS4_PS4_lPiSA_PS2_21rocsparse_index_base_20rocsparse_fill_mode_20rocsparse_diag_type_b
	.p2align	8
	.type	_ZN9rocsparseL5csrsmILj128ELj64ELb1EiidEEv20rocsparse_operation_T3_S2_NS_24const_host_device_scalarIT4_EEPKT2_PKS2_PKS4_PS4_lPiSA_PS2_21rocsparse_index_base_20rocsparse_fill_mode_20rocsparse_diag_type_b,@function
_ZN9rocsparseL5csrsmILj128ELj64ELb1EiidEEv20rocsparse_operation_T3_S2_NS_24const_host_device_scalarIT4_EEPKT2_PKS2_PKS4_PS4_lPiSA_PS2_21rocsparse_index_base_20rocsparse_fill_mode_20rocsparse_diag_type_b: ; @_ZN9rocsparseL5csrsmILj128ELj64ELb1EiidEEv20rocsparse_operation_T3_S2_NS_24const_host_device_scalarIT4_EEPKT2_PKS2_PKS4_PS4_lPiSA_PS2_21rocsparse_index_base_20rocsparse_fill_mode_20rocsparse_diag_type_b
; %bb.0:
	s_clause 0x3
	s_load_b128 s[4:7], s[0:1], 0x58
	s_load_b128 s[16:19], s[0:1], 0x10
	s_load_b64 s[2:3], s[0:1], 0x48
	s_load_b64 s[12:13], s[0:1], 0x30
	s_waitcnt lgkmcnt(0)
	s_bitcmp1_b32 s7, 0
	v_dual_mov_b32 v1, s16 :: v_dual_mov_b32 v2, s17
	s_cselect_b32 s7, -1, 0
	s_delay_alu instid0(SALU_CYCLE_1)
	s_and_b32 vcc_lo, exec_lo, s7
	s_cbranch_vccnz .LBB14_2
; %bb.1:
	v_dual_mov_b32 v1, s16 :: v_dual_mov_b32 v2, s17
	flat_load_b64 v[1:2], v[1:2]
.LBB14_2:
	s_load_b64 s[20:21], s[0:1], 0x4
	s_waitcnt lgkmcnt(0)
	v_cvt_f32_u32_e32 v3, s20
	s_sub_i32 s8, 0, s20
	s_delay_alu instid0(VALU_DEP_1) | instskip(SKIP_2) | instid1(VALU_DEP_1)
	v_rcp_iflag_f32_e32 v3, v3
	s_waitcnt_depctr 0xfff
	v_mul_f32_e32 v3, 0x4f7ffffe, v3
	v_cvt_u32_f32_e32 v3, v3
	s_delay_alu instid0(VALU_DEP_1) | instskip(SKIP_2) | instid1(VALU_DEP_3)
	v_readfirstlane_b32 s7, v3
	v_mov_b32_e32 v3, 0
	v_mov_b32_e32 v4, 0
	s_mul_i32 s8, s8, s7
	s_delay_alu instid0(SALU_CYCLE_1) | instskip(NEXT) | instid1(SALU_CYCLE_1)
	s_mul_hi_u32 s8, s7, s8
	s_add_i32 s7, s7, s8
	s_delay_alu instid0(SALU_CYCLE_1) | instskip(NEXT) | instid1(SALU_CYCLE_1)
	s_mul_hi_u32 s7, s15, s7
	s_mul_i32 s8, s7, s20
	s_add_i32 s9, s7, 1
	s_sub_i32 s8, s15, s8
	s_delay_alu instid0(SALU_CYCLE_1)
	s_sub_i32 s10, s8, s20
	s_cmp_ge_u32 s8, s20
	s_cselect_b32 s7, s9, s7
	s_cselect_b32 s8, s10, s8
	s_add_i32 s9, s7, 1
	s_cmp_ge_u32 s8, s20
	s_cselect_b32 s14, s9, s7
	s_delay_alu instid0(SALU_CYCLE_1) | instskip(SKIP_2) | instid1(SALU_CYCLE_1)
	s_mul_i32 s7, s14, s20
	v_lshl_or_b32 v5, s14, 7, v0
	s_sub_i32 s8, s15, s7
	s_ashr_i32 s9, s8, 31
	s_delay_alu instid0(VALU_DEP_1) | instskip(SKIP_1) | instid1(SALU_CYCLE_1)
	v_ashrrev_i32_e32 v6, 31, v5
	s_lshl_b64 s[8:9], s[8:9], 2
	s_add_u32 s2, s2, s8
	s_addc_u32 s3, s3, s9
	s_load_b32 s16, s[2:3], 0x0
	s_load_b128 s[8:11], s[0:1], 0x38
	s_waitcnt lgkmcnt(0)
	s_ashr_i32 s17, s16, 31
	s_delay_alu instid0(SALU_CYCLE_1)
	s_lshl_b64 s[2:3], s[16:17], 2
	s_mul_i32 s14, s17, s8
	s_add_u32 s2, s18, s2
	s_addc_u32 s3, s19, s3
	s_mul_i32 s18, s16, s8
	s_load_b64 s[22:23], s[2:3], 0x0
	s_mul_i32 s2, s16, s9
	s_mul_hi_u32 s3, s16, s8
	s_delay_alu instid0(SALU_CYCLE_1) | instskip(SKIP_2) | instid1(VALU_DEP_1)
	s_add_i32 s3, s3, s2
	v_cmp_gt_i32_e64 s2, s21, v5
	s_add_i32 s19, s3, s14
	s_and_saveexec_b32 s3, s2
	s_cbranch_execz .LBB14_4
; %bb.3:
	v_add_co_u32 v3, vcc_lo, s18, v5
	v_add_co_ci_u32_e32 v4, vcc_lo, s19, v6, vcc_lo
	s_delay_alu instid0(VALU_DEP_1) | instskip(NEXT) | instid1(VALU_DEP_1)
	v_lshlrev_b64 v[3:4], 3, v[3:4]
	v_add_co_u32 v3, vcc_lo, s12, v3
	s_delay_alu instid0(VALU_DEP_2)
	v_add_co_ci_u32_e32 v4, vcc_lo, s13, v4, vcc_lo
	global_load_b64 v[3:4], v[3:4], off
	s_waitcnt vmcnt(0)
	v_mul_f64 v[3:4], v[1:2], v[3:4]
.LBB14_4:
	s_or_b32 exec_lo, exec_lo, s3
	s_waitcnt vmcnt(0)
	v_lshlrev_b64 v[1:2], 3, v[5:6]
	v_mov_b32_e32 v9, 0
	v_mov_b32_e32 v10, 0x3ff00000
	v_cmp_eq_u32_e64 s3, 0, v0
	s_waitcnt lgkmcnt(0)
	s_cmp_ge_i32 s22, s23
	v_add_co_u32 v13, vcc_lo, s12, v1
	v_add_co_ci_u32_e32 v14, vcc_lo, s13, v2, vcc_lo
	s_cbranch_scc1 .LBB14_46
; %bb.5:
	s_clause 0x1
	s_load_b64 s[20:21], s[0:1], 0x50
	s_load_b128 s[12:15], s[0:1], 0x20
	s_sub_i32 s17, s22, s4
	s_sub_i32 s24, s23, s4
	s_cmp_lg_u32 s6, 0
	v_dual_mov_b32 v5, 0 :: v_dual_lshlrev_b32 v16, 3, v0
	v_lshl_or_b32 v15, v0, 2, 0x400
	s_cselect_b32 s25, -1, 0
	v_cmp_ne_u32_e64 s0, 0, v0
	s_add_i32 s26, s16, s4
	v_mov_b32_e32 v6, 0x3ff00000
	v_mov_b32_e32 v2, 0
	s_cmp_eq_u32 s6, 0
	s_mov_b32 s27, s17
	s_cselect_b32 s1, -1, 0
	s_branch .LBB14_8
.LBB14_6:                               ;   in Loop: Header=BB14_8 Depth=1
	s_add_i32 s27, s27, 1
	s_delay_alu instid0(SALU_CYCLE_1)
	s_cmp_ge_i32 s27, s24
	s_cselect_b32 s22, -1, 0
.LBB14_7:                               ;   in Loop: Header=BB14_8 Depth=1
	s_delay_alu instid0(VALU_DEP_2)
	v_dual_mov_b32 v3, v11 :: v_dual_mov_b32 v4, v12
	v_dual_mov_b32 v5, v9 :: v_dual_mov_b32 v6, v10
	s_and_not1_b32 vcc_lo, exec_lo, s22
	s_cbranch_vccz .LBB14_47
.LBB14_8:                               ; =>This Loop Header: Depth=1
                                        ;     Child Loop BB14_44 Depth 2
                                        ;       Child Loop BB14_45 Depth 3
	s_sub_i32 s22, s27, s17
	s_delay_alu instid0(SALU_CYCLE_1) | instskip(NEXT) | instid1(SALU_CYCLE_1)
	s_and_b32 s22, s22, 0x7f
	s_cmp_lg_u32 s22, 0
	s_cbranch_scc1 .LBB14_12
; %bb.9:                                ;   in Loop: Header=BB14_8 Depth=1
	s_sub_i32 s23, s24, s27
	v_mov_b32_e32 v7, 0
	v_dual_mov_b32 v8, 0xbff00000 :: v_dual_mov_b32 v1, -1
	v_cmp_gt_u32_e32 vcc_lo, s23, v0
	s_and_saveexec_b32 s23, vcc_lo
	s_cbranch_execz .LBB14_11
; %bb.10:                               ;   in Loop: Header=BB14_8 Depth=1
	v_add_nc_u32_e32 v1, s27, v0
	s_delay_alu instid0(VALU_DEP_1) | instskip(SKIP_2) | instid1(VALU_DEP_2)
	v_lshlrev_b64 v[7:8], 2, v[1:2]
	v_lshlrev_b64 v[9:10], 3, v[1:2]
	s_waitcnt lgkmcnt(0)
	v_add_co_u32 v7, vcc_lo, s12, v7
	s_delay_alu instid0(VALU_DEP_3)
	v_add_co_ci_u32_e32 v8, vcc_lo, s13, v8, vcc_lo
	global_load_b32 v1, v[7:8], off
	v_add_co_u32 v7, vcc_lo, s14, v9
	v_add_co_ci_u32_e32 v8, vcc_lo, s15, v10, vcc_lo
	global_load_b64 v[7:8], v[7:8], off
	s_waitcnt vmcnt(1)
	v_subrev_nc_u32_e32 v1, s4, v1
.LBB14_11:                              ;   in Loop: Header=BB14_8 Depth=1
	s_or_b32 exec_lo, exec_lo, s23
	ds_store_b32 v15, v1
	s_waitcnt vmcnt(0)
	ds_store_b64 v16, v[7:8]
.LBB14_12:                              ;   in Loop: Header=BB14_8 Depth=1
	s_lshl_b32 s23, s22, 3
	s_waitcnt lgkmcnt(0)
	v_mov_b32_e32 v1, s23
	s_waitcnt_vscnt null, 0x0
	s_barrier
	buffer_gl0_inv
	s_lshl_b32 s22, s22, 2
	ds_load_b64 v[7:8], v1
	v_mov_b32_e32 v1, s22
	ds_load_b32 v1, v1 offset:1024
	s_waitcnt lgkmcnt(1)
	v_cmp_neq_f64_e32 vcc_lo, 0, v[7:8]
	s_waitcnt lgkmcnt(0)
	v_readfirstlane_b32 s28, v1
	s_delay_alu instid0(VALU_DEP_1) | instskip(SKIP_1) | instid1(SALU_CYCLE_1)
	s_cmp_lg_u32 s28, s16
	s_cselect_b32 s22, -1, 0
	s_or_b32 s22, s25, s22
	s_delay_alu instid0(SALU_CYCLE_1) | instskip(SKIP_3) | instid1(SALU_CYCLE_1)
	s_or_b32 vcc_lo, vcc_lo, s22
	v_cndmask_b32_e32 v8, 0x3ff00000, v8, vcc_lo
	v_cndmask_b32_e32 v7, 0, v7, vcc_lo
	s_or_b32 s22, s0, vcc_lo
	s_xor_b32 s23, s22, -1
	s_delay_alu instid0(SALU_CYCLE_1)
	s_and_saveexec_b32 s22, s23
	s_cbranch_execz .LBB14_16
; %bb.13:                               ;   in Loop: Header=BB14_8 Depth=1
	v_mbcnt_lo_u32_b32 v1, exec_lo, 0
	s_mov_b32 s23, exec_lo
	s_delay_alu instid0(VALU_DEP_1)
	v_cmpx_eq_u32_e32 0, v1
	s_cbranch_execz .LBB14_15
; %bb.14:                               ;   in Loop: Header=BB14_8 Depth=1
	v_mov_b32_e32 v1, s26
	global_atomic_min_i32 v2, v1, s[20:21]
.LBB14_15:                              ;   in Loop: Header=BB14_8 Depth=1
	s_or_b32 exec_lo, exec_lo, s23
	v_mov_b32_e32 v7, 0
	v_mov_b32_e32 v8, 0x3ff00000
.LBB14_16:                              ;   in Loop: Header=BB14_8 Depth=1
	s_or_b32 exec_lo, exec_lo, s22
	s_cmp_lt_i32 s5, 1
	s_mov_b32 s22, 0
	s_cbranch_scc1 .LBB14_21
; %bb.17:                               ;   in Loop: Header=BB14_8 Depth=1
	s_cmp_eq_u32 s5, 1
	s_cbranch_scc0 .LBB14_22
; %bb.18:                               ;   in Loop: Header=BB14_8 Depth=1
	v_dual_mov_b32 v10, v6 :: v_dual_mov_b32 v9, v5
	s_cmp_ge_i32 s28, s16
	s_mov_b32 s23, 0
	s_cbranch_scc0 .LBB14_24
; %bb.19:                               ;   in Loop: Header=BB14_8 Depth=1
	s_cmp_eq_u32 s28, s16
	s_cbranch_scc0 .LBB14_23
; %bb.20:                               ;   in Loop: Header=BB14_8 Depth=1
	v_div_scale_f64 v[9:10], null, v[7:8], v[7:8], 1.0
	v_div_scale_f64 v[19:20], vcc_lo, 1.0, v[7:8], 1.0
	s_delay_alu instid0(VALU_DEP_2) | instskip(SKIP_2) | instid1(VALU_DEP_1)
	v_rcp_f64_e32 v[11:12], v[9:10]
	s_waitcnt_depctr 0xfff
	v_fma_f64 v[17:18], -v[9:10], v[11:12], 1.0
	v_fma_f64 v[11:12], v[11:12], v[17:18], v[11:12]
	s_delay_alu instid0(VALU_DEP_1) | instskip(NEXT) | instid1(VALU_DEP_1)
	v_fma_f64 v[17:18], -v[9:10], v[11:12], 1.0
	v_fma_f64 v[11:12], v[11:12], v[17:18], v[11:12]
	s_delay_alu instid0(VALU_DEP_1) | instskip(NEXT) | instid1(VALU_DEP_1)
	v_mul_f64 v[17:18], v[19:20], v[11:12]
	v_fma_f64 v[9:10], -v[9:10], v[17:18], v[19:20]
	s_delay_alu instid0(VALU_DEP_1) | instskip(NEXT) | instid1(VALU_DEP_1)
	v_div_fmas_f64 v[9:10], v[9:10], v[11:12], v[17:18]
	v_div_fixup_f64 v[9:10], v[9:10], v[7:8], 1.0
	s_delay_alu instid0(VALU_DEP_1) | instskip(NEXT) | instid1(VALU_DEP_2)
	v_cndmask_b32_e64 v10, v6, v10, s1
	v_cndmask_b32_e64 v9, v5, v9, s1
	s_branch .LBB14_24
.LBB14_21:                              ;   in Loop: Header=BB14_8 Depth=1
	s_mov_b32 s23, 0
                                        ; implicit-def: $vgpr11_vgpr12
                                        ; implicit-def: $vgpr9_vgpr10
                                        ; implicit-def: $sgpr29
	s_cbranch_execnz .LBB14_25
	s_branch .LBB14_27
.LBB14_22:                              ;   in Loop: Header=BB14_8 Depth=1
	s_mov_b32 s23, -1
                                        ; implicit-def: $vgpr11_vgpr12
                                        ; implicit-def: $vgpr9_vgpr10
                                        ; implicit-def: $sgpr29
	s_branch .LBB14_27
.LBB14_23:                              ;   in Loop: Header=BB14_8 Depth=1
	s_mov_b32 s23, -1
                                        ; implicit-def: $vgpr9_vgpr10
.LBB14_24:                              ;   in Loop: Header=BB14_8 Depth=1
	v_dual_mov_b32 v12, v4 :: v_dual_mov_b32 v11, v3
	s_mov_b32 s29, 4
	s_branch .LBB14_27
.LBB14_25:                              ;   in Loop: Header=BB14_8 Depth=1
	s_cmp_eq_u32 s5, 0
	s_cbranch_scc1 .LBB14_31
; %bb.26:                               ;   in Loop: Header=BB14_8 Depth=1
	s_mov_b32 s23, -1
                                        ; implicit-def: $vgpr11_vgpr12
                                        ; implicit-def: $vgpr9_vgpr10
                                        ; implicit-def: $sgpr29
.LBB14_27:                              ;   in Loop: Header=BB14_8 Depth=1
	s_delay_alu instid0(SALU_CYCLE_1)
	s_and_b32 vcc_lo, exec_lo, s23
	s_cbranch_vccnz .LBB14_34
.LBB14_28:                              ;   in Loop: Header=BB14_8 Depth=1
	s_and_b32 vcc_lo, exec_lo, s22
	s_cbranch_vccnz .LBB14_39
.LBB14_29:                              ;   in Loop: Header=BB14_8 Depth=1
	s_cmp_gt_i32 s29, 3
	s_mov_b32 s22, -1
	s_cbranch_scc1 .LBB14_40
.LBB14_30:                              ;   in Loop: Header=BB14_8 Depth=1
	s_cmp_eq_u32 s29, 0
	s_cselect_b32 s23, -1, 0
	s_delay_alu instid0(SALU_CYCLE_1)
	s_and_not1_b32 vcc_lo, exec_lo, s23
	s_cbranch_vccz .LBB14_6
	s_branch .LBB14_41
.LBB14_31:                              ;   in Loop: Header=BB14_8 Depth=1
	s_cmp_le_i32 s28, s16
	s_mov_b32 s23, 0
	s_cbranch_scc0 .LBB14_33
; %bb.32:                               ;   in Loop: Header=BB14_8 Depth=1
	s_cmp_lg_u32 s28, s16
	s_mov_b32 s22, -1
	s_cselect_b32 s23, -1, 0
.LBB14_33:                              ;   in Loop: Header=BB14_8 Depth=1
	v_dual_mov_b32 v12, v4 :: v_dual_mov_b32 v11, v3
	v_dual_mov_b32 v10, v6 :: v_dual_mov_b32 v9, v5
	s_mov_b32 s29, 2
	s_and_b32 vcc_lo, exec_lo, s23
	s_cbranch_vccz .LBB14_28
.LBB14_34:                              ;   in Loop: Header=BB14_8 Depth=1
	s_and_saveexec_b32 s29, s3
	s_cbranch_execz .LBB14_36
; %bb.35:                               ;   in Loop: Header=BB14_8 Depth=1
	s_add_i32 s22, s28, s7
	s_delay_alu instid0(SALU_CYCLE_1) | instskip(NEXT) | instid1(SALU_CYCLE_1)
	s_ashr_i32 s23, s22, 31
	s_lshl_b64 s[22:23], s[22:23], 2
	s_delay_alu instid0(SALU_CYCLE_1)
	s_add_u32 s22, s10, s22
	s_addc_u32 s23, s11, s23
	global_load_b32 v1, v2, s[22:23] glc
	s_waitcnt vmcnt(0)
	v_cmp_ne_u32_e32 vcc_lo, 0, v1
	s_cbranch_vccz .LBB14_42
.LBB14_36:                              ;   in Loop: Header=BB14_8 Depth=1
	s_or_b32 exec_lo, exec_lo, s29
	v_mov_b32_e32 v11, 0
	v_mov_b32_e32 v12, 0
	s_waitcnt_vscnt null, 0x0
	s_barrier
	buffer_gl0_inv
	buffer_gl1_inv
	buffer_gl0_inv
	s_and_saveexec_b32 s22, s2
	s_cbranch_execz .LBB14_38
; %bb.37:                               ;   in Loop: Header=BB14_8 Depth=1
	s_mul_i32 s23, s28, s9
	s_mul_hi_u32 s29, s28, s8
	s_ashr_i32 s30, s28, 31
	s_add_i32 s23, s29, s23
	s_mul_i32 s30, s30, s8
	s_mul_i32 s28, s28, s8
	s_add_i32 s29, s23, s30
	s_delay_alu instid0(SALU_CYCLE_1) | instskip(NEXT) | instid1(SALU_CYCLE_1)
	s_lshl_b64 s[28:29], s[28:29], 3
	v_add_co_u32 v9, vcc_lo, v13, s28
	v_add_co_ci_u32_e32 v10, vcc_lo, s29, v14, vcc_lo
	global_load_b64 v[9:10], v[9:10], off
	s_waitcnt vmcnt(0)
	v_fma_f64 v[11:12], -v[7:8], v[9:10], v[3:4]
.LBB14_38:                              ;   in Loop: Header=BB14_8 Depth=1
	s_or_b32 exec_lo, exec_lo, s22
	v_dual_mov_b32 v10, v6 :: v_dual_mov_b32 v9, v5
	s_mov_b32 s29, 0
	s_branch .LBB14_29
.LBB14_39:                              ;   in Loop: Header=BB14_8 Depth=1
	v_div_scale_f64 v[9:10], null, v[7:8], v[7:8], 1.0
	v_div_scale_f64 v[19:20], vcc_lo, 1.0, v[7:8], 1.0
	s_mov_b32 s29, 2
	s_delay_alu instid0(VALU_DEP_2) | instskip(SKIP_2) | instid1(VALU_DEP_1)
	v_rcp_f64_e32 v[11:12], v[9:10]
	s_waitcnt_depctr 0xfff
	v_fma_f64 v[17:18], -v[9:10], v[11:12], 1.0
	v_fma_f64 v[11:12], v[11:12], v[17:18], v[11:12]
	s_delay_alu instid0(VALU_DEP_1) | instskip(NEXT) | instid1(VALU_DEP_1)
	v_fma_f64 v[17:18], -v[9:10], v[11:12], 1.0
	v_fma_f64 v[11:12], v[11:12], v[17:18], v[11:12]
	s_delay_alu instid0(VALU_DEP_1) | instskip(NEXT) | instid1(VALU_DEP_1)
	v_mul_f64 v[17:18], v[19:20], v[11:12]
	v_fma_f64 v[9:10], -v[9:10], v[17:18], v[19:20]
	s_delay_alu instid0(VALU_DEP_1) | instskip(SKIP_1) | instid1(VALU_DEP_2)
	v_div_fmas_f64 v[9:10], v[9:10], v[11:12], v[17:18]
	v_dual_mov_b32 v12, v4 :: v_dual_mov_b32 v11, v3
	v_div_fixup_f64 v[7:8], v[9:10], v[7:8], 1.0
	s_delay_alu instid0(VALU_DEP_1) | instskip(NEXT) | instid1(VALU_DEP_2)
	v_cndmask_b32_e64 v10, v6, v8, s1
	v_cndmask_b32_e64 v9, v5, v7, s1
	s_cmp_gt_i32 s29, 3
	s_mov_b32 s22, -1
	s_cbranch_scc0 .LBB14_30
.LBB14_40:                              ;   in Loop: Header=BB14_8 Depth=1
	s_branch .LBB14_6
.LBB14_41:                              ;   in Loop: Header=BB14_8 Depth=1
                                        ; implicit-def: $sgpr27
	s_branch .LBB14_7
.LBB14_42:                              ;   in Loop: Header=BB14_8 Depth=1
	s_mov_b32 s30, 0
	s_branch .LBB14_44
	.p2align	6
.LBB14_43:                              ;   in Loop: Header=BB14_44 Depth=2
	global_load_b32 v1, v2, s[22:23] glc
	s_cmpk_lt_u32 s30, 0xf43
	s_cselect_b32 s31, -1, 0
	s_delay_alu instid0(SALU_CYCLE_1)
	s_cmp_lg_u32 s31, 0
	s_addc_u32 s30, s30, 0
	s_waitcnt vmcnt(0)
	v_cmp_ne_u32_e32 vcc_lo, 0, v1
	s_cbranch_vccnz .LBB14_36
.LBB14_44:                              ;   Parent Loop BB14_8 Depth=1
                                        ; =>  This Loop Header: Depth=2
                                        ;       Child Loop BB14_45 Depth 3
	s_cmp_eq_u32 s30, 0
	s_mov_b32 s31, s30
	s_cbranch_scc1 .LBB14_43
.LBB14_45:                              ;   Parent Loop BB14_8 Depth=1
                                        ;     Parent Loop BB14_44 Depth=2
                                        ; =>    This Inner Loop Header: Depth=3
	s_add_i32 s31, s31, -1
	s_sleep 1
	s_cmp_eq_u32 s31, 0
	s_cbranch_scc0 .LBB14_45
	s_branch .LBB14_43
.LBB14_46:
	v_dual_mov_b32 v12, v4 :: v_dual_mov_b32 v11, v3
.LBB14_47:
	s_and_saveexec_b32 s0, s2
	s_cbranch_execz .LBB14_49
; %bb.48:
	s_delay_alu instid0(VALU_DEP_1) | instskip(SKIP_3) | instid1(VALU_DEP_1)
	v_mul_f64 v[1:2], v[9:10], v[11:12]
	s_cmp_eq_u32 s6, 0
	s_cselect_b32 vcc_lo, -1, 0
	s_lshl_b64 s[2:3], s[18:19], 3
	v_dual_cndmask_b32 v2, v12, v2 :: v_dual_cndmask_b32 v1, v11, v1
	v_add_co_u32 v3, vcc_lo, v13, s2
	v_add_co_ci_u32_e32 v4, vcc_lo, s3, v14, vcc_lo
	global_store_b64 v[3:4], v[1:2], off
.LBB14_49:
	s_or_b32 exec_lo, exec_lo, s0
	s_waitcnt_vscnt null, 0x0
	buffer_gl1_inv
	buffer_gl0_inv
	s_barrier
	buffer_gl0_inv
	s_mov_b32 s0, exec_lo
	v_cmpx_eq_u32_e32 0, v0
	s_cbranch_execz .LBB14_51
; %bb.50:
	s_add_i32 s0, s16, s7
	v_dual_mov_b32 v0, 0 :: v_dual_mov_b32 v1, 1
	s_ashr_i32 s1, s0, 31
	s_delay_alu instid0(SALU_CYCLE_1) | instskip(NEXT) | instid1(SALU_CYCLE_1)
	s_lshl_b64 s[0:1], s[0:1], 2
	s_add_u32 s0, s10, s0
	s_addc_u32 s1, s11, s1
	global_store_b32 v0, v1, s[0:1]
.LBB14_51:
	s_nop 0
	s_sendmsg sendmsg(MSG_DEALLOC_VGPRS)
	s_endpgm
	.section	.rodata,"a",@progbits
	.p2align	6, 0x0
	.amdhsa_kernel _ZN9rocsparseL5csrsmILj128ELj64ELb1EiidEEv20rocsparse_operation_T3_S2_NS_24const_host_device_scalarIT4_EEPKT2_PKS2_PKS4_PS4_lPiSA_PS2_21rocsparse_index_base_20rocsparse_fill_mode_20rocsparse_diag_type_b
		.amdhsa_group_segment_fixed_size 1536
		.amdhsa_private_segment_fixed_size 0
		.amdhsa_kernarg_size 104
		.amdhsa_user_sgpr_count 15
		.amdhsa_user_sgpr_dispatch_ptr 0
		.amdhsa_user_sgpr_queue_ptr 0
		.amdhsa_user_sgpr_kernarg_segment_ptr 1
		.amdhsa_user_sgpr_dispatch_id 0
		.amdhsa_user_sgpr_private_segment_size 0
		.amdhsa_wavefront_size32 1
		.amdhsa_uses_dynamic_stack 0
		.amdhsa_enable_private_segment 0
		.amdhsa_system_sgpr_workgroup_id_x 1
		.amdhsa_system_sgpr_workgroup_id_y 0
		.amdhsa_system_sgpr_workgroup_id_z 0
		.amdhsa_system_sgpr_workgroup_info 0
		.amdhsa_system_vgpr_workitem_id 0
		.amdhsa_next_free_vgpr 21
		.amdhsa_next_free_sgpr 32
		.amdhsa_reserve_vcc 1
		.amdhsa_float_round_mode_32 0
		.amdhsa_float_round_mode_16_64 0
		.amdhsa_float_denorm_mode_32 3
		.amdhsa_float_denorm_mode_16_64 3
		.amdhsa_dx10_clamp 1
		.amdhsa_ieee_mode 1
		.amdhsa_fp16_overflow 0
		.amdhsa_workgroup_processor_mode 1
		.amdhsa_memory_ordered 1
		.amdhsa_forward_progress 0
		.amdhsa_shared_vgpr_count 0
		.amdhsa_exception_fp_ieee_invalid_op 0
		.amdhsa_exception_fp_denorm_src 0
		.amdhsa_exception_fp_ieee_div_zero 0
		.amdhsa_exception_fp_ieee_overflow 0
		.amdhsa_exception_fp_ieee_underflow 0
		.amdhsa_exception_fp_ieee_inexact 0
		.amdhsa_exception_int_div_zero 0
	.end_amdhsa_kernel
	.section	.text._ZN9rocsparseL5csrsmILj128ELj64ELb1EiidEEv20rocsparse_operation_T3_S2_NS_24const_host_device_scalarIT4_EEPKT2_PKS2_PKS4_PS4_lPiSA_PS2_21rocsparse_index_base_20rocsparse_fill_mode_20rocsparse_diag_type_b,"axG",@progbits,_ZN9rocsparseL5csrsmILj128ELj64ELb1EiidEEv20rocsparse_operation_T3_S2_NS_24const_host_device_scalarIT4_EEPKT2_PKS2_PKS4_PS4_lPiSA_PS2_21rocsparse_index_base_20rocsparse_fill_mode_20rocsparse_diag_type_b,comdat
.Lfunc_end14:
	.size	_ZN9rocsparseL5csrsmILj128ELj64ELb1EiidEEv20rocsparse_operation_T3_S2_NS_24const_host_device_scalarIT4_EEPKT2_PKS2_PKS4_PS4_lPiSA_PS2_21rocsparse_index_base_20rocsparse_fill_mode_20rocsparse_diag_type_b, .Lfunc_end14-_ZN9rocsparseL5csrsmILj128ELj64ELb1EiidEEv20rocsparse_operation_T3_S2_NS_24const_host_device_scalarIT4_EEPKT2_PKS2_PKS4_PS4_lPiSA_PS2_21rocsparse_index_base_20rocsparse_fill_mode_20rocsparse_diag_type_b
                                        ; -- End function
	.section	.AMDGPU.csdata,"",@progbits
; Kernel info:
; codeLenInByte = 1884
; NumSgprs: 34
; NumVgprs: 21
; ScratchSize: 0
; MemoryBound: 0
; FloatMode: 240
; IeeeMode: 1
; LDSByteSize: 1536 bytes/workgroup (compile time only)
; SGPRBlocks: 4
; VGPRBlocks: 2
; NumSGPRsForWavesPerEU: 34
; NumVGPRsForWavesPerEU: 21
; Occupancy: 16
; WaveLimiterHint : 1
; COMPUTE_PGM_RSRC2:SCRATCH_EN: 0
; COMPUTE_PGM_RSRC2:USER_SGPR: 15
; COMPUTE_PGM_RSRC2:TRAP_HANDLER: 0
; COMPUTE_PGM_RSRC2:TGID_X_EN: 1
; COMPUTE_PGM_RSRC2:TGID_Y_EN: 0
; COMPUTE_PGM_RSRC2:TGID_Z_EN: 0
; COMPUTE_PGM_RSRC2:TIDIG_COMP_CNT: 0
	.section	.text._ZN9rocsparseL5csrsmILj128ELj64ELb0EiidEEv20rocsparse_operation_T3_S2_NS_24const_host_device_scalarIT4_EEPKT2_PKS2_PKS4_PS4_lPiSA_PS2_21rocsparse_index_base_20rocsparse_fill_mode_20rocsparse_diag_type_b,"axG",@progbits,_ZN9rocsparseL5csrsmILj128ELj64ELb0EiidEEv20rocsparse_operation_T3_S2_NS_24const_host_device_scalarIT4_EEPKT2_PKS2_PKS4_PS4_lPiSA_PS2_21rocsparse_index_base_20rocsparse_fill_mode_20rocsparse_diag_type_b,comdat
	.globl	_ZN9rocsparseL5csrsmILj128ELj64ELb0EiidEEv20rocsparse_operation_T3_S2_NS_24const_host_device_scalarIT4_EEPKT2_PKS2_PKS4_PS4_lPiSA_PS2_21rocsparse_index_base_20rocsparse_fill_mode_20rocsparse_diag_type_b ; -- Begin function _ZN9rocsparseL5csrsmILj128ELj64ELb0EiidEEv20rocsparse_operation_T3_S2_NS_24const_host_device_scalarIT4_EEPKT2_PKS2_PKS4_PS4_lPiSA_PS2_21rocsparse_index_base_20rocsparse_fill_mode_20rocsparse_diag_type_b
	.p2align	8
	.type	_ZN9rocsparseL5csrsmILj128ELj64ELb0EiidEEv20rocsparse_operation_T3_S2_NS_24const_host_device_scalarIT4_EEPKT2_PKS2_PKS4_PS4_lPiSA_PS2_21rocsparse_index_base_20rocsparse_fill_mode_20rocsparse_diag_type_b,@function
_ZN9rocsparseL5csrsmILj128ELj64ELb0EiidEEv20rocsparse_operation_T3_S2_NS_24const_host_device_scalarIT4_EEPKT2_PKS2_PKS4_PS4_lPiSA_PS2_21rocsparse_index_base_20rocsparse_fill_mode_20rocsparse_diag_type_b: ; @_ZN9rocsparseL5csrsmILj128ELj64ELb0EiidEEv20rocsparse_operation_T3_S2_NS_24const_host_device_scalarIT4_EEPKT2_PKS2_PKS4_PS4_lPiSA_PS2_21rocsparse_index_base_20rocsparse_fill_mode_20rocsparse_diag_type_b
; %bb.0:
	s_clause 0x3
	s_load_b128 s[4:7], s[0:1], 0x58
	s_load_b128 s[16:19], s[0:1], 0x10
	s_load_b64 s[2:3], s[0:1], 0x48
	s_load_b64 s[12:13], s[0:1], 0x30
	s_waitcnt lgkmcnt(0)
	s_bitcmp1_b32 s7, 0
	v_dual_mov_b32 v1, s16 :: v_dual_mov_b32 v2, s17
	s_cselect_b32 s7, -1, 0
	s_delay_alu instid0(SALU_CYCLE_1)
	s_and_b32 vcc_lo, exec_lo, s7
	s_cbranch_vccnz .LBB15_2
; %bb.1:
	v_dual_mov_b32 v1, s16 :: v_dual_mov_b32 v2, s17
	flat_load_b64 v[1:2], v[1:2]
.LBB15_2:
	s_load_b64 s[20:21], s[0:1], 0x4
	s_waitcnt lgkmcnt(0)
	v_cvt_f32_u32_e32 v3, s20
	s_sub_i32 s8, 0, s20
	s_delay_alu instid0(VALU_DEP_1) | instskip(SKIP_2) | instid1(VALU_DEP_1)
	v_rcp_iflag_f32_e32 v3, v3
	s_waitcnt_depctr 0xfff
	v_mul_f32_e32 v3, 0x4f7ffffe, v3
	v_cvt_u32_f32_e32 v3, v3
	s_delay_alu instid0(VALU_DEP_1) | instskip(SKIP_2) | instid1(VALU_DEP_3)
	v_readfirstlane_b32 s7, v3
	v_mov_b32_e32 v3, 0
	v_mov_b32_e32 v4, 0
	s_mul_i32 s8, s8, s7
	s_delay_alu instid0(SALU_CYCLE_1) | instskip(NEXT) | instid1(SALU_CYCLE_1)
	s_mul_hi_u32 s8, s7, s8
	s_add_i32 s7, s7, s8
	s_delay_alu instid0(SALU_CYCLE_1) | instskip(NEXT) | instid1(SALU_CYCLE_1)
	s_mul_hi_u32 s7, s15, s7
	s_mul_i32 s8, s7, s20
	s_add_i32 s9, s7, 1
	s_sub_i32 s8, s15, s8
	s_delay_alu instid0(SALU_CYCLE_1)
	s_sub_i32 s10, s8, s20
	s_cmp_ge_u32 s8, s20
	s_cselect_b32 s7, s9, s7
	s_cselect_b32 s8, s10, s8
	s_add_i32 s9, s7, 1
	s_cmp_ge_u32 s8, s20
	s_cselect_b32 s14, s9, s7
	s_delay_alu instid0(SALU_CYCLE_1) | instskip(SKIP_2) | instid1(SALU_CYCLE_1)
	s_mul_i32 s7, s14, s20
	v_lshl_or_b32 v5, s14, 7, v0
	s_sub_i32 s8, s15, s7
	s_ashr_i32 s9, s8, 31
	s_delay_alu instid0(VALU_DEP_1) | instskip(SKIP_1) | instid1(SALU_CYCLE_1)
	v_ashrrev_i32_e32 v6, 31, v5
	s_lshl_b64 s[8:9], s[8:9], 2
	s_add_u32 s2, s2, s8
	s_addc_u32 s3, s3, s9
	s_load_b32 s16, s[2:3], 0x0
	s_load_b128 s[8:11], s[0:1], 0x38
	s_waitcnt lgkmcnt(0)
	s_ashr_i32 s17, s16, 31
	s_delay_alu instid0(SALU_CYCLE_1)
	s_lshl_b64 s[2:3], s[16:17], 2
	s_mul_i32 s14, s17, s8
	s_add_u32 s2, s18, s2
	s_addc_u32 s3, s19, s3
	s_mul_i32 s18, s16, s8
	s_load_b64 s[22:23], s[2:3], 0x0
	s_mul_i32 s2, s16, s9
	s_mul_hi_u32 s3, s16, s8
	s_delay_alu instid0(SALU_CYCLE_1) | instskip(SKIP_2) | instid1(VALU_DEP_1)
	s_add_i32 s3, s3, s2
	v_cmp_gt_i32_e64 s2, s21, v5
	s_add_i32 s19, s3, s14
	s_and_saveexec_b32 s3, s2
	s_cbranch_execz .LBB15_4
; %bb.3:
	v_add_co_u32 v3, vcc_lo, s18, v5
	v_add_co_ci_u32_e32 v4, vcc_lo, s19, v6, vcc_lo
	s_delay_alu instid0(VALU_DEP_1) | instskip(NEXT) | instid1(VALU_DEP_1)
	v_lshlrev_b64 v[3:4], 3, v[3:4]
	v_add_co_u32 v3, vcc_lo, s12, v3
	s_delay_alu instid0(VALU_DEP_2)
	v_add_co_ci_u32_e32 v4, vcc_lo, s13, v4, vcc_lo
	global_load_b64 v[3:4], v[3:4], off
	s_waitcnt vmcnt(0)
	v_mul_f64 v[3:4], v[1:2], v[3:4]
.LBB15_4:
	s_or_b32 exec_lo, exec_lo, s3
	s_waitcnt vmcnt(0)
	v_lshlrev_b64 v[1:2], 3, v[5:6]
	v_mov_b32_e32 v9, 0
	v_mov_b32_e32 v10, 0x3ff00000
	v_cmp_eq_u32_e64 s3, 0, v0
	s_waitcnt lgkmcnt(0)
	s_cmp_ge_i32 s22, s23
	v_add_co_u32 v13, vcc_lo, s12, v1
	v_add_co_ci_u32_e32 v14, vcc_lo, s13, v2, vcc_lo
	s_cbranch_scc1 .LBB15_43
; %bb.5:
	s_clause 0x1
	s_load_b64 s[20:21], s[0:1], 0x50
	s_load_b128 s[12:15], s[0:1], 0x20
	s_sub_i32 s17, s22, s4
	s_sub_i32 s24, s23, s4
	s_cmp_lg_u32 s6, 0
	v_dual_mov_b32 v5, 0 :: v_dual_lshlrev_b32 v16, 3, v0
	v_lshl_or_b32 v15, v0, 2, 0x400
	s_cselect_b32 s25, -1, 0
	v_cmp_ne_u32_e64 s0, 0, v0
	s_add_i32 s26, s16, s4
	v_mov_b32_e32 v6, 0x3ff00000
	v_mov_b32_e32 v2, 0
	s_cmp_eq_u32 s6, 0
	s_mov_b32 s27, s17
	s_cselect_b32 s1, -1, 0
	s_branch .LBB15_8
.LBB15_6:                               ;   in Loop: Header=BB15_8 Depth=1
	s_add_i32 s27, s27, 1
	s_delay_alu instid0(SALU_CYCLE_1)
	s_cmp_ge_i32 s27, s24
	s_cselect_b32 s22, -1, 0
.LBB15_7:                               ;   in Loop: Header=BB15_8 Depth=1
	s_delay_alu instid0(VALU_DEP_2)
	v_dual_mov_b32 v3, v11 :: v_dual_mov_b32 v4, v12
	v_dual_mov_b32 v5, v9 :: v_dual_mov_b32 v6, v10
	s_and_not1_b32 vcc_lo, exec_lo, s22
	s_cbranch_vccz .LBB15_44
.LBB15_8:                               ; =>This Loop Header: Depth=1
                                        ;     Child Loop BB15_36 Depth 2
	s_sub_i32 s22, s27, s17
	s_delay_alu instid0(SALU_CYCLE_1) | instskip(NEXT) | instid1(SALU_CYCLE_1)
	s_and_b32 s22, s22, 0x7f
	s_cmp_lg_u32 s22, 0
	s_cbranch_scc1 .LBB15_12
; %bb.9:                                ;   in Loop: Header=BB15_8 Depth=1
	s_sub_i32 s23, s24, s27
	v_mov_b32_e32 v7, 0
	v_dual_mov_b32 v8, 0xbff00000 :: v_dual_mov_b32 v1, -1
	v_cmp_gt_u32_e32 vcc_lo, s23, v0
	s_and_saveexec_b32 s23, vcc_lo
	s_cbranch_execz .LBB15_11
; %bb.10:                               ;   in Loop: Header=BB15_8 Depth=1
	v_add_nc_u32_e32 v1, s27, v0
	s_delay_alu instid0(VALU_DEP_1) | instskip(SKIP_2) | instid1(VALU_DEP_2)
	v_lshlrev_b64 v[7:8], 2, v[1:2]
	v_lshlrev_b64 v[9:10], 3, v[1:2]
	s_waitcnt lgkmcnt(0)
	v_add_co_u32 v7, vcc_lo, s12, v7
	s_delay_alu instid0(VALU_DEP_3)
	v_add_co_ci_u32_e32 v8, vcc_lo, s13, v8, vcc_lo
	global_load_b32 v1, v[7:8], off
	v_add_co_u32 v7, vcc_lo, s14, v9
	v_add_co_ci_u32_e32 v8, vcc_lo, s15, v10, vcc_lo
	global_load_b64 v[7:8], v[7:8], off
	s_waitcnt vmcnt(1)
	v_subrev_nc_u32_e32 v1, s4, v1
.LBB15_11:                              ;   in Loop: Header=BB15_8 Depth=1
	s_or_b32 exec_lo, exec_lo, s23
	ds_store_b32 v15, v1
	s_waitcnt vmcnt(0)
	ds_store_b64 v16, v[7:8]
.LBB15_12:                              ;   in Loop: Header=BB15_8 Depth=1
	s_lshl_b32 s23, s22, 3
	s_waitcnt lgkmcnt(0)
	v_mov_b32_e32 v1, s23
	s_waitcnt_vscnt null, 0x0
	s_barrier
	buffer_gl0_inv
	s_lshl_b32 s22, s22, 2
	ds_load_b64 v[7:8], v1
	v_mov_b32_e32 v1, s22
	ds_load_b32 v1, v1 offset:1024
	s_waitcnt lgkmcnt(1)
	v_cmp_neq_f64_e32 vcc_lo, 0, v[7:8]
	s_waitcnt lgkmcnt(0)
	v_readfirstlane_b32 s28, v1
	s_delay_alu instid0(VALU_DEP_1) | instskip(SKIP_1) | instid1(SALU_CYCLE_1)
	s_cmp_lg_u32 s28, s16
	s_cselect_b32 s22, -1, 0
	s_or_b32 s22, s25, s22
	s_delay_alu instid0(SALU_CYCLE_1) | instskip(SKIP_3) | instid1(SALU_CYCLE_1)
	s_or_b32 vcc_lo, vcc_lo, s22
	v_cndmask_b32_e32 v8, 0x3ff00000, v8, vcc_lo
	v_cndmask_b32_e32 v7, 0, v7, vcc_lo
	s_or_b32 s22, s0, vcc_lo
	s_xor_b32 s23, s22, -1
	s_delay_alu instid0(SALU_CYCLE_1)
	s_and_saveexec_b32 s22, s23
	s_cbranch_execz .LBB15_16
; %bb.13:                               ;   in Loop: Header=BB15_8 Depth=1
	v_mbcnt_lo_u32_b32 v1, exec_lo, 0
	s_mov_b32 s23, exec_lo
	s_delay_alu instid0(VALU_DEP_1)
	v_cmpx_eq_u32_e32 0, v1
	s_cbranch_execz .LBB15_15
; %bb.14:                               ;   in Loop: Header=BB15_8 Depth=1
	v_mov_b32_e32 v1, s26
	global_atomic_min_i32 v2, v1, s[20:21]
.LBB15_15:                              ;   in Loop: Header=BB15_8 Depth=1
	s_or_b32 exec_lo, exec_lo, s23
	v_mov_b32_e32 v7, 0
	v_mov_b32_e32 v8, 0x3ff00000
.LBB15_16:                              ;   in Loop: Header=BB15_8 Depth=1
	s_or_b32 exec_lo, exec_lo, s22
	s_cmp_lt_i32 s5, 1
	s_mov_b32 s22, 0
	s_cbranch_scc1 .LBB15_21
; %bb.17:                               ;   in Loop: Header=BB15_8 Depth=1
	s_cmp_eq_u32 s5, 1
	s_cbranch_scc0 .LBB15_22
; %bb.18:                               ;   in Loop: Header=BB15_8 Depth=1
	v_dual_mov_b32 v10, v6 :: v_dual_mov_b32 v9, v5
	s_cmp_ge_i32 s28, s16
	s_mov_b32 s23, 0
	s_cbranch_scc0 .LBB15_24
; %bb.19:                               ;   in Loop: Header=BB15_8 Depth=1
	s_cmp_eq_u32 s28, s16
	s_cbranch_scc0 .LBB15_23
; %bb.20:                               ;   in Loop: Header=BB15_8 Depth=1
	v_div_scale_f64 v[9:10], null, v[7:8], v[7:8], 1.0
	v_div_scale_f64 v[19:20], vcc_lo, 1.0, v[7:8], 1.0
	s_delay_alu instid0(VALU_DEP_2) | instskip(SKIP_2) | instid1(VALU_DEP_1)
	v_rcp_f64_e32 v[11:12], v[9:10]
	s_waitcnt_depctr 0xfff
	v_fma_f64 v[17:18], -v[9:10], v[11:12], 1.0
	v_fma_f64 v[11:12], v[11:12], v[17:18], v[11:12]
	s_delay_alu instid0(VALU_DEP_1) | instskip(NEXT) | instid1(VALU_DEP_1)
	v_fma_f64 v[17:18], -v[9:10], v[11:12], 1.0
	v_fma_f64 v[11:12], v[11:12], v[17:18], v[11:12]
	s_delay_alu instid0(VALU_DEP_1) | instskip(NEXT) | instid1(VALU_DEP_1)
	v_mul_f64 v[17:18], v[19:20], v[11:12]
	v_fma_f64 v[9:10], -v[9:10], v[17:18], v[19:20]
	s_delay_alu instid0(VALU_DEP_1) | instskip(NEXT) | instid1(VALU_DEP_1)
	v_div_fmas_f64 v[9:10], v[9:10], v[11:12], v[17:18]
	v_div_fixup_f64 v[9:10], v[9:10], v[7:8], 1.0
	s_delay_alu instid0(VALU_DEP_1) | instskip(NEXT) | instid1(VALU_DEP_2)
	v_cndmask_b32_e64 v10, v6, v10, s1
	v_cndmask_b32_e64 v9, v5, v9, s1
	s_branch .LBB15_24
.LBB15_21:                              ;   in Loop: Header=BB15_8 Depth=1
	s_mov_b32 s23, 0
                                        ; implicit-def: $vgpr11_vgpr12
                                        ; implicit-def: $vgpr9_vgpr10
                                        ; implicit-def: $sgpr29
	s_cbranch_execnz .LBB15_25
	s_branch .LBB15_27
.LBB15_22:                              ;   in Loop: Header=BB15_8 Depth=1
	s_mov_b32 s23, -1
                                        ; implicit-def: $vgpr11_vgpr12
                                        ; implicit-def: $vgpr9_vgpr10
                                        ; implicit-def: $sgpr29
	s_branch .LBB15_27
.LBB15_23:                              ;   in Loop: Header=BB15_8 Depth=1
	s_mov_b32 s23, -1
                                        ; implicit-def: $vgpr9_vgpr10
.LBB15_24:                              ;   in Loop: Header=BB15_8 Depth=1
	v_dual_mov_b32 v12, v4 :: v_dual_mov_b32 v11, v3
	s_mov_b32 s29, 4
	s_branch .LBB15_27
.LBB15_25:                              ;   in Loop: Header=BB15_8 Depth=1
	s_cmp_eq_u32 s5, 0
	s_cbranch_scc1 .LBB15_31
; %bb.26:                               ;   in Loop: Header=BB15_8 Depth=1
	s_mov_b32 s23, -1
                                        ; implicit-def: $vgpr11_vgpr12
                                        ; implicit-def: $vgpr9_vgpr10
                                        ; implicit-def: $sgpr29
.LBB15_27:                              ;   in Loop: Header=BB15_8 Depth=1
	s_delay_alu instid0(SALU_CYCLE_1)
	s_and_b32 vcc_lo, exec_lo, s23
	s_cbranch_vccnz .LBB15_34
.LBB15_28:                              ;   in Loop: Header=BB15_8 Depth=1
	s_and_b32 vcc_lo, exec_lo, s22
	s_cbranch_vccnz .LBB15_40
.LBB15_29:                              ;   in Loop: Header=BB15_8 Depth=1
	s_cmp_gt_i32 s29, 3
	s_mov_b32 s22, -1
	s_cbranch_scc1 .LBB15_41
.LBB15_30:                              ;   in Loop: Header=BB15_8 Depth=1
	s_cmp_eq_u32 s29, 0
	s_cselect_b32 s23, -1, 0
	s_delay_alu instid0(SALU_CYCLE_1)
	s_and_not1_b32 vcc_lo, exec_lo, s23
	s_cbranch_vccz .LBB15_6
	s_branch .LBB15_42
.LBB15_31:                              ;   in Loop: Header=BB15_8 Depth=1
	s_cmp_le_i32 s28, s16
	s_mov_b32 s23, 0
	s_cbranch_scc0 .LBB15_33
; %bb.32:                               ;   in Loop: Header=BB15_8 Depth=1
	s_cmp_lg_u32 s28, s16
	s_mov_b32 s22, -1
	s_cselect_b32 s23, -1, 0
.LBB15_33:                              ;   in Loop: Header=BB15_8 Depth=1
	v_dual_mov_b32 v12, v4 :: v_dual_mov_b32 v11, v3
	v_dual_mov_b32 v10, v6 :: v_dual_mov_b32 v9, v5
	s_mov_b32 s29, 2
	s_and_b32 vcc_lo, exec_lo, s23
	s_cbranch_vccz .LBB15_28
.LBB15_34:                              ;   in Loop: Header=BB15_8 Depth=1
	s_and_saveexec_b32 s29, s3
	s_cbranch_execz .LBB15_37
; %bb.35:                               ;   in Loop: Header=BB15_8 Depth=1
	s_add_i32 s22, s28, s7
	s_delay_alu instid0(SALU_CYCLE_1) | instskip(NEXT) | instid1(SALU_CYCLE_1)
	s_ashr_i32 s23, s22, 31
	s_lshl_b64 s[22:23], s[22:23], 2
	s_delay_alu instid0(SALU_CYCLE_1)
	s_add_u32 s22, s10, s22
	s_addc_u32 s23, s11, s23
	global_load_b32 v1, v2, s[22:23] glc
	s_waitcnt vmcnt(0)
	v_cmp_ne_u32_e32 vcc_lo, 0, v1
	s_cbranch_vccnz .LBB15_37
.LBB15_36:                              ;   Parent Loop BB15_8 Depth=1
                                        ; =>  This Inner Loop Header: Depth=2
	global_load_b32 v1, v2, s[22:23] glc
	s_waitcnt vmcnt(0)
	v_cmp_eq_u32_e32 vcc_lo, 0, v1
	s_cbranch_vccnz .LBB15_36
.LBB15_37:                              ;   in Loop: Header=BB15_8 Depth=1
	s_or_b32 exec_lo, exec_lo, s29
	v_mov_b32_e32 v11, 0
	v_mov_b32_e32 v12, 0
	s_waitcnt_vscnt null, 0x0
	s_barrier
	buffer_gl0_inv
	buffer_gl1_inv
	buffer_gl0_inv
	s_and_saveexec_b32 s22, s2
	s_cbranch_execz .LBB15_39
; %bb.38:                               ;   in Loop: Header=BB15_8 Depth=1
	s_mul_i32 s23, s28, s9
	s_mul_hi_u32 s29, s28, s8
	s_ashr_i32 s30, s28, 31
	s_add_i32 s23, s29, s23
	s_mul_i32 s30, s30, s8
	s_mul_i32 s28, s28, s8
	s_add_i32 s29, s23, s30
	s_delay_alu instid0(SALU_CYCLE_1) | instskip(NEXT) | instid1(SALU_CYCLE_1)
	s_lshl_b64 s[28:29], s[28:29], 3
	v_add_co_u32 v9, vcc_lo, v13, s28
	v_add_co_ci_u32_e32 v10, vcc_lo, s29, v14, vcc_lo
	global_load_b64 v[9:10], v[9:10], off
	s_waitcnt vmcnt(0)
	v_fma_f64 v[11:12], -v[7:8], v[9:10], v[3:4]
.LBB15_39:                              ;   in Loop: Header=BB15_8 Depth=1
	s_or_b32 exec_lo, exec_lo, s22
	v_dual_mov_b32 v10, v6 :: v_dual_mov_b32 v9, v5
	s_mov_b32 s29, 0
	s_branch .LBB15_29
.LBB15_40:                              ;   in Loop: Header=BB15_8 Depth=1
	v_div_scale_f64 v[9:10], null, v[7:8], v[7:8], 1.0
	v_div_scale_f64 v[19:20], vcc_lo, 1.0, v[7:8], 1.0
	s_mov_b32 s29, 2
	s_delay_alu instid0(VALU_DEP_2) | instskip(SKIP_2) | instid1(VALU_DEP_1)
	v_rcp_f64_e32 v[11:12], v[9:10]
	s_waitcnt_depctr 0xfff
	v_fma_f64 v[17:18], -v[9:10], v[11:12], 1.0
	v_fma_f64 v[11:12], v[11:12], v[17:18], v[11:12]
	s_delay_alu instid0(VALU_DEP_1) | instskip(NEXT) | instid1(VALU_DEP_1)
	v_fma_f64 v[17:18], -v[9:10], v[11:12], 1.0
	v_fma_f64 v[11:12], v[11:12], v[17:18], v[11:12]
	s_delay_alu instid0(VALU_DEP_1) | instskip(NEXT) | instid1(VALU_DEP_1)
	v_mul_f64 v[17:18], v[19:20], v[11:12]
	v_fma_f64 v[9:10], -v[9:10], v[17:18], v[19:20]
	s_delay_alu instid0(VALU_DEP_1) | instskip(SKIP_1) | instid1(VALU_DEP_2)
	v_div_fmas_f64 v[9:10], v[9:10], v[11:12], v[17:18]
	v_dual_mov_b32 v12, v4 :: v_dual_mov_b32 v11, v3
	v_div_fixup_f64 v[7:8], v[9:10], v[7:8], 1.0
	s_delay_alu instid0(VALU_DEP_1) | instskip(NEXT) | instid1(VALU_DEP_2)
	v_cndmask_b32_e64 v10, v6, v8, s1
	v_cndmask_b32_e64 v9, v5, v7, s1
	s_cmp_gt_i32 s29, 3
	s_mov_b32 s22, -1
	s_cbranch_scc0 .LBB15_30
.LBB15_41:                              ;   in Loop: Header=BB15_8 Depth=1
	s_branch .LBB15_6
.LBB15_42:                              ;   in Loop: Header=BB15_8 Depth=1
                                        ; implicit-def: $sgpr27
	s_branch .LBB15_7
.LBB15_43:
	v_dual_mov_b32 v12, v4 :: v_dual_mov_b32 v11, v3
.LBB15_44:
	s_and_saveexec_b32 s0, s2
	s_cbranch_execz .LBB15_46
; %bb.45:
	s_delay_alu instid0(VALU_DEP_1) | instskip(SKIP_3) | instid1(VALU_DEP_1)
	v_mul_f64 v[1:2], v[9:10], v[11:12]
	s_cmp_eq_u32 s6, 0
	s_cselect_b32 vcc_lo, -1, 0
	s_lshl_b64 s[2:3], s[18:19], 3
	v_dual_cndmask_b32 v2, v12, v2 :: v_dual_cndmask_b32 v1, v11, v1
	v_add_co_u32 v3, vcc_lo, v13, s2
	v_add_co_ci_u32_e32 v4, vcc_lo, s3, v14, vcc_lo
	global_store_b64 v[3:4], v[1:2], off
.LBB15_46:
	s_or_b32 exec_lo, exec_lo, s0
	s_waitcnt_vscnt null, 0x0
	buffer_gl1_inv
	buffer_gl0_inv
	s_barrier
	buffer_gl0_inv
	s_mov_b32 s0, exec_lo
	v_cmpx_eq_u32_e32 0, v0
	s_cbranch_execz .LBB15_48
; %bb.47:
	s_add_i32 s0, s16, s7
	v_dual_mov_b32 v0, 0 :: v_dual_mov_b32 v1, 1
	s_ashr_i32 s1, s0, 31
	s_delay_alu instid0(SALU_CYCLE_1) | instskip(NEXT) | instid1(SALU_CYCLE_1)
	s_lshl_b64 s[0:1], s[0:1], 2
	s_add_u32 s0, s10, s0
	s_addc_u32 s1, s11, s1
	global_store_b32 v0, v1, s[0:1]
.LBB15_48:
	s_nop 0
	s_sendmsg sendmsg(MSG_DEALLOC_VGPRS)
	s_endpgm
	.section	.rodata,"a",@progbits
	.p2align	6, 0x0
	.amdhsa_kernel _ZN9rocsparseL5csrsmILj128ELj64ELb0EiidEEv20rocsparse_operation_T3_S2_NS_24const_host_device_scalarIT4_EEPKT2_PKS2_PKS4_PS4_lPiSA_PS2_21rocsparse_index_base_20rocsparse_fill_mode_20rocsparse_diag_type_b
		.amdhsa_group_segment_fixed_size 1536
		.amdhsa_private_segment_fixed_size 0
		.amdhsa_kernarg_size 104
		.amdhsa_user_sgpr_count 15
		.amdhsa_user_sgpr_dispatch_ptr 0
		.amdhsa_user_sgpr_queue_ptr 0
		.amdhsa_user_sgpr_kernarg_segment_ptr 1
		.amdhsa_user_sgpr_dispatch_id 0
		.amdhsa_user_sgpr_private_segment_size 0
		.amdhsa_wavefront_size32 1
		.amdhsa_uses_dynamic_stack 0
		.amdhsa_enable_private_segment 0
		.amdhsa_system_sgpr_workgroup_id_x 1
		.amdhsa_system_sgpr_workgroup_id_y 0
		.amdhsa_system_sgpr_workgroup_id_z 0
		.amdhsa_system_sgpr_workgroup_info 0
		.amdhsa_system_vgpr_workitem_id 0
		.amdhsa_next_free_vgpr 21
		.amdhsa_next_free_sgpr 31
		.amdhsa_reserve_vcc 1
		.amdhsa_float_round_mode_32 0
		.amdhsa_float_round_mode_16_64 0
		.amdhsa_float_denorm_mode_32 3
		.amdhsa_float_denorm_mode_16_64 3
		.amdhsa_dx10_clamp 1
		.amdhsa_ieee_mode 1
		.amdhsa_fp16_overflow 0
		.amdhsa_workgroup_processor_mode 1
		.amdhsa_memory_ordered 1
		.amdhsa_forward_progress 0
		.amdhsa_shared_vgpr_count 0
		.amdhsa_exception_fp_ieee_invalid_op 0
		.amdhsa_exception_fp_denorm_src 0
		.amdhsa_exception_fp_ieee_div_zero 0
		.amdhsa_exception_fp_ieee_overflow 0
		.amdhsa_exception_fp_ieee_underflow 0
		.amdhsa_exception_fp_ieee_inexact 0
		.amdhsa_exception_int_div_zero 0
	.end_amdhsa_kernel
	.section	.text._ZN9rocsparseL5csrsmILj128ELj64ELb0EiidEEv20rocsparse_operation_T3_S2_NS_24const_host_device_scalarIT4_EEPKT2_PKS2_PKS4_PS4_lPiSA_PS2_21rocsparse_index_base_20rocsparse_fill_mode_20rocsparse_diag_type_b,"axG",@progbits,_ZN9rocsparseL5csrsmILj128ELj64ELb0EiidEEv20rocsparse_operation_T3_S2_NS_24const_host_device_scalarIT4_EEPKT2_PKS2_PKS4_PS4_lPiSA_PS2_21rocsparse_index_base_20rocsparse_fill_mode_20rocsparse_diag_type_b,comdat
.Lfunc_end15:
	.size	_ZN9rocsparseL5csrsmILj128ELj64ELb0EiidEEv20rocsparse_operation_T3_S2_NS_24const_host_device_scalarIT4_EEPKT2_PKS2_PKS4_PS4_lPiSA_PS2_21rocsparse_index_base_20rocsparse_fill_mode_20rocsparse_diag_type_b, .Lfunc_end15-_ZN9rocsparseL5csrsmILj128ELj64ELb0EiidEEv20rocsparse_operation_T3_S2_NS_24const_host_device_scalarIT4_EEPKT2_PKS2_PKS4_PS4_lPiSA_PS2_21rocsparse_index_base_20rocsparse_fill_mode_20rocsparse_diag_type_b
                                        ; -- End function
	.section	.AMDGPU.csdata,"",@progbits
; Kernel info:
; codeLenInByte = 1824
; NumSgprs: 33
; NumVgprs: 21
; ScratchSize: 0
; MemoryBound: 0
; FloatMode: 240
; IeeeMode: 1
; LDSByteSize: 1536 bytes/workgroup (compile time only)
; SGPRBlocks: 4
; VGPRBlocks: 2
; NumSGPRsForWavesPerEU: 33
; NumVGPRsForWavesPerEU: 21
; Occupancy: 16
; WaveLimiterHint : 1
; COMPUTE_PGM_RSRC2:SCRATCH_EN: 0
; COMPUTE_PGM_RSRC2:USER_SGPR: 15
; COMPUTE_PGM_RSRC2:TRAP_HANDLER: 0
; COMPUTE_PGM_RSRC2:TGID_X_EN: 1
; COMPUTE_PGM_RSRC2:TGID_Y_EN: 0
; COMPUTE_PGM_RSRC2:TGID_Z_EN: 0
; COMPUTE_PGM_RSRC2:TIDIG_COMP_CNT: 0
	.section	.text._ZN9rocsparseL5csrsmILj256ELj64ELb1EiidEEv20rocsparse_operation_T3_S2_NS_24const_host_device_scalarIT4_EEPKT2_PKS2_PKS4_PS4_lPiSA_PS2_21rocsparse_index_base_20rocsparse_fill_mode_20rocsparse_diag_type_b,"axG",@progbits,_ZN9rocsparseL5csrsmILj256ELj64ELb1EiidEEv20rocsparse_operation_T3_S2_NS_24const_host_device_scalarIT4_EEPKT2_PKS2_PKS4_PS4_lPiSA_PS2_21rocsparse_index_base_20rocsparse_fill_mode_20rocsparse_diag_type_b,comdat
	.globl	_ZN9rocsparseL5csrsmILj256ELj64ELb1EiidEEv20rocsparse_operation_T3_S2_NS_24const_host_device_scalarIT4_EEPKT2_PKS2_PKS4_PS4_lPiSA_PS2_21rocsparse_index_base_20rocsparse_fill_mode_20rocsparse_diag_type_b ; -- Begin function _ZN9rocsparseL5csrsmILj256ELj64ELb1EiidEEv20rocsparse_operation_T3_S2_NS_24const_host_device_scalarIT4_EEPKT2_PKS2_PKS4_PS4_lPiSA_PS2_21rocsparse_index_base_20rocsparse_fill_mode_20rocsparse_diag_type_b
	.p2align	8
	.type	_ZN9rocsparseL5csrsmILj256ELj64ELb1EiidEEv20rocsparse_operation_T3_S2_NS_24const_host_device_scalarIT4_EEPKT2_PKS2_PKS4_PS4_lPiSA_PS2_21rocsparse_index_base_20rocsparse_fill_mode_20rocsparse_diag_type_b,@function
_ZN9rocsparseL5csrsmILj256ELj64ELb1EiidEEv20rocsparse_operation_T3_S2_NS_24const_host_device_scalarIT4_EEPKT2_PKS2_PKS4_PS4_lPiSA_PS2_21rocsparse_index_base_20rocsparse_fill_mode_20rocsparse_diag_type_b: ; @_ZN9rocsparseL5csrsmILj256ELj64ELb1EiidEEv20rocsparse_operation_T3_S2_NS_24const_host_device_scalarIT4_EEPKT2_PKS2_PKS4_PS4_lPiSA_PS2_21rocsparse_index_base_20rocsparse_fill_mode_20rocsparse_diag_type_b
; %bb.0:
	s_clause 0x3
	s_load_b128 s[4:7], s[0:1], 0x58
	s_load_b128 s[16:19], s[0:1], 0x10
	s_load_b64 s[2:3], s[0:1], 0x48
	s_load_b64 s[12:13], s[0:1], 0x30
	s_waitcnt lgkmcnt(0)
	s_bitcmp1_b32 s7, 0
	v_dual_mov_b32 v1, s16 :: v_dual_mov_b32 v2, s17
	s_cselect_b32 s7, -1, 0
	s_delay_alu instid0(SALU_CYCLE_1)
	s_and_b32 vcc_lo, exec_lo, s7
	s_cbranch_vccnz .LBB16_2
; %bb.1:
	v_dual_mov_b32 v1, s16 :: v_dual_mov_b32 v2, s17
	flat_load_b64 v[1:2], v[1:2]
.LBB16_2:
	s_load_b64 s[20:21], s[0:1], 0x4
	s_waitcnt lgkmcnt(0)
	v_cvt_f32_u32_e32 v3, s20
	s_sub_i32 s8, 0, s20
	s_delay_alu instid0(VALU_DEP_1) | instskip(SKIP_2) | instid1(VALU_DEP_1)
	v_rcp_iflag_f32_e32 v3, v3
	s_waitcnt_depctr 0xfff
	v_mul_f32_e32 v3, 0x4f7ffffe, v3
	v_cvt_u32_f32_e32 v3, v3
	s_delay_alu instid0(VALU_DEP_1) | instskip(SKIP_2) | instid1(VALU_DEP_3)
	v_readfirstlane_b32 s7, v3
	v_mov_b32_e32 v3, 0
	v_mov_b32_e32 v4, 0
	s_mul_i32 s8, s8, s7
	s_delay_alu instid0(SALU_CYCLE_1) | instskip(NEXT) | instid1(SALU_CYCLE_1)
	s_mul_hi_u32 s8, s7, s8
	s_add_i32 s7, s7, s8
	s_delay_alu instid0(SALU_CYCLE_1) | instskip(NEXT) | instid1(SALU_CYCLE_1)
	s_mul_hi_u32 s7, s15, s7
	s_mul_i32 s8, s7, s20
	s_add_i32 s9, s7, 1
	s_sub_i32 s8, s15, s8
	s_delay_alu instid0(SALU_CYCLE_1)
	s_sub_i32 s10, s8, s20
	s_cmp_ge_u32 s8, s20
	s_cselect_b32 s7, s9, s7
	s_cselect_b32 s8, s10, s8
	s_add_i32 s9, s7, 1
	s_cmp_ge_u32 s8, s20
	s_cselect_b32 s14, s9, s7
	s_delay_alu instid0(SALU_CYCLE_1) | instskip(SKIP_2) | instid1(SALU_CYCLE_1)
	s_mul_i32 s7, s14, s20
	v_lshl_or_b32 v5, s14, 8, v0
	s_sub_i32 s8, s15, s7
	s_ashr_i32 s9, s8, 31
	s_delay_alu instid0(VALU_DEP_1) | instskip(SKIP_1) | instid1(SALU_CYCLE_1)
	v_ashrrev_i32_e32 v6, 31, v5
	s_lshl_b64 s[8:9], s[8:9], 2
	s_add_u32 s2, s2, s8
	s_addc_u32 s3, s3, s9
	s_load_b32 s16, s[2:3], 0x0
	s_load_b128 s[8:11], s[0:1], 0x38
	s_waitcnt lgkmcnt(0)
	s_ashr_i32 s17, s16, 31
	s_delay_alu instid0(SALU_CYCLE_1)
	s_lshl_b64 s[2:3], s[16:17], 2
	s_mul_i32 s14, s17, s8
	s_add_u32 s2, s18, s2
	s_addc_u32 s3, s19, s3
	s_mul_i32 s18, s16, s8
	s_load_b64 s[22:23], s[2:3], 0x0
	s_mul_i32 s2, s16, s9
	s_mul_hi_u32 s3, s16, s8
	s_delay_alu instid0(SALU_CYCLE_1) | instskip(SKIP_2) | instid1(VALU_DEP_1)
	s_add_i32 s3, s3, s2
	v_cmp_gt_i32_e64 s2, s21, v5
	s_add_i32 s19, s3, s14
	s_and_saveexec_b32 s3, s2
	s_cbranch_execz .LBB16_4
; %bb.3:
	v_add_co_u32 v3, vcc_lo, s18, v5
	v_add_co_ci_u32_e32 v4, vcc_lo, s19, v6, vcc_lo
	s_delay_alu instid0(VALU_DEP_1) | instskip(NEXT) | instid1(VALU_DEP_1)
	v_lshlrev_b64 v[3:4], 3, v[3:4]
	v_add_co_u32 v3, vcc_lo, s12, v3
	s_delay_alu instid0(VALU_DEP_2)
	v_add_co_ci_u32_e32 v4, vcc_lo, s13, v4, vcc_lo
	global_load_b64 v[3:4], v[3:4], off
	s_waitcnt vmcnt(0)
	v_mul_f64 v[3:4], v[1:2], v[3:4]
.LBB16_4:
	s_or_b32 exec_lo, exec_lo, s3
	s_waitcnt vmcnt(0)
	v_lshlrev_b64 v[1:2], 3, v[5:6]
	v_mov_b32_e32 v9, 0
	v_mov_b32_e32 v10, 0x3ff00000
	v_cmp_eq_u32_e64 s3, 0, v0
	s_waitcnt lgkmcnt(0)
	s_cmp_ge_i32 s22, s23
	v_add_co_u32 v13, vcc_lo, s12, v1
	v_add_co_ci_u32_e32 v14, vcc_lo, s13, v2, vcc_lo
	s_cbranch_scc1 .LBB16_46
; %bb.5:
	s_clause 0x1
	s_load_b64 s[20:21], s[0:1], 0x50
	s_load_b128 s[12:15], s[0:1], 0x20
	s_sub_i32 s17, s22, s4
	s_sub_i32 s24, s23, s4
	s_cmp_lg_u32 s6, 0
	v_dual_mov_b32 v5, 0 :: v_dual_lshlrev_b32 v16, 3, v0
	v_lshl_or_b32 v15, v0, 2, 0x800
	s_cselect_b32 s25, -1, 0
	v_cmp_ne_u32_e64 s0, 0, v0
	s_add_i32 s26, s16, s4
	v_mov_b32_e32 v6, 0x3ff00000
	v_mov_b32_e32 v2, 0
	s_cmp_eq_u32 s6, 0
	s_mov_b32 s27, s17
	s_cselect_b32 s1, -1, 0
	s_branch .LBB16_8
.LBB16_6:                               ;   in Loop: Header=BB16_8 Depth=1
	s_add_i32 s27, s27, 1
	s_delay_alu instid0(SALU_CYCLE_1)
	s_cmp_ge_i32 s27, s24
	s_cselect_b32 s22, -1, 0
.LBB16_7:                               ;   in Loop: Header=BB16_8 Depth=1
	s_delay_alu instid0(VALU_DEP_2)
	v_dual_mov_b32 v3, v11 :: v_dual_mov_b32 v4, v12
	v_dual_mov_b32 v5, v9 :: v_dual_mov_b32 v6, v10
	s_and_not1_b32 vcc_lo, exec_lo, s22
	s_cbranch_vccz .LBB16_47
.LBB16_8:                               ; =>This Loop Header: Depth=1
                                        ;     Child Loop BB16_44 Depth 2
                                        ;       Child Loop BB16_45 Depth 3
	s_sub_i32 s22, s27, s17
	s_delay_alu instid0(SALU_CYCLE_1) | instskip(NEXT) | instid1(SALU_CYCLE_1)
	s_and_b32 s22, s22, 0xff
	s_cmp_lg_u32 s22, 0
	s_cbranch_scc1 .LBB16_12
; %bb.9:                                ;   in Loop: Header=BB16_8 Depth=1
	s_sub_i32 s23, s24, s27
	v_mov_b32_e32 v7, 0
	v_dual_mov_b32 v8, 0xbff00000 :: v_dual_mov_b32 v1, -1
	v_cmp_gt_u32_e32 vcc_lo, s23, v0
	s_and_saveexec_b32 s23, vcc_lo
	s_cbranch_execz .LBB16_11
; %bb.10:                               ;   in Loop: Header=BB16_8 Depth=1
	v_add_nc_u32_e32 v1, s27, v0
	s_delay_alu instid0(VALU_DEP_1) | instskip(SKIP_2) | instid1(VALU_DEP_2)
	v_lshlrev_b64 v[7:8], 2, v[1:2]
	v_lshlrev_b64 v[9:10], 3, v[1:2]
	s_waitcnt lgkmcnt(0)
	v_add_co_u32 v7, vcc_lo, s12, v7
	s_delay_alu instid0(VALU_DEP_3)
	v_add_co_ci_u32_e32 v8, vcc_lo, s13, v8, vcc_lo
	global_load_b32 v1, v[7:8], off
	v_add_co_u32 v7, vcc_lo, s14, v9
	v_add_co_ci_u32_e32 v8, vcc_lo, s15, v10, vcc_lo
	global_load_b64 v[7:8], v[7:8], off
	s_waitcnt vmcnt(1)
	v_subrev_nc_u32_e32 v1, s4, v1
.LBB16_11:                              ;   in Loop: Header=BB16_8 Depth=1
	s_or_b32 exec_lo, exec_lo, s23
	ds_store_b32 v15, v1
	s_waitcnt vmcnt(0)
	ds_store_b64 v16, v[7:8]
.LBB16_12:                              ;   in Loop: Header=BB16_8 Depth=1
	s_lshl_b32 s23, s22, 3
	s_waitcnt lgkmcnt(0)
	v_mov_b32_e32 v1, s23
	s_waitcnt_vscnt null, 0x0
	s_barrier
	buffer_gl0_inv
	s_lshl_b32 s22, s22, 2
	ds_load_b64 v[7:8], v1
	v_mov_b32_e32 v1, s22
	ds_load_b32 v1, v1 offset:2048
	s_waitcnt lgkmcnt(1)
	v_cmp_neq_f64_e32 vcc_lo, 0, v[7:8]
	s_waitcnt lgkmcnt(0)
	v_readfirstlane_b32 s28, v1
	s_delay_alu instid0(VALU_DEP_1) | instskip(SKIP_1) | instid1(SALU_CYCLE_1)
	s_cmp_lg_u32 s28, s16
	s_cselect_b32 s22, -1, 0
	s_or_b32 s22, s25, s22
	s_delay_alu instid0(SALU_CYCLE_1) | instskip(SKIP_3) | instid1(SALU_CYCLE_1)
	s_or_b32 vcc_lo, vcc_lo, s22
	v_cndmask_b32_e32 v8, 0x3ff00000, v8, vcc_lo
	v_cndmask_b32_e32 v7, 0, v7, vcc_lo
	s_or_b32 s22, s0, vcc_lo
	s_xor_b32 s23, s22, -1
	s_delay_alu instid0(SALU_CYCLE_1)
	s_and_saveexec_b32 s22, s23
	s_cbranch_execz .LBB16_16
; %bb.13:                               ;   in Loop: Header=BB16_8 Depth=1
	v_mbcnt_lo_u32_b32 v1, exec_lo, 0
	s_mov_b32 s23, exec_lo
	s_delay_alu instid0(VALU_DEP_1)
	v_cmpx_eq_u32_e32 0, v1
	s_cbranch_execz .LBB16_15
; %bb.14:                               ;   in Loop: Header=BB16_8 Depth=1
	v_mov_b32_e32 v1, s26
	global_atomic_min_i32 v2, v1, s[20:21]
.LBB16_15:                              ;   in Loop: Header=BB16_8 Depth=1
	s_or_b32 exec_lo, exec_lo, s23
	v_mov_b32_e32 v7, 0
	v_mov_b32_e32 v8, 0x3ff00000
.LBB16_16:                              ;   in Loop: Header=BB16_8 Depth=1
	s_or_b32 exec_lo, exec_lo, s22
	s_cmp_lt_i32 s5, 1
	s_mov_b32 s22, 0
	s_cbranch_scc1 .LBB16_21
; %bb.17:                               ;   in Loop: Header=BB16_8 Depth=1
	s_cmp_eq_u32 s5, 1
	s_cbranch_scc0 .LBB16_22
; %bb.18:                               ;   in Loop: Header=BB16_8 Depth=1
	v_dual_mov_b32 v10, v6 :: v_dual_mov_b32 v9, v5
	s_cmp_ge_i32 s28, s16
	s_mov_b32 s23, 0
	s_cbranch_scc0 .LBB16_24
; %bb.19:                               ;   in Loop: Header=BB16_8 Depth=1
	s_cmp_eq_u32 s28, s16
	s_cbranch_scc0 .LBB16_23
; %bb.20:                               ;   in Loop: Header=BB16_8 Depth=1
	v_div_scale_f64 v[9:10], null, v[7:8], v[7:8], 1.0
	v_div_scale_f64 v[19:20], vcc_lo, 1.0, v[7:8], 1.0
	s_delay_alu instid0(VALU_DEP_2) | instskip(SKIP_2) | instid1(VALU_DEP_1)
	v_rcp_f64_e32 v[11:12], v[9:10]
	s_waitcnt_depctr 0xfff
	v_fma_f64 v[17:18], -v[9:10], v[11:12], 1.0
	v_fma_f64 v[11:12], v[11:12], v[17:18], v[11:12]
	s_delay_alu instid0(VALU_DEP_1) | instskip(NEXT) | instid1(VALU_DEP_1)
	v_fma_f64 v[17:18], -v[9:10], v[11:12], 1.0
	v_fma_f64 v[11:12], v[11:12], v[17:18], v[11:12]
	s_delay_alu instid0(VALU_DEP_1) | instskip(NEXT) | instid1(VALU_DEP_1)
	v_mul_f64 v[17:18], v[19:20], v[11:12]
	v_fma_f64 v[9:10], -v[9:10], v[17:18], v[19:20]
	s_delay_alu instid0(VALU_DEP_1) | instskip(NEXT) | instid1(VALU_DEP_1)
	v_div_fmas_f64 v[9:10], v[9:10], v[11:12], v[17:18]
	v_div_fixup_f64 v[9:10], v[9:10], v[7:8], 1.0
	s_delay_alu instid0(VALU_DEP_1) | instskip(NEXT) | instid1(VALU_DEP_2)
	v_cndmask_b32_e64 v10, v6, v10, s1
	v_cndmask_b32_e64 v9, v5, v9, s1
	s_branch .LBB16_24
.LBB16_21:                              ;   in Loop: Header=BB16_8 Depth=1
	s_mov_b32 s23, 0
                                        ; implicit-def: $vgpr11_vgpr12
                                        ; implicit-def: $vgpr9_vgpr10
                                        ; implicit-def: $sgpr29
	s_cbranch_execnz .LBB16_25
	s_branch .LBB16_27
.LBB16_22:                              ;   in Loop: Header=BB16_8 Depth=1
	s_mov_b32 s23, -1
                                        ; implicit-def: $vgpr11_vgpr12
                                        ; implicit-def: $vgpr9_vgpr10
                                        ; implicit-def: $sgpr29
	s_branch .LBB16_27
.LBB16_23:                              ;   in Loop: Header=BB16_8 Depth=1
	s_mov_b32 s23, -1
                                        ; implicit-def: $vgpr9_vgpr10
.LBB16_24:                              ;   in Loop: Header=BB16_8 Depth=1
	v_dual_mov_b32 v12, v4 :: v_dual_mov_b32 v11, v3
	s_mov_b32 s29, 4
	s_branch .LBB16_27
.LBB16_25:                              ;   in Loop: Header=BB16_8 Depth=1
	s_cmp_eq_u32 s5, 0
	s_cbranch_scc1 .LBB16_31
; %bb.26:                               ;   in Loop: Header=BB16_8 Depth=1
	s_mov_b32 s23, -1
                                        ; implicit-def: $vgpr11_vgpr12
                                        ; implicit-def: $vgpr9_vgpr10
                                        ; implicit-def: $sgpr29
.LBB16_27:                              ;   in Loop: Header=BB16_8 Depth=1
	s_delay_alu instid0(SALU_CYCLE_1)
	s_and_b32 vcc_lo, exec_lo, s23
	s_cbranch_vccnz .LBB16_34
.LBB16_28:                              ;   in Loop: Header=BB16_8 Depth=1
	s_and_b32 vcc_lo, exec_lo, s22
	s_cbranch_vccnz .LBB16_39
.LBB16_29:                              ;   in Loop: Header=BB16_8 Depth=1
	s_cmp_gt_i32 s29, 3
	s_mov_b32 s22, -1
	s_cbranch_scc1 .LBB16_40
.LBB16_30:                              ;   in Loop: Header=BB16_8 Depth=1
	s_cmp_eq_u32 s29, 0
	s_cselect_b32 s23, -1, 0
	s_delay_alu instid0(SALU_CYCLE_1)
	s_and_not1_b32 vcc_lo, exec_lo, s23
	s_cbranch_vccz .LBB16_6
	s_branch .LBB16_41
.LBB16_31:                              ;   in Loop: Header=BB16_8 Depth=1
	s_cmp_le_i32 s28, s16
	s_mov_b32 s23, 0
	s_cbranch_scc0 .LBB16_33
; %bb.32:                               ;   in Loop: Header=BB16_8 Depth=1
	s_cmp_lg_u32 s28, s16
	s_mov_b32 s22, -1
	s_cselect_b32 s23, -1, 0
.LBB16_33:                              ;   in Loop: Header=BB16_8 Depth=1
	v_dual_mov_b32 v12, v4 :: v_dual_mov_b32 v11, v3
	v_dual_mov_b32 v10, v6 :: v_dual_mov_b32 v9, v5
	s_mov_b32 s29, 2
	s_and_b32 vcc_lo, exec_lo, s23
	s_cbranch_vccz .LBB16_28
.LBB16_34:                              ;   in Loop: Header=BB16_8 Depth=1
	s_and_saveexec_b32 s29, s3
	s_cbranch_execz .LBB16_36
; %bb.35:                               ;   in Loop: Header=BB16_8 Depth=1
	s_add_i32 s22, s28, s7
	s_delay_alu instid0(SALU_CYCLE_1) | instskip(NEXT) | instid1(SALU_CYCLE_1)
	s_ashr_i32 s23, s22, 31
	s_lshl_b64 s[22:23], s[22:23], 2
	s_delay_alu instid0(SALU_CYCLE_1)
	s_add_u32 s22, s10, s22
	s_addc_u32 s23, s11, s23
	global_load_b32 v1, v2, s[22:23] glc
	s_waitcnt vmcnt(0)
	v_cmp_ne_u32_e32 vcc_lo, 0, v1
	s_cbranch_vccz .LBB16_42
.LBB16_36:                              ;   in Loop: Header=BB16_8 Depth=1
	s_or_b32 exec_lo, exec_lo, s29
	v_mov_b32_e32 v11, 0
	v_mov_b32_e32 v12, 0
	s_waitcnt_vscnt null, 0x0
	s_barrier
	buffer_gl0_inv
	buffer_gl1_inv
	buffer_gl0_inv
	s_and_saveexec_b32 s22, s2
	s_cbranch_execz .LBB16_38
; %bb.37:                               ;   in Loop: Header=BB16_8 Depth=1
	s_mul_i32 s23, s28, s9
	s_mul_hi_u32 s29, s28, s8
	s_ashr_i32 s30, s28, 31
	s_add_i32 s23, s29, s23
	s_mul_i32 s30, s30, s8
	s_mul_i32 s28, s28, s8
	s_add_i32 s29, s23, s30
	s_delay_alu instid0(SALU_CYCLE_1) | instskip(NEXT) | instid1(SALU_CYCLE_1)
	s_lshl_b64 s[28:29], s[28:29], 3
	v_add_co_u32 v9, vcc_lo, v13, s28
	v_add_co_ci_u32_e32 v10, vcc_lo, s29, v14, vcc_lo
	global_load_b64 v[9:10], v[9:10], off
	s_waitcnt vmcnt(0)
	v_fma_f64 v[11:12], -v[7:8], v[9:10], v[3:4]
.LBB16_38:                              ;   in Loop: Header=BB16_8 Depth=1
	s_or_b32 exec_lo, exec_lo, s22
	v_dual_mov_b32 v10, v6 :: v_dual_mov_b32 v9, v5
	s_mov_b32 s29, 0
	s_branch .LBB16_29
.LBB16_39:                              ;   in Loop: Header=BB16_8 Depth=1
	v_div_scale_f64 v[9:10], null, v[7:8], v[7:8], 1.0
	v_div_scale_f64 v[19:20], vcc_lo, 1.0, v[7:8], 1.0
	s_mov_b32 s29, 2
	s_delay_alu instid0(VALU_DEP_2) | instskip(SKIP_2) | instid1(VALU_DEP_1)
	v_rcp_f64_e32 v[11:12], v[9:10]
	s_waitcnt_depctr 0xfff
	v_fma_f64 v[17:18], -v[9:10], v[11:12], 1.0
	v_fma_f64 v[11:12], v[11:12], v[17:18], v[11:12]
	s_delay_alu instid0(VALU_DEP_1) | instskip(NEXT) | instid1(VALU_DEP_1)
	v_fma_f64 v[17:18], -v[9:10], v[11:12], 1.0
	v_fma_f64 v[11:12], v[11:12], v[17:18], v[11:12]
	s_delay_alu instid0(VALU_DEP_1) | instskip(NEXT) | instid1(VALU_DEP_1)
	v_mul_f64 v[17:18], v[19:20], v[11:12]
	v_fma_f64 v[9:10], -v[9:10], v[17:18], v[19:20]
	s_delay_alu instid0(VALU_DEP_1) | instskip(SKIP_1) | instid1(VALU_DEP_2)
	v_div_fmas_f64 v[9:10], v[9:10], v[11:12], v[17:18]
	v_dual_mov_b32 v12, v4 :: v_dual_mov_b32 v11, v3
	v_div_fixup_f64 v[7:8], v[9:10], v[7:8], 1.0
	s_delay_alu instid0(VALU_DEP_1) | instskip(NEXT) | instid1(VALU_DEP_2)
	v_cndmask_b32_e64 v10, v6, v8, s1
	v_cndmask_b32_e64 v9, v5, v7, s1
	s_cmp_gt_i32 s29, 3
	s_mov_b32 s22, -1
	s_cbranch_scc0 .LBB16_30
.LBB16_40:                              ;   in Loop: Header=BB16_8 Depth=1
	s_branch .LBB16_6
.LBB16_41:                              ;   in Loop: Header=BB16_8 Depth=1
                                        ; implicit-def: $sgpr27
	s_branch .LBB16_7
.LBB16_42:                              ;   in Loop: Header=BB16_8 Depth=1
	s_mov_b32 s30, 0
	s_branch .LBB16_44
	.p2align	6
.LBB16_43:                              ;   in Loop: Header=BB16_44 Depth=2
	global_load_b32 v1, v2, s[22:23] glc
	s_cmpk_lt_u32 s30, 0xf43
	s_cselect_b32 s31, -1, 0
	s_delay_alu instid0(SALU_CYCLE_1)
	s_cmp_lg_u32 s31, 0
	s_addc_u32 s30, s30, 0
	s_waitcnt vmcnt(0)
	v_cmp_ne_u32_e32 vcc_lo, 0, v1
	s_cbranch_vccnz .LBB16_36
.LBB16_44:                              ;   Parent Loop BB16_8 Depth=1
                                        ; =>  This Loop Header: Depth=2
                                        ;       Child Loop BB16_45 Depth 3
	s_cmp_eq_u32 s30, 0
	s_mov_b32 s31, s30
	s_cbranch_scc1 .LBB16_43
.LBB16_45:                              ;   Parent Loop BB16_8 Depth=1
                                        ;     Parent Loop BB16_44 Depth=2
                                        ; =>    This Inner Loop Header: Depth=3
	s_add_i32 s31, s31, -1
	s_sleep 1
	s_cmp_eq_u32 s31, 0
	s_cbranch_scc0 .LBB16_45
	s_branch .LBB16_43
.LBB16_46:
	v_dual_mov_b32 v12, v4 :: v_dual_mov_b32 v11, v3
.LBB16_47:
	s_and_saveexec_b32 s0, s2
	s_cbranch_execz .LBB16_49
; %bb.48:
	s_delay_alu instid0(VALU_DEP_1) | instskip(SKIP_3) | instid1(VALU_DEP_1)
	v_mul_f64 v[1:2], v[9:10], v[11:12]
	s_cmp_eq_u32 s6, 0
	s_cselect_b32 vcc_lo, -1, 0
	s_lshl_b64 s[2:3], s[18:19], 3
	v_dual_cndmask_b32 v2, v12, v2 :: v_dual_cndmask_b32 v1, v11, v1
	v_add_co_u32 v3, vcc_lo, v13, s2
	v_add_co_ci_u32_e32 v4, vcc_lo, s3, v14, vcc_lo
	global_store_b64 v[3:4], v[1:2], off
.LBB16_49:
	s_or_b32 exec_lo, exec_lo, s0
	s_waitcnt_vscnt null, 0x0
	buffer_gl1_inv
	buffer_gl0_inv
	s_barrier
	buffer_gl0_inv
	s_mov_b32 s0, exec_lo
	v_cmpx_eq_u32_e32 0, v0
	s_cbranch_execz .LBB16_51
; %bb.50:
	s_add_i32 s0, s16, s7
	v_dual_mov_b32 v0, 0 :: v_dual_mov_b32 v1, 1
	s_ashr_i32 s1, s0, 31
	s_delay_alu instid0(SALU_CYCLE_1) | instskip(NEXT) | instid1(SALU_CYCLE_1)
	s_lshl_b64 s[0:1], s[0:1], 2
	s_add_u32 s0, s10, s0
	s_addc_u32 s1, s11, s1
	global_store_b32 v0, v1, s[0:1]
.LBB16_51:
	s_nop 0
	s_sendmsg sendmsg(MSG_DEALLOC_VGPRS)
	s_endpgm
	.section	.rodata,"a",@progbits
	.p2align	6, 0x0
	.amdhsa_kernel _ZN9rocsparseL5csrsmILj256ELj64ELb1EiidEEv20rocsparse_operation_T3_S2_NS_24const_host_device_scalarIT4_EEPKT2_PKS2_PKS4_PS4_lPiSA_PS2_21rocsparse_index_base_20rocsparse_fill_mode_20rocsparse_diag_type_b
		.amdhsa_group_segment_fixed_size 3072
		.amdhsa_private_segment_fixed_size 0
		.amdhsa_kernarg_size 104
		.amdhsa_user_sgpr_count 15
		.amdhsa_user_sgpr_dispatch_ptr 0
		.amdhsa_user_sgpr_queue_ptr 0
		.amdhsa_user_sgpr_kernarg_segment_ptr 1
		.amdhsa_user_sgpr_dispatch_id 0
		.amdhsa_user_sgpr_private_segment_size 0
		.amdhsa_wavefront_size32 1
		.amdhsa_uses_dynamic_stack 0
		.amdhsa_enable_private_segment 0
		.amdhsa_system_sgpr_workgroup_id_x 1
		.amdhsa_system_sgpr_workgroup_id_y 0
		.amdhsa_system_sgpr_workgroup_id_z 0
		.amdhsa_system_sgpr_workgroup_info 0
		.amdhsa_system_vgpr_workitem_id 0
		.amdhsa_next_free_vgpr 21
		.amdhsa_next_free_sgpr 32
		.amdhsa_reserve_vcc 1
		.amdhsa_float_round_mode_32 0
		.amdhsa_float_round_mode_16_64 0
		.amdhsa_float_denorm_mode_32 3
		.amdhsa_float_denorm_mode_16_64 3
		.amdhsa_dx10_clamp 1
		.amdhsa_ieee_mode 1
		.amdhsa_fp16_overflow 0
		.amdhsa_workgroup_processor_mode 1
		.amdhsa_memory_ordered 1
		.amdhsa_forward_progress 0
		.amdhsa_shared_vgpr_count 0
		.amdhsa_exception_fp_ieee_invalid_op 0
		.amdhsa_exception_fp_denorm_src 0
		.amdhsa_exception_fp_ieee_div_zero 0
		.amdhsa_exception_fp_ieee_overflow 0
		.amdhsa_exception_fp_ieee_underflow 0
		.amdhsa_exception_fp_ieee_inexact 0
		.amdhsa_exception_int_div_zero 0
	.end_amdhsa_kernel
	.section	.text._ZN9rocsparseL5csrsmILj256ELj64ELb1EiidEEv20rocsparse_operation_T3_S2_NS_24const_host_device_scalarIT4_EEPKT2_PKS2_PKS4_PS4_lPiSA_PS2_21rocsparse_index_base_20rocsparse_fill_mode_20rocsparse_diag_type_b,"axG",@progbits,_ZN9rocsparseL5csrsmILj256ELj64ELb1EiidEEv20rocsparse_operation_T3_S2_NS_24const_host_device_scalarIT4_EEPKT2_PKS2_PKS4_PS4_lPiSA_PS2_21rocsparse_index_base_20rocsparse_fill_mode_20rocsparse_diag_type_b,comdat
.Lfunc_end16:
	.size	_ZN9rocsparseL5csrsmILj256ELj64ELb1EiidEEv20rocsparse_operation_T3_S2_NS_24const_host_device_scalarIT4_EEPKT2_PKS2_PKS4_PS4_lPiSA_PS2_21rocsparse_index_base_20rocsparse_fill_mode_20rocsparse_diag_type_b, .Lfunc_end16-_ZN9rocsparseL5csrsmILj256ELj64ELb1EiidEEv20rocsparse_operation_T3_S2_NS_24const_host_device_scalarIT4_EEPKT2_PKS2_PKS4_PS4_lPiSA_PS2_21rocsparse_index_base_20rocsparse_fill_mode_20rocsparse_diag_type_b
                                        ; -- End function
	.section	.AMDGPU.csdata,"",@progbits
; Kernel info:
; codeLenInByte = 1884
; NumSgprs: 34
; NumVgprs: 21
; ScratchSize: 0
; MemoryBound: 0
; FloatMode: 240
; IeeeMode: 1
; LDSByteSize: 3072 bytes/workgroup (compile time only)
; SGPRBlocks: 4
; VGPRBlocks: 2
; NumSGPRsForWavesPerEU: 34
; NumVGPRsForWavesPerEU: 21
; Occupancy: 16
; WaveLimiterHint : 1
; COMPUTE_PGM_RSRC2:SCRATCH_EN: 0
; COMPUTE_PGM_RSRC2:USER_SGPR: 15
; COMPUTE_PGM_RSRC2:TRAP_HANDLER: 0
; COMPUTE_PGM_RSRC2:TGID_X_EN: 1
; COMPUTE_PGM_RSRC2:TGID_Y_EN: 0
; COMPUTE_PGM_RSRC2:TGID_Z_EN: 0
; COMPUTE_PGM_RSRC2:TIDIG_COMP_CNT: 0
	.section	.text._ZN9rocsparseL5csrsmILj256ELj64ELb0EiidEEv20rocsparse_operation_T3_S2_NS_24const_host_device_scalarIT4_EEPKT2_PKS2_PKS4_PS4_lPiSA_PS2_21rocsparse_index_base_20rocsparse_fill_mode_20rocsparse_diag_type_b,"axG",@progbits,_ZN9rocsparseL5csrsmILj256ELj64ELb0EiidEEv20rocsparse_operation_T3_S2_NS_24const_host_device_scalarIT4_EEPKT2_PKS2_PKS4_PS4_lPiSA_PS2_21rocsparse_index_base_20rocsparse_fill_mode_20rocsparse_diag_type_b,comdat
	.globl	_ZN9rocsparseL5csrsmILj256ELj64ELb0EiidEEv20rocsparse_operation_T3_S2_NS_24const_host_device_scalarIT4_EEPKT2_PKS2_PKS4_PS4_lPiSA_PS2_21rocsparse_index_base_20rocsparse_fill_mode_20rocsparse_diag_type_b ; -- Begin function _ZN9rocsparseL5csrsmILj256ELj64ELb0EiidEEv20rocsparse_operation_T3_S2_NS_24const_host_device_scalarIT4_EEPKT2_PKS2_PKS4_PS4_lPiSA_PS2_21rocsparse_index_base_20rocsparse_fill_mode_20rocsparse_diag_type_b
	.p2align	8
	.type	_ZN9rocsparseL5csrsmILj256ELj64ELb0EiidEEv20rocsparse_operation_T3_S2_NS_24const_host_device_scalarIT4_EEPKT2_PKS2_PKS4_PS4_lPiSA_PS2_21rocsparse_index_base_20rocsparse_fill_mode_20rocsparse_diag_type_b,@function
_ZN9rocsparseL5csrsmILj256ELj64ELb0EiidEEv20rocsparse_operation_T3_S2_NS_24const_host_device_scalarIT4_EEPKT2_PKS2_PKS4_PS4_lPiSA_PS2_21rocsparse_index_base_20rocsparse_fill_mode_20rocsparse_diag_type_b: ; @_ZN9rocsparseL5csrsmILj256ELj64ELb0EiidEEv20rocsparse_operation_T3_S2_NS_24const_host_device_scalarIT4_EEPKT2_PKS2_PKS4_PS4_lPiSA_PS2_21rocsparse_index_base_20rocsparse_fill_mode_20rocsparse_diag_type_b
; %bb.0:
	s_clause 0x3
	s_load_b128 s[4:7], s[0:1], 0x58
	s_load_b128 s[16:19], s[0:1], 0x10
	s_load_b64 s[2:3], s[0:1], 0x48
	s_load_b64 s[12:13], s[0:1], 0x30
	s_waitcnt lgkmcnt(0)
	s_bitcmp1_b32 s7, 0
	v_dual_mov_b32 v1, s16 :: v_dual_mov_b32 v2, s17
	s_cselect_b32 s7, -1, 0
	s_delay_alu instid0(SALU_CYCLE_1)
	s_and_b32 vcc_lo, exec_lo, s7
	s_cbranch_vccnz .LBB17_2
; %bb.1:
	v_dual_mov_b32 v1, s16 :: v_dual_mov_b32 v2, s17
	flat_load_b64 v[1:2], v[1:2]
.LBB17_2:
	s_load_b64 s[20:21], s[0:1], 0x4
	s_waitcnt lgkmcnt(0)
	v_cvt_f32_u32_e32 v3, s20
	s_sub_i32 s8, 0, s20
	s_delay_alu instid0(VALU_DEP_1) | instskip(SKIP_2) | instid1(VALU_DEP_1)
	v_rcp_iflag_f32_e32 v3, v3
	s_waitcnt_depctr 0xfff
	v_mul_f32_e32 v3, 0x4f7ffffe, v3
	v_cvt_u32_f32_e32 v3, v3
	s_delay_alu instid0(VALU_DEP_1) | instskip(SKIP_2) | instid1(VALU_DEP_3)
	v_readfirstlane_b32 s7, v3
	v_mov_b32_e32 v3, 0
	v_mov_b32_e32 v4, 0
	s_mul_i32 s8, s8, s7
	s_delay_alu instid0(SALU_CYCLE_1) | instskip(NEXT) | instid1(SALU_CYCLE_1)
	s_mul_hi_u32 s8, s7, s8
	s_add_i32 s7, s7, s8
	s_delay_alu instid0(SALU_CYCLE_1) | instskip(NEXT) | instid1(SALU_CYCLE_1)
	s_mul_hi_u32 s7, s15, s7
	s_mul_i32 s8, s7, s20
	s_add_i32 s9, s7, 1
	s_sub_i32 s8, s15, s8
	s_delay_alu instid0(SALU_CYCLE_1)
	s_sub_i32 s10, s8, s20
	s_cmp_ge_u32 s8, s20
	s_cselect_b32 s7, s9, s7
	s_cselect_b32 s8, s10, s8
	s_add_i32 s9, s7, 1
	s_cmp_ge_u32 s8, s20
	s_cselect_b32 s14, s9, s7
	s_delay_alu instid0(SALU_CYCLE_1) | instskip(SKIP_2) | instid1(SALU_CYCLE_1)
	s_mul_i32 s7, s14, s20
	v_lshl_or_b32 v5, s14, 8, v0
	s_sub_i32 s8, s15, s7
	s_ashr_i32 s9, s8, 31
	s_delay_alu instid0(VALU_DEP_1) | instskip(SKIP_1) | instid1(SALU_CYCLE_1)
	v_ashrrev_i32_e32 v6, 31, v5
	s_lshl_b64 s[8:9], s[8:9], 2
	s_add_u32 s2, s2, s8
	s_addc_u32 s3, s3, s9
	s_load_b32 s16, s[2:3], 0x0
	s_load_b128 s[8:11], s[0:1], 0x38
	s_waitcnt lgkmcnt(0)
	s_ashr_i32 s17, s16, 31
	s_delay_alu instid0(SALU_CYCLE_1)
	s_lshl_b64 s[2:3], s[16:17], 2
	s_mul_i32 s14, s17, s8
	s_add_u32 s2, s18, s2
	s_addc_u32 s3, s19, s3
	s_mul_i32 s18, s16, s8
	s_load_b64 s[22:23], s[2:3], 0x0
	s_mul_i32 s2, s16, s9
	s_mul_hi_u32 s3, s16, s8
	s_delay_alu instid0(SALU_CYCLE_1) | instskip(SKIP_2) | instid1(VALU_DEP_1)
	s_add_i32 s3, s3, s2
	v_cmp_gt_i32_e64 s2, s21, v5
	s_add_i32 s19, s3, s14
	s_and_saveexec_b32 s3, s2
	s_cbranch_execz .LBB17_4
; %bb.3:
	v_add_co_u32 v3, vcc_lo, s18, v5
	v_add_co_ci_u32_e32 v4, vcc_lo, s19, v6, vcc_lo
	s_delay_alu instid0(VALU_DEP_1) | instskip(NEXT) | instid1(VALU_DEP_1)
	v_lshlrev_b64 v[3:4], 3, v[3:4]
	v_add_co_u32 v3, vcc_lo, s12, v3
	s_delay_alu instid0(VALU_DEP_2)
	v_add_co_ci_u32_e32 v4, vcc_lo, s13, v4, vcc_lo
	global_load_b64 v[3:4], v[3:4], off
	s_waitcnt vmcnt(0)
	v_mul_f64 v[3:4], v[1:2], v[3:4]
.LBB17_4:
	s_or_b32 exec_lo, exec_lo, s3
	s_waitcnt vmcnt(0)
	v_lshlrev_b64 v[1:2], 3, v[5:6]
	v_mov_b32_e32 v9, 0
	v_mov_b32_e32 v10, 0x3ff00000
	v_cmp_eq_u32_e64 s3, 0, v0
	s_waitcnt lgkmcnt(0)
	s_cmp_ge_i32 s22, s23
	v_add_co_u32 v13, vcc_lo, s12, v1
	v_add_co_ci_u32_e32 v14, vcc_lo, s13, v2, vcc_lo
	s_cbranch_scc1 .LBB17_43
; %bb.5:
	s_clause 0x1
	s_load_b64 s[20:21], s[0:1], 0x50
	s_load_b128 s[12:15], s[0:1], 0x20
	s_sub_i32 s17, s22, s4
	s_sub_i32 s24, s23, s4
	s_cmp_lg_u32 s6, 0
	v_dual_mov_b32 v5, 0 :: v_dual_lshlrev_b32 v16, 3, v0
	v_lshl_or_b32 v15, v0, 2, 0x800
	s_cselect_b32 s25, -1, 0
	v_cmp_ne_u32_e64 s0, 0, v0
	s_add_i32 s26, s16, s4
	v_mov_b32_e32 v6, 0x3ff00000
	v_mov_b32_e32 v2, 0
	s_cmp_eq_u32 s6, 0
	s_mov_b32 s27, s17
	s_cselect_b32 s1, -1, 0
	s_branch .LBB17_8
.LBB17_6:                               ;   in Loop: Header=BB17_8 Depth=1
	s_add_i32 s27, s27, 1
	s_delay_alu instid0(SALU_CYCLE_1)
	s_cmp_ge_i32 s27, s24
	s_cselect_b32 s22, -1, 0
.LBB17_7:                               ;   in Loop: Header=BB17_8 Depth=1
	s_delay_alu instid0(VALU_DEP_2)
	v_dual_mov_b32 v3, v11 :: v_dual_mov_b32 v4, v12
	v_dual_mov_b32 v5, v9 :: v_dual_mov_b32 v6, v10
	s_and_not1_b32 vcc_lo, exec_lo, s22
	s_cbranch_vccz .LBB17_44
.LBB17_8:                               ; =>This Loop Header: Depth=1
                                        ;     Child Loop BB17_36 Depth 2
	s_sub_i32 s22, s27, s17
	s_delay_alu instid0(SALU_CYCLE_1) | instskip(NEXT) | instid1(SALU_CYCLE_1)
	s_and_b32 s22, s22, 0xff
	s_cmp_lg_u32 s22, 0
	s_cbranch_scc1 .LBB17_12
; %bb.9:                                ;   in Loop: Header=BB17_8 Depth=1
	s_sub_i32 s23, s24, s27
	v_mov_b32_e32 v7, 0
	v_dual_mov_b32 v8, 0xbff00000 :: v_dual_mov_b32 v1, -1
	v_cmp_gt_u32_e32 vcc_lo, s23, v0
	s_and_saveexec_b32 s23, vcc_lo
	s_cbranch_execz .LBB17_11
; %bb.10:                               ;   in Loop: Header=BB17_8 Depth=1
	v_add_nc_u32_e32 v1, s27, v0
	s_delay_alu instid0(VALU_DEP_1) | instskip(SKIP_2) | instid1(VALU_DEP_2)
	v_lshlrev_b64 v[7:8], 2, v[1:2]
	v_lshlrev_b64 v[9:10], 3, v[1:2]
	s_waitcnt lgkmcnt(0)
	v_add_co_u32 v7, vcc_lo, s12, v7
	s_delay_alu instid0(VALU_DEP_3)
	v_add_co_ci_u32_e32 v8, vcc_lo, s13, v8, vcc_lo
	global_load_b32 v1, v[7:8], off
	v_add_co_u32 v7, vcc_lo, s14, v9
	v_add_co_ci_u32_e32 v8, vcc_lo, s15, v10, vcc_lo
	global_load_b64 v[7:8], v[7:8], off
	s_waitcnt vmcnt(1)
	v_subrev_nc_u32_e32 v1, s4, v1
.LBB17_11:                              ;   in Loop: Header=BB17_8 Depth=1
	s_or_b32 exec_lo, exec_lo, s23
	ds_store_b32 v15, v1
	s_waitcnt vmcnt(0)
	ds_store_b64 v16, v[7:8]
.LBB17_12:                              ;   in Loop: Header=BB17_8 Depth=1
	s_lshl_b32 s23, s22, 3
	s_waitcnt lgkmcnt(0)
	v_mov_b32_e32 v1, s23
	s_waitcnt_vscnt null, 0x0
	s_barrier
	buffer_gl0_inv
	s_lshl_b32 s22, s22, 2
	ds_load_b64 v[7:8], v1
	v_mov_b32_e32 v1, s22
	ds_load_b32 v1, v1 offset:2048
	s_waitcnt lgkmcnt(1)
	v_cmp_neq_f64_e32 vcc_lo, 0, v[7:8]
	s_waitcnt lgkmcnt(0)
	v_readfirstlane_b32 s28, v1
	s_delay_alu instid0(VALU_DEP_1) | instskip(SKIP_1) | instid1(SALU_CYCLE_1)
	s_cmp_lg_u32 s28, s16
	s_cselect_b32 s22, -1, 0
	s_or_b32 s22, s25, s22
	s_delay_alu instid0(SALU_CYCLE_1) | instskip(SKIP_3) | instid1(SALU_CYCLE_1)
	s_or_b32 vcc_lo, vcc_lo, s22
	v_cndmask_b32_e32 v8, 0x3ff00000, v8, vcc_lo
	v_cndmask_b32_e32 v7, 0, v7, vcc_lo
	s_or_b32 s22, s0, vcc_lo
	s_xor_b32 s23, s22, -1
	s_delay_alu instid0(SALU_CYCLE_1)
	s_and_saveexec_b32 s22, s23
	s_cbranch_execz .LBB17_16
; %bb.13:                               ;   in Loop: Header=BB17_8 Depth=1
	v_mbcnt_lo_u32_b32 v1, exec_lo, 0
	s_mov_b32 s23, exec_lo
	s_delay_alu instid0(VALU_DEP_1)
	v_cmpx_eq_u32_e32 0, v1
	s_cbranch_execz .LBB17_15
; %bb.14:                               ;   in Loop: Header=BB17_8 Depth=1
	v_mov_b32_e32 v1, s26
	global_atomic_min_i32 v2, v1, s[20:21]
.LBB17_15:                              ;   in Loop: Header=BB17_8 Depth=1
	s_or_b32 exec_lo, exec_lo, s23
	v_mov_b32_e32 v7, 0
	v_mov_b32_e32 v8, 0x3ff00000
.LBB17_16:                              ;   in Loop: Header=BB17_8 Depth=1
	s_or_b32 exec_lo, exec_lo, s22
	s_cmp_lt_i32 s5, 1
	s_mov_b32 s22, 0
	s_cbranch_scc1 .LBB17_21
; %bb.17:                               ;   in Loop: Header=BB17_8 Depth=1
	s_cmp_eq_u32 s5, 1
	s_cbranch_scc0 .LBB17_22
; %bb.18:                               ;   in Loop: Header=BB17_8 Depth=1
	v_dual_mov_b32 v10, v6 :: v_dual_mov_b32 v9, v5
	s_cmp_ge_i32 s28, s16
	s_mov_b32 s23, 0
	s_cbranch_scc0 .LBB17_24
; %bb.19:                               ;   in Loop: Header=BB17_8 Depth=1
	s_cmp_eq_u32 s28, s16
	s_cbranch_scc0 .LBB17_23
; %bb.20:                               ;   in Loop: Header=BB17_8 Depth=1
	v_div_scale_f64 v[9:10], null, v[7:8], v[7:8], 1.0
	v_div_scale_f64 v[19:20], vcc_lo, 1.0, v[7:8], 1.0
	s_delay_alu instid0(VALU_DEP_2) | instskip(SKIP_2) | instid1(VALU_DEP_1)
	v_rcp_f64_e32 v[11:12], v[9:10]
	s_waitcnt_depctr 0xfff
	v_fma_f64 v[17:18], -v[9:10], v[11:12], 1.0
	v_fma_f64 v[11:12], v[11:12], v[17:18], v[11:12]
	s_delay_alu instid0(VALU_DEP_1) | instskip(NEXT) | instid1(VALU_DEP_1)
	v_fma_f64 v[17:18], -v[9:10], v[11:12], 1.0
	v_fma_f64 v[11:12], v[11:12], v[17:18], v[11:12]
	s_delay_alu instid0(VALU_DEP_1) | instskip(NEXT) | instid1(VALU_DEP_1)
	v_mul_f64 v[17:18], v[19:20], v[11:12]
	v_fma_f64 v[9:10], -v[9:10], v[17:18], v[19:20]
	s_delay_alu instid0(VALU_DEP_1) | instskip(NEXT) | instid1(VALU_DEP_1)
	v_div_fmas_f64 v[9:10], v[9:10], v[11:12], v[17:18]
	v_div_fixup_f64 v[9:10], v[9:10], v[7:8], 1.0
	s_delay_alu instid0(VALU_DEP_1) | instskip(NEXT) | instid1(VALU_DEP_2)
	v_cndmask_b32_e64 v10, v6, v10, s1
	v_cndmask_b32_e64 v9, v5, v9, s1
	s_branch .LBB17_24
.LBB17_21:                              ;   in Loop: Header=BB17_8 Depth=1
	s_mov_b32 s23, 0
                                        ; implicit-def: $vgpr11_vgpr12
                                        ; implicit-def: $vgpr9_vgpr10
                                        ; implicit-def: $sgpr29
	s_cbranch_execnz .LBB17_25
	s_branch .LBB17_27
.LBB17_22:                              ;   in Loop: Header=BB17_8 Depth=1
	s_mov_b32 s23, -1
                                        ; implicit-def: $vgpr11_vgpr12
                                        ; implicit-def: $vgpr9_vgpr10
                                        ; implicit-def: $sgpr29
	s_branch .LBB17_27
.LBB17_23:                              ;   in Loop: Header=BB17_8 Depth=1
	s_mov_b32 s23, -1
                                        ; implicit-def: $vgpr9_vgpr10
.LBB17_24:                              ;   in Loop: Header=BB17_8 Depth=1
	v_dual_mov_b32 v12, v4 :: v_dual_mov_b32 v11, v3
	s_mov_b32 s29, 4
	s_branch .LBB17_27
.LBB17_25:                              ;   in Loop: Header=BB17_8 Depth=1
	s_cmp_eq_u32 s5, 0
	s_cbranch_scc1 .LBB17_31
; %bb.26:                               ;   in Loop: Header=BB17_8 Depth=1
	s_mov_b32 s23, -1
                                        ; implicit-def: $vgpr11_vgpr12
                                        ; implicit-def: $vgpr9_vgpr10
                                        ; implicit-def: $sgpr29
.LBB17_27:                              ;   in Loop: Header=BB17_8 Depth=1
	s_delay_alu instid0(SALU_CYCLE_1)
	s_and_b32 vcc_lo, exec_lo, s23
	s_cbranch_vccnz .LBB17_34
.LBB17_28:                              ;   in Loop: Header=BB17_8 Depth=1
	s_and_b32 vcc_lo, exec_lo, s22
	s_cbranch_vccnz .LBB17_40
.LBB17_29:                              ;   in Loop: Header=BB17_8 Depth=1
	s_cmp_gt_i32 s29, 3
	s_mov_b32 s22, -1
	s_cbranch_scc1 .LBB17_41
.LBB17_30:                              ;   in Loop: Header=BB17_8 Depth=1
	s_cmp_eq_u32 s29, 0
	s_cselect_b32 s23, -1, 0
	s_delay_alu instid0(SALU_CYCLE_1)
	s_and_not1_b32 vcc_lo, exec_lo, s23
	s_cbranch_vccz .LBB17_6
	s_branch .LBB17_42
.LBB17_31:                              ;   in Loop: Header=BB17_8 Depth=1
	s_cmp_le_i32 s28, s16
	s_mov_b32 s23, 0
	s_cbranch_scc0 .LBB17_33
; %bb.32:                               ;   in Loop: Header=BB17_8 Depth=1
	s_cmp_lg_u32 s28, s16
	s_mov_b32 s22, -1
	s_cselect_b32 s23, -1, 0
.LBB17_33:                              ;   in Loop: Header=BB17_8 Depth=1
	v_dual_mov_b32 v12, v4 :: v_dual_mov_b32 v11, v3
	v_dual_mov_b32 v10, v6 :: v_dual_mov_b32 v9, v5
	s_mov_b32 s29, 2
	s_and_b32 vcc_lo, exec_lo, s23
	s_cbranch_vccz .LBB17_28
.LBB17_34:                              ;   in Loop: Header=BB17_8 Depth=1
	s_and_saveexec_b32 s29, s3
	s_cbranch_execz .LBB17_37
; %bb.35:                               ;   in Loop: Header=BB17_8 Depth=1
	s_add_i32 s22, s28, s7
	s_delay_alu instid0(SALU_CYCLE_1) | instskip(NEXT) | instid1(SALU_CYCLE_1)
	s_ashr_i32 s23, s22, 31
	s_lshl_b64 s[22:23], s[22:23], 2
	s_delay_alu instid0(SALU_CYCLE_1)
	s_add_u32 s22, s10, s22
	s_addc_u32 s23, s11, s23
	global_load_b32 v1, v2, s[22:23] glc
	s_waitcnt vmcnt(0)
	v_cmp_ne_u32_e32 vcc_lo, 0, v1
	s_cbranch_vccnz .LBB17_37
.LBB17_36:                              ;   Parent Loop BB17_8 Depth=1
                                        ; =>  This Inner Loop Header: Depth=2
	global_load_b32 v1, v2, s[22:23] glc
	s_waitcnt vmcnt(0)
	v_cmp_eq_u32_e32 vcc_lo, 0, v1
	s_cbranch_vccnz .LBB17_36
.LBB17_37:                              ;   in Loop: Header=BB17_8 Depth=1
	s_or_b32 exec_lo, exec_lo, s29
	v_mov_b32_e32 v11, 0
	v_mov_b32_e32 v12, 0
	s_waitcnt_vscnt null, 0x0
	s_barrier
	buffer_gl0_inv
	buffer_gl1_inv
	buffer_gl0_inv
	s_and_saveexec_b32 s22, s2
	s_cbranch_execz .LBB17_39
; %bb.38:                               ;   in Loop: Header=BB17_8 Depth=1
	s_mul_i32 s23, s28, s9
	s_mul_hi_u32 s29, s28, s8
	s_ashr_i32 s30, s28, 31
	s_add_i32 s23, s29, s23
	s_mul_i32 s30, s30, s8
	s_mul_i32 s28, s28, s8
	s_add_i32 s29, s23, s30
	s_delay_alu instid0(SALU_CYCLE_1) | instskip(NEXT) | instid1(SALU_CYCLE_1)
	s_lshl_b64 s[28:29], s[28:29], 3
	v_add_co_u32 v9, vcc_lo, v13, s28
	v_add_co_ci_u32_e32 v10, vcc_lo, s29, v14, vcc_lo
	global_load_b64 v[9:10], v[9:10], off
	s_waitcnt vmcnt(0)
	v_fma_f64 v[11:12], -v[7:8], v[9:10], v[3:4]
.LBB17_39:                              ;   in Loop: Header=BB17_8 Depth=1
	s_or_b32 exec_lo, exec_lo, s22
	v_dual_mov_b32 v10, v6 :: v_dual_mov_b32 v9, v5
	s_mov_b32 s29, 0
	s_branch .LBB17_29
.LBB17_40:                              ;   in Loop: Header=BB17_8 Depth=1
	v_div_scale_f64 v[9:10], null, v[7:8], v[7:8], 1.0
	v_div_scale_f64 v[19:20], vcc_lo, 1.0, v[7:8], 1.0
	s_mov_b32 s29, 2
	s_delay_alu instid0(VALU_DEP_2) | instskip(SKIP_2) | instid1(VALU_DEP_1)
	v_rcp_f64_e32 v[11:12], v[9:10]
	s_waitcnt_depctr 0xfff
	v_fma_f64 v[17:18], -v[9:10], v[11:12], 1.0
	v_fma_f64 v[11:12], v[11:12], v[17:18], v[11:12]
	s_delay_alu instid0(VALU_DEP_1) | instskip(NEXT) | instid1(VALU_DEP_1)
	v_fma_f64 v[17:18], -v[9:10], v[11:12], 1.0
	v_fma_f64 v[11:12], v[11:12], v[17:18], v[11:12]
	s_delay_alu instid0(VALU_DEP_1) | instskip(NEXT) | instid1(VALU_DEP_1)
	v_mul_f64 v[17:18], v[19:20], v[11:12]
	v_fma_f64 v[9:10], -v[9:10], v[17:18], v[19:20]
	s_delay_alu instid0(VALU_DEP_1) | instskip(SKIP_1) | instid1(VALU_DEP_2)
	v_div_fmas_f64 v[9:10], v[9:10], v[11:12], v[17:18]
	v_dual_mov_b32 v12, v4 :: v_dual_mov_b32 v11, v3
	v_div_fixup_f64 v[7:8], v[9:10], v[7:8], 1.0
	s_delay_alu instid0(VALU_DEP_1) | instskip(NEXT) | instid1(VALU_DEP_2)
	v_cndmask_b32_e64 v10, v6, v8, s1
	v_cndmask_b32_e64 v9, v5, v7, s1
	s_cmp_gt_i32 s29, 3
	s_mov_b32 s22, -1
	s_cbranch_scc0 .LBB17_30
.LBB17_41:                              ;   in Loop: Header=BB17_8 Depth=1
	s_branch .LBB17_6
.LBB17_42:                              ;   in Loop: Header=BB17_8 Depth=1
                                        ; implicit-def: $sgpr27
	s_branch .LBB17_7
.LBB17_43:
	v_dual_mov_b32 v12, v4 :: v_dual_mov_b32 v11, v3
.LBB17_44:
	s_and_saveexec_b32 s0, s2
	s_cbranch_execz .LBB17_46
; %bb.45:
	s_delay_alu instid0(VALU_DEP_1) | instskip(SKIP_3) | instid1(VALU_DEP_1)
	v_mul_f64 v[1:2], v[9:10], v[11:12]
	s_cmp_eq_u32 s6, 0
	s_cselect_b32 vcc_lo, -1, 0
	s_lshl_b64 s[2:3], s[18:19], 3
	v_dual_cndmask_b32 v2, v12, v2 :: v_dual_cndmask_b32 v1, v11, v1
	v_add_co_u32 v3, vcc_lo, v13, s2
	v_add_co_ci_u32_e32 v4, vcc_lo, s3, v14, vcc_lo
	global_store_b64 v[3:4], v[1:2], off
.LBB17_46:
	s_or_b32 exec_lo, exec_lo, s0
	s_waitcnt_vscnt null, 0x0
	buffer_gl1_inv
	buffer_gl0_inv
	s_barrier
	buffer_gl0_inv
	s_mov_b32 s0, exec_lo
	v_cmpx_eq_u32_e32 0, v0
	s_cbranch_execz .LBB17_48
; %bb.47:
	s_add_i32 s0, s16, s7
	v_dual_mov_b32 v0, 0 :: v_dual_mov_b32 v1, 1
	s_ashr_i32 s1, s0, 31
	s_delay_alu instid0(SALU_CYCLE_1) | instskip(NEXT) | instid1(SALU_CYCLE_1)
	s_lshl_b64 s[0:1], s[0:1], 2
	s_add_u32 s0, s10, s0
	s_addc_u32 s1, s11, s1
	global_store_b32 v0, v1, s[0:1]
.LBB17_48:
	s_nop 0
	s_sendmsg sendmsg(MSG_DEALLOC_VGPRS)
	s_endpgm
	.section	.rodata,"a",@progbits
	.p2align	6, 0x0
	.amdhsa_kernel _ZN9rocsparseL5csrsmILj256ELj64ELb0EiidEEv20rocsparse_operation_T3_S2_NS_24const_host_device_scalarIT4_EEPKT2_PKS2_PKS4_PS4_lPiSA_PS2_21rocsparse_index_base_20rocsparse_fill_mode_20rocsparse_diag_type_b
		.amdhsa_group_segment_fixed_size 3072
		.amdhsa_private_segment_fixed_size 0
		.amdhsa_kernarg_size 104
		.amdhsa_user_sgpr_count 15
		.amdhsa_user_sgpr_dispatch_ptr 0
		.amdhsa_user_sgpr_queue_ptr 0
		.amdhsa_user_sgpr_kernarg_segment_ptr 1
		.amdhsa_user_sgpr_dispatch_id 0
		.amdhsa_user_sgpr_private_segment_size 0
		.amdhsa_wavefront_size32 1
		.amdhsa_uses_dynamic_stack 0
		.amdhsa_enable_private_segment 0
		.amdhsa_system_sgpr_workgroup_id_x 1
		.amdhsa_system_sgpr_workgroup_id_y 0
		.amdhsa_system_sgpr_workgroup_id_z 0
		.amdhsa_system_sgpr_workgroup_info 0
		.amdhsa_system_vgpr_workitem_id 0
		.amdhsa_next_free_vgpr 21
		.amdhsa_next_free_sgpr 31
		.amdhsa_reserve_vcc 1
		.amdhsa_float_round_mode_32 0
		.amdhsa_float_round_mode_16_64 0
		.amdhsa_float_denorm_mode_32 3
		.amdhsa_float_denorm_mode_16_64 3
		.amdhsa_dx10_clamp 1
		.amdhsa_ieee_mode 1
		.amdhsa_fp16_overflow 0
		.amdhsa_workgroup_processor_mode 1
		.amdhsa_memory_ordered 1
		.amdhsa_forward_progress 0
		.amdhsa_shared_vgpr_count 0
		.amdhsa_exception_fp_ieee_invalid_op 0
		.amdhsa_exception_fp_denorm_src 0
		.amdhsa_exception_fp_ieee_div_zero 0
		.amdhsa_exception_fp_ieee_overflow 0
		.amdhsa_exception_fp_ieee_underflow 0
		.amdhsa_exception_fp_ieee_inexact 0
		.amdhsa_exception_int_div_zero 0
	.end_amdhsa_kernel
	.section	.text._ZN9rocsparseL5csrsmILj256ELj64ELb0EiidEEv20rocsparse_operation_T3_S2_NS_24const_host_device_scalarIT4_EEPKT2_PKS2_PKS4_PS4_lPiSA_PS2_21rocsparse_index_base_20rocsparse_fill_mode_20rocsparse_diag_type_b,"axG",@progbits,_ZN9rocsparseL5csrsmILj256ELj64ELb0EiidEEv20rocsparse_operation_T3_S2_NS_24const_host_device_scalarIT4_EEPKT2_PKS2_PKS4_PS4_lPiSA_PS2_21rocsparse_index_base_20rocsparse_fill_mode_20rocsparse_diag_type_b,comdat
.Lfunc_end17:
	.size	_ZN9rocsparseL5csrsmILj256ELj64ELb0EiidEEv20rocsparse_operation_T3_S2_NS_24const_host_device_scalarIT4_EEPKT2_PKS2_PKS4_PS4_lPiSA_PS2_21rocsparse_index_base_20rocsparse_fill_mode_20rocsparse_diag_type_b, .Lfunc_end17-_ZN9rocsparseL5csrsmILj256ELj64ELb0EiidEEv20rocsparse_operation_T3_S2_NS_24const_host_device_scalarIT4_EEPKT2_PKS2_PKS4_PS4_lPiSA_PS2_21rocsparse_index_base_20rocsparse_fill_mode_20rocsparse_diag_type_b
                                        ; -- End function
	.section	.AMDGPU.csdata,"",@progbits
; Kernel info:
; codeLenInByte = 1824
; NumSgprs: 33
; NumVgprs: 21
; ScratchSize: 0
; MemoryBound: 0
; FloatMode: 240
; IeeeMode: 1
; LDSByteSize: 3072 bytes/workgroup (compile time only)
; SGPRBlocks: 4
; VGPRBlocks: 2
; NumSGPRsForWavesPerEU: 33
; NumVGPRsForWavesPerEU: 21
; Occupancy: 16
; WaveLimiterHint : 1
; COMPUTE_PGM_RSRC2:SCRATCH_EN: 0
; COMPUTE_PGM_RSRC2:USER_SGPR: 15
; COMPUTE_PGM_RSRC2:TRAP_HANDLER: 0
; COMPUTE_PGM_RSRC2:TGID_X_EN: 1
; COMPUTE_PGM_RSRC2:TGID_Y_EN: 0
; COMPUTE_PGM_RSRC2:TGID_Z_EN: 0
; COMPUTE_PGM_RSRC2:TIDIG_COMP_CNT: 0
	.section	.text._ZN9rocsparseL5csrsmILj512ELj64ELb1EiidEEv20rocsparse_operation_T3_S2_NS_24const_host_device_scalarIT4_EEPKT2_PKS2_PKS4_PS4_lPiSA_PS2_21rocsparse_index_base_20rocsparse_fill_mode_20rocsparse_diag_type_b,"axG",@progbits,_ZN9rocsparseL5csrsmILj512ELj64ELb1EiidEEv20rocsparse_operation_T3_S2_NS_24const_host_device_scalarIT4_EEPKT2_PKS2_PKS4_PS4_lPiSA_PS2_21rocsparse_index_base_20rocsparse_fill_mode_20rocsparse_diag_type_b,comdat
	.globl	_ZN9rocsparseL5csrsmILj512ELj64ELb1EiidEEv20rocsparse_operation_T3_S2_NS_24const_host_device_scalarIT4_EEPKT2_PKS2_PKS4_PS4_lPiSA_PS2_21rocsparse_index_base_20rocsparse_fill_mode_20rocsparse_diag_type_b ; -- Begin function _ZN9rocsparseL5csrsmILj512ELj64ELb1EiidEEv20rocsparse_operation_T3_S2_NS_24const_host_device_scalarIT4_EEPKT2_PKS2_PKS4_PS4_lPiSA_PS2_21rocsparse_index_base_20rocsparse_fill_mode_20rocsparse_diag_type_b
	.p2align	8
	.type	_ZN9rocsparseL5csrsmILj512ELj64ELb1EiidEEv20rocsparse_operation_T3_S2_NS_24const_host_device_scalarIT4_EEPKT2_PKS2_PKS4_PS4_lPiSA_PS2_21rocsparse_index_base_20rocsparse_fill_mode_20rocsparse_diag_type_b,@function
_ZN9rocsparseL5csrsmILj512ELj64ELb1EiidEEv20rocsparse_operation_T3_S2_NS_24const_host_device_scalarIT4_EEPKT2_PKS2_PKS4_PS4_lPiSA_PS2_21rocsparse_index_base_20rocsparse_fill_mode_20rocsparse_diag_type_b: ; @_ZN9rocsparseL5csrsmILj512ELj64ELb1EiidEEv20rocsparse_operation_T3_S2_NS_24const_host_device_scalarIT4_EEPKT2_PKS2_PKS4_PS4_lPiSA_PS2_21rocsparse_index_base_20rocsparse_fill_mode_20rocsparse_diag_type_b
; %bb.0:
	s_clause 0x3
	s_load_b128 s[4:7], s[0:1], 0x58
	s_load_b128 s[16:19], s[0:1], 0x10
	s_load_b64 s[2:3], s[0:1], 0x48
	s_load_b64 s[12:13], s[0:1], 0x30
	s_waitcnt lgkmcnt(0)
	s_bitcmp1_b32 s7, 0
	v_dual_mov_b32 v1, s16 :: v_dual_mov_b32 v2, s17
	s_cselect_b32 s7, -1, 0
	s_delay_alu instid0(SALU_CYCLE_1)
	s_and_b32 vcc_lo, exec_lo, s7
	s_cbranch_vccnz .LBB18_2
; %bb.1:
	v_dual_mov_b32 v1, s16 :: v_dual_mov_b32 v2, s17
	flat_load_b64 v[1:2], v[1:2]
.LBB18_2:
	s_load_b64 s[20:21], s[0:1], 0x4
	s_waitcnt lgkmcnt(0)
	v_cvt_f32_u32_e32 v3, s20
	s_sub_i32 s8, 0, s20
	s_delay_alu instid0(VALU_DEP_1) | instskip(SKIP_2) | instid1(VALU_DEP_1)
	v_rcp_iflag_f32_e32 v3, v3
	s_waitcnt_depctr 0xfff
	v_mul_f32_e32 v3, 0x4f7ffffe, v3
	v_cvt_u32_f32_e32 v3, v3
	s_delay_alu instid0(VALU_DEP_1) | instskip(SKIP_2) | instid1(VALU_DEP_3)
	v_readfirstlane_b32 s7, v3
	v_mov_b32_e32 v3, 0
	v_mov_b32_e32 v4, 0
	s_mul_i32 s8, s8, s7
	s_delay_alu instid0(SALU_CYCLE_1) | instskip(NEXT) | instid1(SALU_CYCLE_1)
	s_mul_hi_u32 s8, s7, s8
	s_add_i32 s7, s7, s8
	s_delay_alu instid0(SALU_CYCLE_1) | instskip(NEXT) | instid1(SALU_CYCLE_1)
	s_mul_hi_u32 s7, s15, s7
	s_mul_i32 s8, s7, s20
	s_add_i32 s9, s7, 1
	s_sub_i32 s8, s15, s8
	s_delay_alu instid0(SALU_CYCLE_1)
	s_sub_i32 s10, s8, s20
	s_cmp_ge_u32 s8, s20
	s_cselect_b32 s7, s9, s7
	s_cselect_b32 s8, s10, s8
	s_add_i32 s9, s7, 1
	s_cmp_ge_u32 s8, s20
	s_cselect_b32 s14, s9, s7
	s_delay_alu instid0(SALU_CYCLE_1) | instskip(SKIP_2) | instid1(SALU_CYCLE_1)
	s_mul_i32 s7, s14, s20
	v_lshl_or_b32 v5, s14, 9, v0
	s_sub_i32 s8, s15, s7
	s_ashr_i32 s9, s8, 31
	s_delay_alu instid0(VALU_DEP_1) | instskip(SKIP_1) | instid1(SALU_CYCLE_1)
	v_ashrrev_i32_e32 v6, 31, v5
	s_lshl_b64 s[8:9], s[8:9], 2
	s_add_u32 s2, s2, s8
	s_addc_u32 s3, s3, s9
	s_load_b32 s16, s[2:3], 0x0
	s_load_b128 s[8:11], s[0:1], 0x38
	s_waitcnt lgkmcnt(0)
	s_ashr_i32 s17, s16, 31
	s_delay_alu instid0(SALU_CYCLE_1)
	s_lshl_b64 s[2:3], s[16:17], 2
	s_mul_i32 s14, s17, s8
	s_add_u32 s2, s18, s2
	s_addc_u32 s3, s19, s3
	s_mul_i32 s18, s16, s8
	s_load_b64 s[22:23], s[2:3], 0x0
	s_mul_i32 s2, s16, s9
	s_mul_hi_u32 s3, s16, s8
	s_delay_alu instid0(SALU_CYCLE_1) | instskip(SKIP_2) | instid1(VALU_DEP_1)
	s_add_i32 s3, s3, s2
	v_cmp_gt_i32_e64 s2, s21, v5
	s_add_i32 s19, s3, s14
	s_and_saveexec_b32 s3, s2
	s_cbranch_execz .LBB18_4
; %bb.3:
	v_add_co_u32 v3, vcc_lo, s18, v5
	v_add_co_ci_u32_e32 v4, vcc_lo, s19, v6, vcc_lo
	s_delay_alu instid0(VALU_DEP_1) | instskip(NEXT) | instid1(VALU_DEP_1)
	v_lshlrev_b64 v[3:4], 3, v[3:4]
	v_add_co_u32 v3, vcc_lo, s12, v3
	s_delay_alu instid0(VALU_DEP_2)
	v_add_co_ci_u32_e32 v4, vcc_lo, s13, v4, vcc_lo
	global_load_b64 v[3:4], v[3:4], off
	s_waitcnt vmcnt(0)
	v_mul_f64 v[3:4], v[1:2], v[3:4]
.LBB18_4:
	s_or_b32 exec_lo, exec_lo, s3
	s_waitcnt vmcnt(0)
	v_lshlrev_b64 v[1:2], 3, v[5:6]
	v_mov_b32_e32 v9, 0
	v_mov_b32_e32 v10, 0x3ff00000
	v_cmp_eq_u32_e64 s3, 0, v0
	s_waitcnt lgkmcnt(0)
	s_cmp_ge_i32 s22, s23
	v_add_co_u32 v13, vcc_lo, s12, v1
	v_add_co_ci_u32_e32 v14, vcc_lo, s13, v2, vcc_lo
	s_cbranch_scc1 .LBB18_46
; %bb.5:
	s_clause 0x1
	s_load_b64 s[20:21], s[0:1], 0x50
	s_load_b128 s[12:15], s[0:1], 0x20
	s_sub_i32 s17, s22, s4
	s_sub_i32 s24, s23, s4
	s_cmp_lg_u32 s6, 0
	v_dual_mov_b32 v5, 0 :: v_dual_lshlrev_b32 v16, 3, v0
	v_lshl_or_b32 v15, v0, 2, 0x1000
	s_cselect_b32 s25, -1, 0
	v_cmp_ne_u32_e64 s0, 0, v0
	s_add_i32 s26, s16, s4
	v_mov_b32_e32 v6, 0x3ff00000
	v_mov_b32_e32 v2, 0
	s_cmp_eq_u32 s6, 0
	s_mov_b32 s27, s17
	s_cselect_b32 s1, -1, 0
	s_branch .LBB18_8
.LBB18_6:                               ;   in Loop: Header=BB18_8 Depth=1
	s_add_i32 s27, s27, 1
	s_delay_alu instid0(SALU_CYCLE_1)
	s_cmp_ge_i32 s27, s24
	s_cselect_b32 s22, -1, 0
.LBB18_7:                               ;   in Loop: Header=BB18_8 Depth=1
	s_delay_alu instid0(VALU_DEP_2)
	v_dual_mov_b32 v3, v11 :: v_dual_mov_b32 v4, v12
	v_dual_mov_b32 v5, v9 :: v_dual_mov_b32 v6, v10
	s_and_not1_b32 vcc_lo, exec_lo, s22
	s_cbranch_vccz .LBB18_47
.LBB18_8:                               ; =>This Loop Header: Depth=1
                                        ;     Child Loop BB18_44 Depth 2
                                        ;       Child Loop BB18_45 Depth 3
	s_sub_i32 s22, s27, s17
	s_delay_alu instid0(SALU_CYCLE_1) | instskip(NEXT) | instid1(SALU_CYCLE_1)
	s_and_b32 s22, s22, 0x1ff
	s_cmp_lg_u32 s22, 0
	s_cbranch_scc1 .LBB18_12
; %bb.9:                                ;   in Loop: Header=BB18_8 Depth=1
	s_sub_i32 s23, s24, s27
	v_mov_b32_e32 v7, 0
	v_dual_mov_b32 v8, 0xbff00000 :: v_dual_mov_b32 v1, -1
	v_cmp_gt_u32_e32 vcc_lo, s23, v0
	s_and_saveexec_b32 s23, vcc_lo
	s_cbranch_execz .LBB18_11
; %bb.10:                               ;   in Loop: Header=BB18_8 Depth=1
	v_add_nc_u32_e32 v1, s27, v0
	s_delay_alu instid0(VALU_DEP_1) | instskip(SKIP_2) | instid1(VALU_DEP_2)
	v_lshlrev_b64 v[7:8], 2, v[1:2]
	v_lshlrev_b64 v[9:10], 3, v[1:2]
	s_waitcnt lgkmcnt(0)
	v_add_co_u32 v7, vcc_lo, s12, v7
	s_delay_alu instid0(VALU_DEP_3)
	v_add_co_ci_u32_e32 v8, vcc_lo, s13, v8, vcc_lo
	global_load_b32 v1, v[7:8], off
	v_add_co_u32 v7, vcc_lo, s14, v9
	v_add_co_ci_u32_e32 v8, vcc_lo, s15, v10, vcc_lo
	global_load_b64 v[7:8], v[7:8], off
	s_waitcnt vmcnt(1)
	v_subrev_nc_u32_e32 v1, s4, v1
.LBB18_11:                              ;   in Loop: Header=BB18_8 Depth=1
	s_or_b32 exec_lo, exec_lo, s23
	ds_store_b32 v15, v1
	s_waitcnt vmcnt(0)
	ds_store_b64 v16, v[7:8]
.LBB18_12:                              ;   in Loop: Header=BB18_8 Depth=1
	s_lshl_b32 s23, s22, 3
	s_waitcnt lgkmcnt(0)
	v_mov_b32_e32 v1, s23
	s_waitcnt_vscnt null, 0x0
	s_barrier
	buffer_gl0_inv
	s_lshl_b32 s22, s22, 2
	ds_load_b64 v[7:8], v1
	v_mov_b32_e32 v1, s22
	ds_load_b32 v1, v1 offset:4096
	s_waitcnt lgkmcnt(1)
	v_cmp_neq_f64_e32 vcc_lo, 0, v[7:8]
	s_waitcnt lgkmcnt(0)
	v_readfirstlane_b32 s28, v1
	s_delay_alu instid0(VALU_DEP_1) | instskip(SKIP_1) | instid1(SALU_CYCLE_1)
	s_cmp_lg_u32 s28, s16
	s_cselect_b32 s22, -1, 0
	s_or_b32 s22, s25, s22
	s_delay_alu instid0(SALU_CYCLE_1) | instskip(SKIP_3) | instid1(SALU_CYCLE_1)
	s_or_b32 vcc_lo, vcc_lo, s22
	v_cndmask_b32_e32 v8, 0x3ff00000, v8, vcc_lo
	v_cndmask_b32_e32 v7, 0, v7, vcc_lo
	s_or_b32 s22, s0, vcc_lo
	s_xor_b32 s23, s22, -1
	s_delay_alu instid0(SALU_CYCLE_1)
	s_and_saveexec_b32 s22, s23
	s_cbranch_execz .LBB18_16
; %bb.13:                               ;   in Loop: Header=BB18_8 Depth=1
	v_mbcnt_lo_u32_b32 v1, exec_lo, 0
	s_mov_b32 s23, exec_lo
	s_delay_alu instid0(VALU_DEP_1)
	v_cmpx_eq_u32_e32 0, v1
	s_cbranch_execz .LBB18_15
; %bb.14:                               ;   in Loop: Header=BB18_8 Depth=1
	v_mov_b32_e32 v1, s26
	global_atomic_min_i32 v2, v1, s[20:21]
.LBB18_15:                              ;   in Loop: Header=BB18_8 Depth=1
	s_or_b32 exec_lo, exec_lo, s23
	v_mov_b32_e32 v7, 0
	v_mov_b32_e32 v8, 0x3ff00000
.LBB18_16:                              ;   in Loop: Header=BB18_8 Depth=1
	s_or_b32 exec_lo, exec_lo, s22
	s_cmp_lt_i32 s5, 1
	s_mov_b32 s22, 0
	s_cbranch_scc1 .LBB18_21
; %bb.17:                               ;   in Loop: Header=BB18_8 Depth=1
	s_cmp_eq_u32 s5, 1
	s_cbranch_scc0 .LBB18_22
; %bb.18:                               ;   in Loop: Header=BB18_8 Depth=1
	v_dual_mov_b32 v10, v6 :: v_dual_mov_b32 v9, v5
	s_cmp_ge_i32 s28, s16
	s_mov_b32 s23, 0
	s_cbranch_scc0 .LBB18_24
; %bb.19:                               ;   in Loop: Header=BB18_8 Depth=1
	s_cmp_eq_u32 s28, s16
	s_cbranch_scc0 .LBB18_23
; %bb.20:                               ;   in Loop: Header=BB18_8 Depth=1
	v_div_scale_f64 v[9:10], null, v[7:8], v[7:8], 1.0
	v_div_scale_f64 v[19:20], vcc_lo, 1.0, v[7:8], 1.0
	s_delay_alu instid0(VALU_DEP_2) | instskip(SKIP_2) | instid1(VALU_DEP_1)
	v_rcp_f64_e32 v[11:12], v[9:10]
	s_waitcnt_depctr 0xfff
	v_fma_f64 v[17:18], -v[9:10], v[11:12], 1.0
	v_fma_f64 v[11:12], v[11:12], v[17:18], v[11:12]
	s_delay_alu instid0(VALU_DEP_1) | instskip(NEXT) | instid1(VALU_DEP_1)
	v_fma_f64 v[17:18], -v[9:10], v[11:12], 1.0
	v_fma_f64 v[11:12], v[11:12], v[17:18], v[11:12]
	s_delay_alu instid0(VALU_DEP_1) | instskip(NEXT) | instid1(VALU_DEP_1)
	v_mul_f64 v[17:18], v[19:20], v[11:12]
	v_fma_f64 v[9:10], -v[9:10], v[17:18], v[19:20]
	s_delay_alu instid0(VALU_DEP_1) | instskip(NEXT) | instid1(VALU_DEP_1)
	v_div_fmas_f64 v[9:10], v[9:10], v[11:12], v[17:18]
	v_div_fixup_f64 v[9:10], v[9:10], v[7:8], 1.0
	s_delay_alu instid0(VALU_DEP_1) | instskip(NEXT) | instid1(VALU_DEP_2)
	v_cndmask_b32_e64 v10, v6, v10, s1
	v_cndmask_b32_e64 v9, v5, v9, s1
	s_branch .LBB18_24
.LBB18_21:                              ;   in Loop: Header=BB18_8 Depth=1
	s_mov_b32 s23, 0
                                        ; implicit-def: $vgpr11_vgpr12
                                        ; implicit-def: $vgpr9_vgpr10
                                        ; implicit-def: $sgpr29
	s_cbranch_execnz .LBB18_25
	s_branch .LBB18_27
.LBB18_22:                              ;   in Loop: Header=BB18_8 Depth=1
	s_mov_b32 s23, -1
                                        ; implicit-def: $vgpr11_vgpr12
                                        ; implicit-def: $vgpr9_vgpr10
                                        ; implicit-def: $sgpr29
	s_branch .LBB18_27
.LBB18_23:                              ;   in Loop: Header=BB18_8 Depth=1
	s_mov_b32 s23, -1
                                        ; implicit-def: $vgpr9_vgpr10
.LBB18_24:                              ;   in Loop: Header=BB18_8 Depth=1
	v_dual_mov_b32 v12, v4 :: v_dual_mov_b32 v11, v3
	s_mov_b32 s29, 4
	s_branch .LBB18_27
.LBB18_25:                              ;   in Loop: Header=BB18_8 Depth=1
	s_cmp_eq_u32 s5, 0
	s_cbranch_scc1 .LBB18_31
; %bb.26:                               ;   in Loop: Header=BB18_8 Depth=1
	s_mov_b32 s23, -1
                                        ; implicit-def: $vgpr11_vgpr12
                                        ; implicit-def: $vgpr9_vgpr10
                                        ; implicit-def: $sgpr29
.LBB18_27:                              ;   in Loop: Header=BB18_8 Depth=1
	s_delay_alu instid0(SALU_CYCLE_1)
	s_and_b32 vcc_lo, exec_lo, s23
	s_cbranch_vccnz .LBB18_34
.LBB18_28:                              ;   in Loop: Header=BB18_8 Depth=1
	s_and_b32 vcc_lo, exec_lo, s22
	s_cbranch_vccnz .LBB18_39
.LBB18_29:                              ;   in Loop: Header=BB18_8 Depth=1
	s_cmp_gt_i32 s29, 3
	s_mov_b32 s22, -1
	s_cbranch_scc1 .LBB18_40
.LBB18_30:                              ;   in Loop: Header=BB18_8 Depth=1
	s_cmp_eq_u32 s29, 0
	s_cselect_b32 s23, -1, 0
	s_delay_alu instid0(SALU_CYCLE_1)
	s_and_not1_b32 vcc_lo, exec_lo, s23
	s_cbranch_vccz .LBB18_6
	s_branch .LBB18_41
.LBB18_31:                              ;   in Loop: Header=BB18_8 Depth=1
	s_cmp_le_i32 s28, s16
	s_mov_b32 s23, 0
	s_cbranch_scc0 .LBB18_33
; %bb.32:                               ;   in Loop: Header=BB18_8 Depth=1
	s_cmp_lg_u32 s28, s16
	s_mov_b32 s22, -1
	s_cselect_b32 s23, -1, 0
.LBB18_33:                              ;   in Loop: Header=BB18_8 Depth=1
	v_dual_mov_b32 v12, v4 :: v_dual_mov_b32 v11, v3
	v_dual_mov_b32 v10, v6 :: v_dual_mov_b32 v9, v5
	s_mov_b32 s29, 2
	s_and_b32 vcc_lo, exec_lo, s23
	s_cbranch_vccz .LBB18_28
.LBB18_34:                              ;   in Loop: Header=BB18_8 Depth=1
	s_and_saveexec_b32 s29, s3
	s_cbranch_execz .LBB18_36
; %bb.35:                               ;   in Loop: Header=BB18_8 Depth=1
	s_add_i32 s22, s28, s7
	s_delay_alu instid0(SALU_CYCLE_1) | instskip(NEXT) | instid1(SALU_CYCLE_1)
	s_ashr_i32 s23, s22, 31
	s_lshl_b64 s[22:23], s[22:23], 2
	s_delay_alu instid0(SALU_CYCLE_1)
	s_add_u32 s22, s10, s22
	s_addc_u32 s23, s11, s23
	global_load_b32 v1, v2, s[22:23] glc
	s_waitcnt vmcnt(0)
	v_cmp_ne_u32_e32 vcc_lo, 0, v1
	s_cbranch_vccz .LBB18_42
.LBB18_36:                              ;   in Loop: Header=BB18_8 Depth=1
	s_or_b32 exec_lo, exec_lo, s29
	v_mov_b32_e32 v11, 0
	v_mov_b32_e32 v12, 0
	s_waitcnt_vscnt null, 0x0
	s_barrier
	buffer_gl0_inv
	buffer_gl1_inv
	buffer_gl0_inv
	s_and_saveexec_b32 s22, s2
	s_cbranch_execz .LBB18_38
; %bb.37:                               ;   in Loop: Header=BB18_8 Depth=1
	s_mul_i32 s23, s28, s9
	s_mul_hi_u32 s29, s28, s8
	s_ashr_i32 s30, s28, 31
	s_add_i32 s23, s29, s23
	s_mul_i32 s30, s30, s8
	s_mul_i32 s28, s28, s8
	s_add_i32 s29, s23, s30
	s_delay_alu instid0(SALU_CYCLE_1) | instskip(NEXT) | instid1(SALU_CYCLE_1)
	s_lshl_b64 s[28:29], s[28:29], 3
	v_add_co_u32 v9, vcc_lo, v13, s28
	v_add_co_ci_u32_e32 v10, vcc_lo, s29, v14, vcc_lo
	global_load_b64 v[9:10], v[9:10], off
	s_waitcnt vmcnt(0)
	v_fma_f64 v[11:12], -v[7:8], v[9:10], v[3:4]
.LBB18_38:                              ;   in Loop: Header=BB18_8 Depth=1
	s_or_b32 exec_lo, exec_lo, s22
	v_dual_mov_b32 v10, v6 :: v_dual_mov_b32 v9, v5
	s_mov_b32 s29, 0
	s_branch .LBB18_29
.LBB18_39:                              ;   in Loop: Header=BB18_8 Depth=1
	v_div_scale_f64 v[9:10], null, v[7:8], v[7:8], 1.0
	v_div_scale_f64 v[19:20], vcc_lo, 1.0, v[7:8], 1.0
	s_mov_b32 s29, 2
	s_delay_alu instid0(VALU_DEP_2) | instskip(SKIP_2) | instid1(VALU_DEP_1)
	v_rcp_f64_e32 v[11:12], v[9:10]
	s_waitcnt_depctr 0xfff
	v_fma_f64 v[17:18], -v[9:10], v[11:12], 1.0
	v_fma_f64 v[11:12], v[11:12], v[17:18], v[11:12]
	s_delay_alu instid0(VALU_DEP_1) | instskip(NEXT) | instid1(VALU_DEP_1)
	v_fma_f64 v[17:18], -v[9:10], v[11:12], 1.0
	v_fma_f64 v[11:12], v[11:12], v[17:18], v[11:12]
	s_delay_alu instid0(VALU_DEP_1) | instskip(NEXT) | instid1(VALU_DEP_1)
	v_mul_f64 v[17:18], v[19:20], v[11:12]
	v_fma_f64 v[9:10], -v[9:10], v[17:18], v[19:20]
	s_delay_alu instid0(VALU_DEP_1) | instskip(SKIP_1) | instid1(VALU_DEP_2)
	v_div_fmas_f64 v[9:10], v[9:10], v[11:12], v[17:18]
	v_dual_mov_b32 v12, v4 :: v_dual_mov_b32 v11, v3
	v_div_fixup_f64 v[7:8], v[9:10], v[7:8], 1.0
	s_delay_alu instid0(VALU_DEP_1) | instskip(NEXT) | instid1(VALU_DEP_2)
	v_cndmask_b32_e64 v10, v6, v8, s1
	v_cndmask_b32_e64 v9, v5, v7, s1
	s_cmp_gt_i32 s29, 3
	s_mov_b32 s22, -1
	s_cbranch_scc0 .LBB18_30
.LBB18_40:                              ;   in Loop: Header=BB18_8 Depth=1
	s_branch .LBB18_6
.LBB18_41:                              ;   in Loop: Header=BB18_8 Depth=1
                                        ; implicit-def: $sgpr27
	s_branch .LBB18_7
.LBB18_42:                              ;   in Loop: Header=BB18_8 Depth=1
	s_mov_b32 s30, 0
	s_branch .LBB18_44
	.p2align	6
.LBB18_43:                              ;   in Loop: Header=BB18_44 Depth=2
	global_load_b32 v1, v2, s[22:23] glc
	s_cmpk_lt_u32 s30, 0xf43
	s_cselect_b32 s31, -1, 0
	s_delay_alu instid0(SALU_CYCLE_1)
	s_cmp_lg_u32 s31, 0
	s_addc_u32 s30, s30, 0
	s_waitcnt vmcnt(0)
	v_cmp_ne_u32_e32 vcc_lo, 0, v1
	s_cbranch_vccnz .LBB18_36
.LBB18_44:                              ;   Parent Loop BB18_8 Depth=1
                                        ; =>  This Loop Header: Depth=2
                                        ;       Child Loop BB18_45 Depth 3
	s_cmp_eq_u32 s30, 0
	s_mov_b32 s31, s30
	s_cbranch_scc1 .LBB18_43
.LBB18_45:                              ;   Parent Loop BB18_8 Depth=1
                                        ;     Parent Loop BB18_44 Depth=2
                                        ; =>    This Inner Loop Header: Depth=3
	s_add_i32 s31, s31, -1
	s_sleep 1
	s_cmp_eq_u32 s31, 0
	s_cbranch_scc0 .LBB18_45
	s_branch .LBB18_43
.LBB18_46:
	v_dual_mov_b32 v12, v4 :: v_dual_mov_b32 v11, v3
.LBB18_47:
	s_and_saveexec_b32 s0, s2
	s_cbranch_execz .LBB18_49
; %bb.48:
	s_delay_alu instid0(VALU_DEP_1) | instskip(SKIP_3) | instid1(VALU_DEP_1)
	v_mul_f64 v[1:2], v[9:10], v[11:12]
	s_cmp_eq_u32 s6, 0
	s_cselect_b32 vcc_lo, -1, 0
	s_lshl_b64 s[2:3], s[18:19], 3
	v_dual_cndmask_b32 v2, v12, v2 :: v_dual_cndmask_b32 v1, v11, v1
	v_add_co_u32 v3, vcc_lo, v13, s2
	v_add_co_ci_u32_e32 v4, vcc_lo, s3, v14, vcc_lo
	global_store_b64 v[3:4], v[1:2], off
.LBB18_49:
	s_or_b32 exec_lo, exec_lo, s0
	s_waitcnt_vscnt null, 0x0
	buffer_gl1_inv
	buffer_gl0_inv
	s_barrier
	buffer_gl0_inv
	s_mov_b32 s0, exec_lo
	v_cmpx_eq_u32_e32 0, v0
	s_cbranch_execz .LBB18_51
; %bb.50:
	s_add_i32 s0, s16, s7
	v_dual_mov_b32 v0, 0 :: v_dual_mov_b32 v1, 1
	s_ashr_i32 s1, s0, 31
	s_delay_alu instid0(SALU_CYCLE_1) | instskip(NEXT) | instid1(SALU_CYCLE_1)
	s_lshl_b64 s[0:1], s[0:1], 2
	s_add_u32 s0, s10, s0
	s_addc_u32 s1, s11, s1
	global_store_b32 v0, v1, s[0:1]
.LBB18_51:
	s_nop 0
	s_sendmsg sendmsg(MSG_DEALLOC_VGPRS)
	s_endpgm
	.section	.rodata,"a",@progbits
	.p2align	6, 0x0
	.amdhsa_kernel _ZN9rocsparseL5csrsmILj512ELj64ELb1EiidEEv20rocsparse_operation_T3_S2_NS_24const_host_device_scalarIT4_EEPKT2_PKS2_PKS4_PS4_lPiSA_PS2_21rocsparse_index_base_20rocsparse_fill_mode_20rocsparse_diag_type_b
		.amdhsa_group_segment_fixed_size 6144
		.amdhsa_private_segment_fixed_size 0
		.amdhsa_kernarg_size 104
		.amdhsa_user_sgpr_count 15
		.amdhsa_user_sgpr_dispatch_ptr 0
		.amdhsa_user_sgpr_queue_ptr 0
		.amdhsa_user_sgpr_kernarg_segment_ptr 1
		.amdhsa_user_sgpr_dispatch_id 0
		.amdhsa_user_sgpr_private_segment_size 0
		.amdhsa_wavefront_size32 1
		.amdhsa_uses_dynamic_stack 0
		.amdhsa_enable_private_segment 0
		.amdhsa_system_sgpr_workgroup_id_x 1
		.amdhsa_system_sgpr_workgroup_id_y 0
		.amdhsa_system_sgpr_workgroup_id_z 0
		.amdhsa_system_sgpr_workgroup_info 0
		.amdhsa_system_vgpr_workitem_id 0
		.amdhsa_next_free_vgpr 21
		.amdhsa_next_free_sgpr 32
		.amdhsa_reserve_vcc 1
		.amdhsa_float_round_mode_32 0
		.amdhsa_float_round_mode_16_64 0
		.amdhsa_float_denorm_mode_32 3
		.amdhsa_float_denorm_mode_16_64 3
		.amdhsa_dx10_clamp 1
		.amdhsa_ieee_mode 1
		.amdhsa_fp16_overflow 0
		.amdhsa_workgroup_processor_mode 1
		.amdhsa_memory_ordered 1
		.amdhsa_forward_progress 0
		.amdhsa_shared_vgpr_count 0
		.amdhsa_exception_fp_ieee_invalid_op 0
		.amdhsa_exception_fp_denorm_src 0
		.amdhsa_exception_fp_ieee_div_zero 0
		.amdhsa_exception_fp_ieee_overflow 0
		.amdhsa_exception_fp_ieee_underflow 0
		.amdhsa_exception_fp_ieee_inexact 0
		.amdhsa_exception_int_div_zero 0
	.end_amdhsa_kernel
	.section	.text._ZN9rocsparseL5csrsmILj512ELj64ELb1EiidEEv20rocsparse_operation_T3_S2_NS_24const_host_device_scalarIT4_EEPKT2_PKS2_PKS4_PS4_lPiSA_PS2_21rocsparse_index_base_20rocsparse_fill_mode_20rocsparse_diag_type_b,"axG",@progbits,_ZN9rocsparseL5csrsmILj512ELj64ELb1EiidEEv20rocsparse_operation_T3_S2_NS_24const_host_device_scalarIT4_EEPKT2_PKS2_PKS4_PS4_lPiSA_PS2_21rocsparse_index_base_20rocsparse_fill_mode_20rocsparse_diag_type_b,comdat
.Lfunc_end18:
	.size	_ZN9rocsparseL5csrsmILj512ELj64ELb1EiidEEv20rocsparse_operation_T3_S2_NS_24const_host_device_scalarIT4_EEPKT2_PKS2_PKS4_PS4_lPiSA_PS2_21rocsparse_index_base_20rocsparse_fill_mode_20rocsparse_diag_type_b, .Lfunc_end18-_ZN9rocsparseL5csrsmILj512ELj64ELb1EiidEEv20rocsparse_operation_T3_S2_NS_24const_host_device_scalarIT4_EEPKT2_PKS2_PKS4_PS4_lPiSA_PS2_21rocsparse_index_base_20rocsparse_fill_mode_20rocsparse_diag_type_b
                                        ; -- End function
	.section	.AMDGPU.csdata,"",@progbits
; Kernel info:
; codeLenInByte = 1884
; NumSgprs: 34
; NumVgprs: 21
; ScratchSize: 0
; MemoryBound: 0
; FloatMode: 240
; IeeeMode: 1
; LDSByteSize: 6144 bytes/workgroup (compile time only)
; SGPRBlocks: 4
; VGPRBlocks: 2
; NumSGPRsForWavesPerEU: 34
; NumVGPRsForWavesPerEU: 21
; Occupancy: 16
; WaveLimiterHint : 1
; COMPUTE_PGM_RSRC2:SCRATCH_EN: 0
; COMPUTE_PGM_RSRC2:USER_SGPR: 15
; COMPUTE_PGM_RSRC2:TRAP_HANDLER: 0
; COMPUTE_PGM_RSRC2:TGID_X_EN: 1
; COMPUTE_PGM_RSRC2:TGID_Y_EN: 0
; COMPUTE_PGM_RSRC2:TGID_Z_EN: 0
; COMPUTE_PGM_RSRC2:TIDIG_COMP_CNT: 0
	.section	.text._ZN9rocsparseL5csrsmILj512ELj64ELb0EiidEEv20rocsparse_operation_T3_S2_NS_24const_host_device_scalarIT4_EEPKT2_PKS2_PKS4_PS4_lPiSA_PS2_21rocsparse_index_base_20rocsparse_fill_mode_20rocsparse_diag_type_b,"axG",@progbits,_ZN9rocsparseL5csrsmILj512ELj64ELb0EiidEEv20rocsparse_operation_T3_S2_NS_24const_host_device_scalarIT4_EEPKT2_PKS2_PKS4_PS4_lPiSA_PS2_21rocsparse_index_base_20rocsparse_fill_mode_20rocsparse_diag_type_b,comdat
	.globl	_ZN9rocsparseL5csrsmILj512ELj64ELb0EiidEEv20rocsparse_operation_T3_S2_NS_24const_host_device_scalarIT4_EEPKT2_PKS2_PKS4_PS4_lPiSA_PS2_21rocsparse_index_base_20rocsparse_fill_mode_20rocsparse_diag_type_b ; -- Begin function _ZN9rocsparseL5csrsmILj512ELj64ELb0EiidEEv20rocsparse_operation_T3_S2_NS_24const_host_device_scalarIT4_EEPKT2_PKS2_PKS4_PS4_lPiSA_PS2_21rocsparse_index_base_20rocsparse_fill_mode_20rocsparse_diag_type_b
	.p2align	8
	.type	_ZN9rocsparseL5csrsmILj512ELj64ELb0EiidEEv20rocsparse_operation_T3_S2_NS_24const_host_device_scalarIT4_EEPKT2_PKS2_PKS4_PS4_lPiSA_PS2_21rocsparse_index_base_20rocsparse_fill_mode_20rocsparse_diag_type_b,@function
_ZN9rocsparseL5csrsmILj512ELj64ELb0EiidEEv20rocsparse_operation_T3_S2_NS_24const_host_device_scalarIT4_EEPKT2_PKS2_PKS4_PS4_lPiSA_PS2_21rocsparse_index_base_20rocsparse_fill_mode_20rocsparse_diag_type_b: ; @_ZN9rocsparseL5csrsmILj512ELj64ELb0EiidEEv20rocsparse_operation_T3_S2_NS_24const_host_device_scalarIT4_EEPKT2_PKS2_PKS4_PS4_lPiSA_PS2_21rocsparse_index_base_20rocsparse_fill_mode_20rocsparse_diag_type_b
; %bb.0:
	s_clause 0x3
	s_load_b128 s[4:7], s[0:1], 0x58
	s_load_b128 s[16:19], s[0:1], 0x10
	s_load_b64 s[2:3], s[0:1], 0x48
	s_load_b64 s[12:13], s[0:1], 0x30
	s_waitcnt lgkmcnt(0)
	s_bitcmp1_b32 s7, 0
	v_dual_mov_b32 v1, s16 :: v_dual_mov_b32 v2, s17
	s_cselect_b32 s7, -1, 0
	s_delay_alu instid0(SALU_CYCLE_1)
	s_and_b32 vcc_lo, exec_lo, s7
	s_cbranch_vccnz .LBB19_2
; %bb.1:
	v_dual_mov_b32 v1, s16 :: v_dual_mov_b32 v2, s17
	flat_load_b64 v[1:2], v[1:2]
.LBB19_2:
	s_load_b64 s[20:21], s[0:1], 0x4
	s_waitcnt lgkmcnt(0)
	v_cvt_f32_u32_e32 v3, s20
	s_sub_i32 s8, 0, s20
	s_delay_alu instid0(VALU_DEP_1) | instskip(SKIP_2) | instid1(VALU_DEP_1)
	v_rcp_iflag_f32_e32 v3, v3
	s_waitcnt_depctr 0xfff
	v_mul_f32_e32 v3, 0x4f7ffffe, v3
	v_cvt_u32_f32_e32 v3, v3
	s_delay_alu instid0(VALU_DEP_1) | instskip(SKIP_2) | instid1(VALU_DEP_3)
	v_readfirstlane_b32 s7, v3
	v_mov_b32_e32 v3, 0
	v_mov_b32_e32 v4, 0
	s_mul_i32 s8, s8, s7
	s_delay_alu instid0(SALU_CYCLE_1) | instskip(NEXT) | instid1(SALU_CYCLE_1)
	s_mul_hi_u32 s8, s7, s8
	s_add_i32 s7, s7, s8
	s_delay_alu instid0(SALU_CYCLE_1) | instskip(NEXT) | instid1(SALU_CYCLE_1)
	s_mul_hi_u32 s7, s15, s7
	s_mul_i32 s8, s7, s20
	s_add_i32 s9, s7, 1
	s_sub_i32 s8, s15, s8
	s_delay_alu instid0(SALU_CYCLE_1)
	s_sub_i32 s10, s8, s20
	s_cmp_ge_u32 s8, s20
	s_cselect_b32 s7, s9, s7
	s_cselect_b32 s8, s10, s8
	s_add_i32 s9, s7, 1
	s_cmp_ge_u32 s8, s20
	s_cselect_b32 s14, s9, s7
	s_delay_alu instid0(SALU_CYCLE_1) | instskip(SKIP_2) | instid1(SALU_CYCLE_1)
	s_mul_i32 s7, s14, s20
	v_lshl_or_b32 v5, s14, 9, v0
	s_sub_i32 s8, s15, s7
	s_ashr_i32 s9, s8, 31
	s_delay_alu instid0(VALU_DEP_1) | instskip(SKIP_1) | instid1(SALU_CYCLE_1)
	v_ashrrev_i32_e32 v6, 31, v5
	s_lshl_b64 s[8:9], s[8:9], 2
	s_add_u32 s2, s2, s8
	s_addc_u32 s3, s3, s9
	s_load_b32 s16, s[2:3], 0x0
	s_load_b128 s[8:11], s[0:1], 0x38
	s_waitcnt lgkmcnt(0)
	s_ashr_i32 s17, s16, 31
	s_delay_alu instid0(SALU_CYCLE_1)
	s_lshl_b64 s[2:3], s[16:17], 2
	s_mul_i32 s14, s17, s8
	s_add_u32 s2, s18, s2
	s_addc_u32 s3, s19, s3
	s_mul_i32 s18, s16, s8
	s_load_b64 s[22:23], s[2:3], 0x0
	s_mul_i32 s2, s16, s9
	s_mul_hi_u32 s3, s16, s8
	s_delay_alu instid0(SALU_CYCLE_1) | instskip(SKIP_2) | instid1(VALU_DEP_1)
	s_add_i32 s3, s3, s2
	v_cmp_gt_i32_e64 s2, s21, v5
	s_add_i32 s19, s3, s14
	s_and_saveexec_b32 s3, s2
	s_cbranch_execz .LBB19_4
; %bb.3:
	v_add_co_u32 v3, vcc_lo, s18, v5
	v_add_co_ci_u32_e32 v4, vcc_lo, s19, v6, vcc_lo
	s_delay_alu instid0(VALU_DEP_1) | instskip(NEXT) | instid1(VALU_DEP_1)
	v_lshlrev_b64 v[3:4], 3, v[3:4]
	v_add_co_u32 v3, vcc_lo, s12, v3
	s_delay_alu instid0(VALU_DEP_2)
	v_add_co_ci_u32_e32 v4, vcc_lo, s13, v4, vcc_lo
	global_load_b64 v[3:4], v[3:4], off
	s_waitcnt vmcnt(0)
	v_mul_f64 v[3:4], v[1:2], v[3:4]
.LBB19_4:
	s_or_b32 exec_lo, exec_lo, s3
	s_waitcnt vmcnt(0)
	v_lshlrev_b64 v[1:2], 3, v[5:6]
	v_mov_b32_e32 v9, 0
	v_mov_b32_e32 v10, 0x3ff00000
	v_cmp_eq_u32_e64 s3, 0, v0
	s_waitcnt lgkmcnt(0)
	s_cmp_ge_i32 s22, s23
	v_add_co_u32 v13, vcc_lo, s12, v1
	v_add_co_ci_u32_e32 v14, vcc_lo, s13, v2, vcc_lo
	s_cbranch_scc1 .LBB19_43
; %bb.5:
	s_clause 0x1
	s_load_b64 s[20:21], s[0:1], 0x50
	s_load_b128 s[12:15], s[0:1], 0x20
	s_sub_i32 s17, s22, s4
	s_sub_i32 s24, s23, s4
	s_cmp_lg_u32 s6, 0
	v_dual_mov_b32 v5, 0 :: v_dual_lshlrev_b32 v16, 3, v0
	v_lshl_or_b32 v15, v0, 2, 0x1000
	s_cselect_b32 s25, -1, 0
	v_cmp_ne_u32_e64 s0, 0, v0
	s_add_i32 s26, s16, s4
	v_mov_b32_e32 v6, 0x3ff00000
	v_mov_b32_e32 v2, 0
	s_cmp_eq_u32 s6, 0
	s_mov_b32 s27, s17
	s_cselect_b32 s1, -1, 0
	s_branch .LBB19_8
.LBB19_6:                               ;   in Loop: Header=BB19_8 Depth=1
	s_add_i32 s27, s27, 1
	s_delay_alu instid0(SALU_CYCLE_1)
	s_cmp_ge_i32 s27, s24
	s_cselect_b32 s22, -1, 0
.LBB19_7:                               ;   in Loop: Header=BB19_8 Depth=1
	s_delay_alu instid0(VALU_DEP_2)
	v_dual_mov_b32 v3, v11 :: v_dual_mov_b32 v4, v12
	v_dual_mov_b32 v5, v9 :: v_dual_mov_b32 v6, v10
	s_and_not1_b32 vcc_lo, exec_lo, s22
	s_cbranch_vccz .LBB19_44
.LBB19_8:                               ; =>This Loop Header: Depth=1
                                        ;     Child Loop BB19_36 Depth 2
	s_sub_i32 s22, s27, s17
	s_delay_alu instid0(SALU_CYCLE_1) | instskip(NEXT) | instid1(SALU_CYCLE_1)
	s_and_b32 s22, s22, 0x1ff
	s_cmp_lg_u32 s22, 0
	s_cbranch_scc1 .LBB19_12
; %bb.9:                                ;   in Loop: Header=BB19_8 Depth=1
	s_sub_i32 s23, s24, s27
	v_mov_b32_e32 v7, 0
	v_dual_mov_b32 v8, 0xbff00000 :: v_dual_mov_b32 v1, -1
	v_cmp_gt_u32_e32 vcc_lo, s23, v0
	s_and_saveexec_b32 s23, vcc_lo
	s_cbranch_execz .LBB19_11
; %bb.10:                               ;   in Loop: Header=BB19_8 Depth=1
	v_add_nc_u32_e32 v1, s27, v0
	s_delay_alu instid0(VALU_DEP_1) | instskip(SKIP_2) | instid1(VALU_DEP_2)
	v_lshlrev_b64 v[7:8], 2, v[1:2]
	v_lshlrev_b64 v[9:10], 3, v[1:2]
	s_waitcnt lgkmcnt(0)
	v_add_co_u32 v7, vcc_lo, s12, v7
	s_delay_alu instid0(VALU_DEP_3)
	v_add_co_ci_u32_e32 v8, vcc_lo, s13, v8, vcc_lo
	global_load_b32 v1, v[7:8], off
	v_add_co_u32 v7, vcc_lo, s14, v9
	v_add_co_ci_u32_e32 v8, vcc_lo, s15, v10, vcc_lo
	global_load_b64 v[7:8], v[7:8], off
	s_waitcnt vmcnt(1)
	v_subrev_nc_u32_e32 v1, s4, v1
.LBB19_11:                              ;   in Loop: Header=BB19_8 Depth=1
	s_or_b32 exec_lo, exec_lo, s23
	ds_store_b32 v15, v1
	s_waitcnt vmcnt(0)
	ds_store_b64 v16, v[7:8]
.LBB19_12:                              ;   in Loop: Header=BB19_8 Depth=1
	s_lshl_b32 s23, s22, 3
	s_waitcnt lgkmcnt(0)
	v_mov_b32_e32 v1, s23
	s_waitcnt_vscnt null, 0x0
	s_barrier
	buffer_gl0_inv
	s_lshl_b32 s22, s22, 2
	ds_load_b64 v[7:8], v1
	v_mov_b32_e32 v1, s22
	ds_load_b32 v1, v1 offset:4096
	s_waitcnt lgkmcnt(1)
	v_cmp_neq_f64_e32 vcc_lo, 0, v[7:8]
	s_waitcnt lgkmcnt(0)
	v_readfirstlane_b32 s28, v1
	s_delay_alu instid0(VALU_DEP_1) | instskip(SKIP_1) | instid1(SALU_CYCLE_1)
	s_cmp_lg_u32 s28, s16
	s_cselect_b32 s22, -1, 0
	s_or_b32 s22, s25, s22
	s_delay_alu instid0(SALU_CYCLE_1) | instskip(SKIP_3) | instid1(SALU_CYCLE_1)
	s_or_b32 vcc_lo, vcc_lo, s22
	v_cndmask_b32_e32 v8, 0x3ff00000, v8, vcc_lo
	v_cndmask_b32_e32 v7, 0, v7, vcc_lo
	s_or_b32 s22, s0, vcc_lo
	s_xor_b32 s23, s22, -1
	s_delay_alu instid0(SALU_CYCLE_1)
	s_and_saveexec_b32 s22, s23
	s_cbranch_execz .LBB19_16
; %bb.13:                               ;   in Loop: Header=BB19_8 Depth=1
	v_mbcnt_lo_u32_b32 v1, exec_lo, 0
	s_mov_b32 s23, exec_lo
	s_delay_alu instid0(VALU_DEP_1)
	v_cmpx_eq_u32_e32 0, v1
	s_cbranch_execz .LBB19_15
; %bb.14:                               ;   in Loop: Header=BB19_8 Depth=1
	v_mov_b32_e32 v1, s26
	global_atomic_min_i32 v2, v1, s[20:21]
.LBB19_15:                              ;   in Loop: Header=BB19_8 Depth=1
	s_or_b32 exec_lo, exec_lo, s23
	v_mov_b32_e32 v7, 0
	v_mov_b32_e32 v8, 0x3ff00000
.LBB19_16:                              ;   in Loop: Header=BB19_8 Depth=1
	s_or_b32 exec_lo, exec_lo, s22
	s_cmp_lt_i32 s5, 1
	s_mov_b32 s22, 0
	s_cbranch_scc1 .LBB19_21
; %bb.17:                               ;   in Loop: Header=BB19_8 Depth=1
	s_cmp_eq_u32 s5, 1
	s_cbranch_scc0 .LBB19_22
; %bb.18:                               ;   in Loop: Header=BB19_8 Depth=1
	v_dual_mov_b32 v10, v6 :: v_dual_mov_b32 v9, v5
	s_cmp_ge_i32 s28, s16
	s_mov_b32 s23, 0
	s_cbranch_scc0 .LBB19_24
; %bb.19:                               ;   in Loop: Header=BB19_8 Depth=1
	s_cmp_eq_u32 s28, s16
	s_cbranch_scc0 .LBB19_23
; %bb.20:                               ;   in Loop: Header=BB19_8 Depth=1
	v_div_scale_f64 v[9:10], null, v[7:8], v[7:8], 1.0
	v_div_scale_f64 v[19:20], vcc_lo, 1.0, v[7:8], 1.0
	s_delay_alu instid0(VALU_DEP_2) | instskip(SKIP_2) | instid1(VALU_DEP_1)
	v_rcp_f64_e32 v[11:12], v[9:10]
	s_waitcnt_depctr 0xfff
	v_fma_f64 v[17:18], -v[9:10], v[11:12], 1.0
	v_fma_f64 v[11:12], v[11:12], v[17:18], v[11:12]
	s_delay_alu instid0(VALU_DEP_1) | instskip(NEXT) | instid1(VALU_DEP_1)
	v_fma_f64 v[17:18], -v[9:10], v[11:12], 1.0
	v_fma_f64 v[11:12], v[11:12], v[17:18], v[11:12]
	s_delay_alu instid0(VALU_DEP_1) | instskip(NEXT) | instid1(VALU_DEP_1)
	v_mul_f64 v[17:18], v[19:20], v[11:12]
	v_fma_f64 v[9:10], -v[9:10], v[17:18], v[19:20]
	s_delay_alu instid0(VALU_DEP_1) | instskip(NEXT) | instid1(VALU_DEP_1)
	v_div_fmas_f64 v[9:10], v[9:10], v[11:12], v[17:18]
	v_div_fixup_f64 v[9:10], v[9:10], v[7:8], 1.0
	s_delay_alu instid0(VALU_DEP_1) | instskip(NEXT) | instid1(VALU_DEP_2)
	v_cndmask_b32_e64 v10, v6, v10, s1
	v_cndmask_b32_e64 v9, v5, v9, s1
	s_branch .LBB19_24
.LBB19_21:                              ;   in Loop: Header=BB19_8 Depth=1
	s_mov_b32 s23, 0
                                        ; implicit-def: $vgpr11_vgpr12
                                        ; implicit-def: $vgpr9_vgpr10
                                        ; implicit-def: $sgpr29
	s_cbranch_execnz .LBB19_25
	s_branch .LBB19_27
.LBB19_22:                              ;   in Loop: Header=BB19_8 Depth=1
	s_mov_b32 s23, -1
                                        ; implicit-def: $vgpr11_vgpr12
                                        ; implicit-def: $vgpr9_vgpr10
                                        ; implicit-def: $sgpr29
	s_branch .LBB19_27
.LBB19_23:                              ;   in Loop: Header=BB19_8 Depth=1
	s_mov_b32 s23, -1
                                        ; implicit-def: $vgpr9_vgpr10
.LBB19_24:                              ;   in Loop: Header=BB19_8 Depth=1
	v_dual_mov_b32 v12, v4 :: v_dual_mov_b32 v11, v3
	s_mov_b32 s29, 4
	s_branch .LBB19_27
.LBB19_25:                              ;   in Loop: Header=BB19_8 Depth=1
	s_cmp_eq_u32 s5, 0
	s_cbranch_scc1 .LBB19_31
; %bb.26:                               ;   in Loop: Header=BB19_8 Depth=1
	s_mov_b32 s23, -1
                                        ; implicit-def: $vgpr11_vgpr12
                                        ; implicit-def: $vgpr9_vgpr10
                                        ; implicit-def: $sgpr29
.LBB19_27:                              ;   in Loop: Header=BB19_8 Depth=1
	s_delay_alu instid0(SALU_CYCLE_1)
	s_and_b32 vcc_lo, exec_lo, s23
	s_cbranch_vccnz .LBB19_34
.LBB19_28:                              ;   in Loop: Header=BB19_8 Depth=1
	s_and_b32 vcc_lo, exec_lo, s22
	s_cbranch_vccnz .LBB19_40
.LBB19_29:                              ;   in Loop: Header=BB19_8 Depth=1
	s_cmp_gt_i32 s29, 3
	s_mov_b32 s22, -1
	s_cbranch_scc1 .LBB19_41
.LBB19_30:                              ;   in Loop: Header=BB19_8 Depth=1
	s_cmp_eq_u32 s29, 0
	s_cselect_b32 s23, -1, 0
	s_delay_alu instid0(SALU_CYCLE_1)
	s_and_not1_b32 vcc_lo, exec_lo, s23
	s_cbranch_vccz .LBB19_6
	s_branch .LBB19_42
.LBB19_31:                              ;   in Loop: Header=BB19_8 Depth=1
	s_cmp_le_i32 s28, s16
	s_mov_b32 s23, 0
	s_cbranch_scc0 .LBB19_33
; %bb.32:                               ;   in Loop: Header=BB19_8 Depth=1
	s_cmp_lg_u32 s28, s16
	s_mov_b32 s22, -1
	s_cselect_b32 s23, -1, 0
.LBB19_33:                              ;   in Loop: Header=BB19_8 Depth=1
	v_dual_mov_b32 v12, v4 :: v_dual_mov_b32 v11, v3
	v_dual_mov_b32 v10, v6 :: v_dual_mov_b32 v9, v5
	s_mov_b32 s29, 2
	s_and_b32 vcc_lo, exec_lo, s23
	s_cbranch_vccz .LBB19_28
.LBB19_34:                              ;   in Loop: Header=BB19_8 Depth=1
	s_and_saveexec_b32 s29, s3
	s_cbranch_execz .LBB19_37
; %bb.35:                               ;   in Loop: Header=BB19_8 Depth=1
	s_add_i32 s22, s28, s7
	s_delay_alu instid0(SALU_CYCLE_1) | instskip(NEXT) | instid1(SALU_CYCLE_1)
	s_ashr_i32 s23, s22, 31
	s_lshl_b64 s[22:23], s[22:23], 2
	s_delay_alu instid0(SALU_CYCLE_1)
	s_add_u32 s22, s10, s22
	s_addc_u32 s23, s11, s23
	global_load_b32 v1, v2, s[22:23] glc
	s_waitcnt vmcnt(0)
	v_cmp_ne_u32_e32 vcc_lo, 0, v1
	s_cbranch_vccnz .LBB19_37
.LBB19_36:                              ;   Parent Loop BB19_8 Depth=1
                                        ; =>  This Inner Loop Header: Depth=2
	global_load_b32 v1, v2, s[22:23] glc
	s_waitcnt vmcnt(0)
	v_cmp_eq_u32_e32 vcc_lo, 0, v1
	s_cbranch_vccnz .LBB19_36
.LBB19_37:                              ;   in Loop: Header=BB19_8 Depth=1
	s_or_b32 exec_lo, exec_lo, s29
	v_mov_b32_e32 v11, 0
	v_mov_b32_e32 v12, 0
	s_waitcnt_vscnt null, 0x0
	s_barrier
	buffer_gl0_inv
	buffer_gl1_inv
	buffer_gl0_inv
	s_and_saveexec_b32 s22, s2
	s_cbranch_execz .LBB19_39
; %bb.38:                               ;   in Loop: Header=BB19_8 Depth=1
	s_mul_i32 s23, s28, s9
	s_mul_hi_u32 s29, s28, s8
	s_ashr_i32 s30, s28, 31
	s_add_i32 s23, s29, s23
	s_mul_i32 s30, s30, s8
	s_mul_i32 s28, s28, s8
	s_add_i32 s29, s23, s30
	s_delay_alu instid0(SALU_CYCLE_1) | instskip(NEXT) | instid1(SALU_CYCLE_1)
	s_lshl_b64 s[28:29], s[28:29], 3
	v_add_co_u32 v9, vcc_lo, v13, s28
	v_add_co_ci_u32_e32 v10, vcc_lo, s29, v14, vcc_lo
	global_load_b64 v[9:10], v[9:10], off
	s_waitcnt vmcnt(0)
	v_fma_f64 v[11:12], -v[7:8], v[9:10], v[3:4]
.LBB19_39:                              ;   in Loop: Header=BB19_8 Depth=1
	s_or_b32 exec_lo, exec_lo, s22
	v_dual_mov_b32 v10, v6 :: v_dual_mov_b32 v9, v5
	s_mov_b32 s29, 0
	s_branch .LBB19_29
.LBB19_40:                              ;   in Loop: Header=BB19_8 Depth=1
	v_div_scale_f64 v[9:10], null, v[7:8], v[7:8], 1.0
	v_div_scale_f64 v[19:20], vcc_lo, 1.0, v[7:8], 1.0
	s_mov_b32 s29, 2
	s_delay_alu instid0(VALU_DEP_2) | instskip(SKIP_2) | instid1(VALU_DEP_1)
	v_rcp_f64_e32 v[11:12], v[9:10]
	s_waitcnt_depctr 0xfff
	v_fma_f64 v[17:18], -v[9:10], v[11:12], 1.0
	v_fma_f64 v[11:12], v[11:12], v[17:18], v[11:12]
	s_delay_alu instid0(VALU_DEP_1) | instskip(NEXT) | instid1(VALU_DEP_1)
	v_fma_f64 v[17:18], -v[9:10], v[11:12], 1.0
	v_fma_f64 v[11:12], v[11:12], v[17:18], v[11:12]
	s_delay_alu instid0(VALU_DEP_1) | instskip(NEXT) | instid1(VALU_DEP_1)
	v_mul_f64 v[17:18], v[19:20], v[11:12]
	v_fma_f64 v[9:10], -v[9:10], v[17:18], v[19:20]
	s_delay_alu instid0(VALU_DEP_1) | instskip(SKIP_1) | instid1(VALU_DEP_2)
	v_div_fmas_f64 v[9:10], v[9:10], v[11:12], v[17:18]
	v_dual_mov_b32 v12, v4 :: v_dual_mov_b32 v11, v3
	v_div_fixup_f64 v[7:8], v[9:10], v[7:8], 1.0
	s_delay_alu instid0(VALU_DEP_1) | instskip(NEXT) | instid1(VALU_DEP_2)
	v_cndmask_b32_e64 v10, v6, v8, s1
	v_cndmask_b32_e64 v9, v5, v7, s1
	s_cmp_gt_i32 s29, 3
	s_mov_b32 s22, -1
	s_cbranch_scc0 .LBB19_30
.LBB19_41:                              ;   in Loop: Header=BB19_8 Depth=1
	s_branch .LBB19_6
.LBB19_42:                              ;   in Loop: Header=BB19_8 Depth=1
                                        ; implicit-def: $sgpr27
	s_branch .LBB19_7
.LBB19_43:
	v_dual_mov_b32 v12, v4 :: v_dual_mov_b32 v11, v3
.LBB19_44:
	s_and_saveexec_b32 s0, s2
	s_cbranch_execz .LBB19_46
; %bb.45:
	s_delay_alu instid0(VALU_DEP_1) | instskip(SKIP_3) | instid1(VALU_DEP_1)
	v_mul_f64 v[1:2], v[9:10], v[11:12]
	s_cmp_eq_u32 s6, 0
	s_cselect_b32 vcc_lo, -1, 0
	s_lshl_b64 s[2:3], s[18:19], 3
	v_dual_cndmask_b32 v2, v12, v2 :: v_dual_cndmask_b32 v1, v11, v1
	v_add_co_u32 v3, vcc_lo, v13, s2
	v_add_co_ci_u32_e32 v4, vcc_lo, s3, v14, vcc_lo
	global_store_b64 v[3:4], v[1:2], off
.LBB19_46:
	s_or_b32 exec_lo, exec_lo, s0
	s_waitcnt_vscnt null, 0x0
	buffer_gl1_inv
	buffer_gl0_inv
	s_barrier
	buffer_gl0_inv
	s_mov_b32 s0, exec_lo
	v_cmpx_eq_u32_e32 0, v0
	s_cbranch_execz .LBB19_48
; %bb.47:
	s_add_i32 s0, s16, s7
	v_dual_mov_b32 v0, 0 :: v_dual_mov_b32 v1, 1
	s_ashr_i32 s1, s0, 31
	s_delay_alu instid0(SALU_CYCLE_1) | instskip(NEXT) | instid1(SALU_CYCLE_1)
	s_lshl_b64 s[0:1], s[0:1], 2
	s_add_u32 s0, s10, s0
	s_addc_u32 s1, s11, s1
	global_store_b32 v0, v1, s[0:1]
.LBB19_48:
	s_nop 0
	s_sendmsg sendmsg(MSG_DEALLOC_VGPRS)
	s_endpgm
	.section	.rodata,"a",@progbits
	.p2align	6, 0x0
	.amdhsa_kernel _ZN9rocsparseL5csrsmILj512ELj64ELb0EiidEEv20rocsparse_operation_T3_S2_NS_24const_host_device_scalarIT4_EEPKT2_PKS2_PKS4_PS4_lPiSA_PS2_21rocsparse_index_base_20rocsparse_fill_mode_20rocsparse_diag_type_b
		.amdhsa_group_segment_fixed_size 6144
		.amdhsa_private_segment_fixed_size 0
		.amdhsa_kernarg_size 104
		.amdhsa_user_sgpr_count 15
		.amdhsa_user_sgpr_dispatch_ptr 0
		.amdhsa_user_sgpr_queue_ptr 0
		.amdhsa_user_sgpr_kernarg_segment_ptr 1
		.amdhsa_user_sgpr_dispatch_id 0
		.amdhsa_user_sgpr_private_segment_size 0
		.amdhsa_wavefront_size32 1
		.amdhsa_uses_dynamic_stack 0
		.amdhsa_enable_private_segment 0
		.amdhsa_system_sgpr_workgroup_id_x 1
		.amdhsa_system_sgpr_workgroup_id_y 0
		.amdhsa_system_sgpr_workgroup_id_z 0
		.amdhsa_system_sgpr_workgroup_info 0
		.amdhsa_system_vgpr_workitem_id 0
		.amdhsa_next_free_vgpr 21
		.amdhsa_next_free_sgpr 31
		.amdhsa_reserve_vcc 1
		.amdhsa_float_round_mode_32 0
		.amdhsa_float_round_mode_16_64 0
		.amdhsa_float_denorm_mode_32 3
		.amdhsa_float_denorm_mode_16_64 3
		.amdhsa_dx10_clamp 1
		.amdhsa_ieee_mode 1
		.amdhsa_fp16_overflow 0
		.amdhsa_workgroup_processor_mode 1
		.amdhsa_memory_ordered 1
		.amdhsa_forward_progress 0
		.amdhsa_shared_vgpr_count 0
		.amdhsa_exception_fp_ieee_invalid_op 0
		.amdhsa_exception_fp_denorm_src 0
		.amdhsa_exception_fp_ieee_div_zero 0
		.amdhsa_exception_fp_ieee_overflow 0
		.amdhsa_exception_fp_ieee_underflow 0
		.amdhsa_exception_fp_ieee_inexact 0
		.amdhsa_exception_int_div_zero 0
	.end_amdhsa_kernel
	.section	.text._ZN9rocsparseL5csrsmILj512ELj64ELb0EiidEEv20rocsparse_operation_T3_S2_NS_24const_host_device_scalarIT4_EEPKT2_PKS2_PKS4_PS4_lPiSA_PS2_21rocsparse_index_base_20rocsparse_fill_mode_20rocsparse_diag_type_b,"axG",@progbits,_ZN9rocsparseL5csrsmILj512ELj64ELb0EiidEEv20rocsparse_operation_T3_S2_NS_24const_host_device_scalarIT4_EEPKT2_PKS2_PKS4_PS4_lPiSA_PS2_21rocsparse_index_base_20rocsparse_fill_mode_20rocsparse_diag_type_b,comdat
.Lfunc_end19:
	.size	_ZN9rocsparseL5csrsmILj512ELj64ELb0EiidEEv20rocsparse_operation_T3_S2_NS_24const_host_device_scalarIT4_EEPKT2_PKS2_PKS4_PS4_lPiSA_PS2_21rocsparse_index_base_20rocsparse_fill_mode_20rocsparse_diag_type_b, .Lfunc_end19-_ZN9rocsparseL5csrsmILj512ELj64ELb0EiidEEv20rocsparse_operation_T3_S2_NS_24const_host_device_scalarIT4_EEPKT2_PKS2_PKS4_PS4_lPiSA_PS2_21rocsparse_index_base_20rocsparse_fill_mode_20rocsparse_diag_type_b
                                        ; -- End function
	.section	.AMDGPU.csdata,"",@progbits
; Kernel info:
; codeLenInByte = 1824
; NumSgprs: 33
; NumVgprs: 21
; ScratchSize: 0
; MemoryBound: 0
; FloatMode: 240
; IeeeMode: 1
; LDSByteSize: 6144 bytes/workgroup (compile time only)
; SGPRBlocks: 4
; VGPRBlocks: 2
; NumSGPRsForWavesPerEU: 33
; NumVGPRsForWavesPerEU: 21
; Occupancy: 16
; WaveLimiterHint : 1
; COMPUTE_PGM_RSRC2:SCRATCH_EN: 0
; COMPUTE_PGM_RSRC2:USER_SGPR: 15
; COMPUTE_PGM_RSRC2:TRAP_HANDLER: 0
; COMPUTE_PGM_RSRC2:TGID_X_EN: 1
; COMPUTE_PGM_RSRC2:TGID_Y_EN: 0
; COMPUTE_PGM_RSRC2:TGID_Z_EN: 0
; COMPUTE_PGM_RSRC2:TIDIG_COMP_CNT: 0
	.section	.text._ZN9rocsparseL5csrsmILj1024ELj64ELb1EiidEEv20rocsparse_operation_T3_S2_NS_24const_host_device_scalarIT4_EEPKT2_PKS2_PKS4_PS4_lPiSA_PS2_21rocsparse_index_base_20rocsparse_fill_mode_20rocsparse_diag_type_b,"axG",@progbits,_ZN9rocsparseL5csrsmILj1024ELj64ELb1EiidEEv20rocsparse_operation_T3_S2_NS_24const_host_device_scalarIT4_EEPKT2_PKS2_PKS4_PS4_lPiSA_PS2_21rocsparse_index_base_20rocsparse_fill_mode_20rocsparse_diag_type_b,comdat
	.globl	_ZN9rocsparseL5csrsmILj1024ELj64ELb1EiidEEv20rocsparse_operation_T3_S2_NS_24const_host_device_scalarIT4_EEPKT2_PKS2_PKS4_PS4_lPiSA_PS2_21rocsparse_index_base_20rocsparse_fill_mode_20rocsparse_diag_type_b ; -- Begin function _ZN9rocsparseL5csrsmILj1024ELj64ELb1EiidEEv20rocsparse_operation_T3_S2_NS_24const_host_device_scalarIT4_EEPKT2_PKS2_PKS4_PS4_lPiSA_PS2_21rocsparse_index_base_20rocsparse_fill_mode_20rocsparse_diag_type_b
	.p2align	8
	.type	_ZN9rocsparseL5csrsmILj1024ELj64ELb1EiidEEv20rocsparse_operation_T3_S2_NS_24const_host_device_scalarIT4_EEPKT2_PKS2_PKS4_PS4_lPiSA_PS2_21rocsparse_index_base_20rocsparse_fill_mode_20rocsparse_diag_type_b,@function
_ZN9rocsparseL5csrsmILj1024ELj64ELb1EiidEEv20rocsparse_operation_T3_S2_NS_24const_host_device_scalarIT4_EEPKT2_PKS2_PKS4_PS4_lPiSA_PS2_21rocsparse_index_base_20rocsparse_fill_mode_20rocsparse_diag_type_b: ; @_ZN9rocsparseL5csrsmILj1024ELj64ELb1EiidEEv20rocsparse_operation_T3_S2_NS_24const_host_device_scalarIT4_EEPKT2_PKS2_PKS4_PS4_lPiSA_PS2_21rocsparse_index_base_20rocsparse_fill_mode_20rocsparse_diag_type_b
; %bb.0:
	s_clause 0x3
	s_load_b128 s[4:7], s[0:1], 0x58
	s_load_b128 s[16:19], s[0:1], 0x10
	s_load_b64 s[2:3], s[0:1], 0x48
	s_load_b64 s[12:13], s[0:1], 0x30
	s_waitcnt lgkmcnt(0)
	s_bitcmp1_b32 s7, 0
	v_dual_mov_b32 v1, s16 :: v_dual_mov_b32 v2, s17
	s_cselect_b32 s7, -1, 0
	s_delay_alu instid0(SALU_CYCLE_1)
	s_and_b32 vcc_lo, exec_lo, s7
	s_cbranch_vccnz .LBB20_2
; %bb.1:
	v_dual_mov_b32 v1, s16 :: v_dual_mov_b32 v2, s17
	flat_load_b64 v[1:2], v[1:2]
.LBB20_2:
	s_load_b64 s[20:21], s[0:1], 0x4
	s_waitcnt lgkmcnt(0)
	v_cvt_f32_u32_e32 v3, s20
	s_sub_i32 s8, 0, s20
	s_delay_alu instid0(VALU_DEP_1) | instskip(SKIP_2) | instid1(VALU_DEP_1)
	v_rcp_iflag_f32_e32 v3, v3
	s_waitcnt_depctr 0xfff
	v_mul_f32_e32 v3, 0x4f7ffffe, v3
	v_cvt_u32_f32_e32 v3, v3
	s_delay_alu instid0(VALU_DEP_1) | instskip(SKIP_2) | instid1(VALU_DEP_3)
	v_readfirstlane_b32 s7, v3
	v_mov_b32_e32 v3, 0
	v_mov_b32_e32 v4, 0
	s_mul_i32 s8, s8, s7
	s_delay_alu instid0(SALU_CYCLE_1) | instskip(NEXT) | instid1(SALU_CYCLE_1)
	s_mul_hi_u32 s8, s7, s8
	s_add_i32 s7, s7, s8
	s_delay_alu instid0(SALU_CYCLE_1) | instskip(NEXT) | instid1(SALU_CYCLE_1)
	s_mul_hi_u32 s7, s15, s7
	s_mul_i32 s8, s7, s20
	s_add_i32 s9, s7, 1
	s_sub_i32 s8, s15, s8
	s_delay_alu instid0(SALU_CYCLE_1)
	s_sub_i32 s10, s8, s20
	s_cmp_ge_u32 s8, s20
	s_cselect_b32 s7, s9, s7
	s_cselect_b32 s8, s10, s8
	s_add_i32 s9, s7, 1
	s_cmp_ge_u32 s8, s20
	s_cselect_b32 s14, s9, s7
	s_delay_alu instid0(SALU_CYCLE_1) | instskip(SKIP_2) | instid1(SALU_CYCLE_1)
	s_mul_i32 s7, s14, s20
	v_lshl_or_b32 v5, s14, 10, v0
	s_sub_i32 s8, s15, s7
	s_ashr_i32 s9, s8, 31
	s_delay_alu instid0(VALU_DEP_1) | instskip(SKIP_1) | instid1(SALU_CYCLE_1)
	v_ashrrev_i32_e32 v6, 31, v5
	s_lshl_b64 s[8:9], s[8:9], 2
	s_add_u32 s2, s2, s8
	s_addc_u32 s3, s3, s9
	s_load_b32 s16, s[2:3], 0x0
	s_load_b128 s[8:11], s[0:1], 0x38
	s_waitcnt lgkmcnt(0)
	s_ashr_i32 s17, s16, 31
	s_delay_alu instid0(SALU_CYCLE_1)
	s_lshl_b64 s[2:3], s[16:17], 2
	s_mul_i32 s14, s17, s8
	s_add_u32 s2, s18, s2
	s_addc_u32 s3, s19, s3
	s_mul_i32 s18, s16, s8
	s_load_b64 s[22:23], s[2:3], 0x0
	s_mul_i32 s2, s16, s9
	s_mul_hi_u32 s3, s16, s8
	s_delay_alu instid0(SALU_CYCLE_1) | instskip(SKIP_2) | instid1(VALU_DEP_1)
	s_add_i32 s3, s3, s2
	v_cmp_gt_i32_e64 s2, s21, v5
	s_add_i32 s19, s3, s14
	s_and_saveexec_b32 s3, s2
	s_cbranch_execz .LBB20_4
; %bb.3:
	v_add_co_u32 v3, vcc_lo, s18, v5
	v_add_co_ci_u32_e32 v4, vcc_lo, s19, v6, vcc_lo
	s_delay_alu instid0(VALU_DEP_1) | instskip(NEXT) | instid1(VALU_DEP_1)
	v_lshlrev_b64 v[3:4], 3, v[3:4]
	v_add_co_u32 v3, vcc_lo, s12, v3
	s_delay_alu instid0(VALU_DEP_2)
	v_add_co_ci_u32_e32 v4, vcc_lo, s13, v4, vcc_lo
	global_load_b64 v[3:4], v[3:4], off
	s_waitcnt vmcnt(0)
	v_mul_f64 v[3:4], v[1:2], v[3:4]
.LBB20_4:
	s_or_b32 exec_lo, exec_lo, s3
	s_waitcnt vmcnt(0)
	v_lshlrev_b64 v[1:2], 3, v[5:6]
	v_mov_b32_e32 v9, 0
	v_mov_b32_e32 v10, 0x3ff00000
	v_cmp_eq_u32_e64 s3, 0, v0
	s_waitcnt lgkmcnt(0)
	s_cmp_ge_i32 s22, s23
	v_add_co_u32 v13, vcc_lo, s12, v1
	v_add_co_ci_u32_e32 v14, vcc_lo, s13, v2, vcc_lo
	s_cbranch_scc1 .LBB20_46
; %bb.5:
	s_clause 0x1
	s_load_b64 s[20:21], s[0:1], 0x50
	s_load_b128 s[12:15], s[0:1], 0x20
	s_sub_i32 s17, s22, s4
	s_sub_i32 s24, s23, s4
	s_cmp_lg_u32 s6, 0
	v_dual_mov_b32 v5, 0 :: v_dual_lshlrev_b32 v16, 3, v0
	v_lshl_or_b32 v15, v0, 2, 0x2000
	s_cselect_b32 s25, -1, 0
	v_cmp_ne_u32_e64 s0, 0, v0
	s_add_i32 s26, s16, s4
	v_mov_b32_e32 v6, 0x3ff00000
	v_mov_b32_e32 v2, 0
	s_cmp_eq_u32 s6, 0
	s_mov_b32 s27, s17
	s_cselect_b32 s1, -1, 0
	s_branch .LBB20_8
.LBB20_6:                               ;   in Loop: Header=BB20_8 Depth=1
	s_add_i32 s27, s27, 1
	s_delay_alu instid0(SALU_CYCLE_1)
	s_cmp_ge_i32 s27, s24
	s_cselect_b32 s22, -1, 0
.LBB20_7:                               ;   in Loop: Header=BB20_8 Depth=1
	s_delay_alu instid0(VALU_DEP_2)
	v_dual_mov_b32 v3, v11 :: v_dual_mov_b32 v4, v12
	v_dual_mov_b32 v5, v9 :: v_dual_mov_b32 v6, v10
	s_and_not1_b32 vcc_lo, exec_lo, s22
	s_cbranch_vccz .LBB20_47
.LBB20_8:                               ; =>This Loop Header: Depth=1
                                        ;     Child Loop BB20_44 Depth 2
                                        ;       Child Loop BB20_45 Depth 3
	s_sub_i32 s22, s27, s17
	s_delay_alu instid0(SALU_CYCLE_1) | instskip(NEXT) | instid1(SALU_CYCLE_1)
	s_and_b32 s22, s22, 0x3ff
	s_cmp_lg_u32 s22, 0
	s_cbranch_scc1 .LBB20_12
; %bb.9:                                ;   in Loop: Header=BB20_8 Depth=1
	s_sub_i32 s23, s24, s27
	v_mov_b32_e32 v7, 0
	v_dual_mov_b32 v8, 0xbff00000 :: v_dual_mov_b32 v1, -1
	v_cmp_gt_u32_e32 vcc_lo, s23, v0
	s_and_saveexec_b32 s23, vcc_lo
	s_cbranch_execz .LBB20_11
; %bb.10:                               ;   in Loop: Header=BB20_8 Depth=1
	v_add_nc_u32_e32 v1, s27, v0
	s_delay_alu instid0(VALU_DEP_1) | instskip(SKIP_2) | instid1(VALU_DEP_2)
	v_lshlrev_b64 v[7:8], 2, v[1:2]
	v_lshlrev_b64 v[9:10], 3, v[1:2]
	s_waitcnt lgkmcnt(0)
	v_add_co_u32 v7, vcc_lo, s12, v7
	s_delay_alu instid0(VALU_DEP_3)
	v_add_co_ci_u32_e32 v8, vcc_lo, s13, v8, vcc_lo
	global_load_b32 v1, v[7:8], off
	v_add_co_u32 v7, vcc_lo, s14, v9
	v_add_co_ci_u32_e32 v8, vcc_lo, s15, v10, vcc_lo
	global_load_b64 v[7:8], v[7:8], off
	s_waitcnt vmcnt(1)
	v_subrev_nc_u32_e32 v1, s4, v1
.LBB20_11:                              ;   in Loop: Header=BB20_8 Depth=1
	s_or_b32 exec_lo, exec_lo, s23
	ds_store_b32 v15, v1
	s_waitcnt vmcnt(0)
	ds_store_b64 v16, v[7:8]
.LBB20_12:                              ;   in Loop: Header=BB20_8 Depth=1
	s_lshl_b32 s23, s22, 3
	s_waitcnt lgkmcnt(0)
	v_mov_b32_e32 v1, s23
	s_waitcnt_vscnt null, 0x0
	s_barrier
	buffer_gl0_inv
	s_lshl_b32 s22, s22, 2
	ds_load_b64 v[7:8], v1
	v_mov_b32_e32 v1, s22
	ds_load_b32 v1, v1 offset:8192
	s_waitcnt lgkmcnt(1)
	v_cmp_neq_f64_e32 vcc_lo, 0, v[7:8]
	s_waitcnt lgkmcnt(0)
	v_readfirstlane_b32 s28, v1
	s_delay_alu instid0(VALU_DEP_1) | instskip(SKIP_1) | instid1(SALU_CYCLE_1)
	s_cmp_lg_u32 s28, s16
	s_cselect_b32 s22, -1, 0
	s_or_b32 s22, s25, s22
	s_delay_alu instid0(SALU_CYCLE_1) | instskip(SKIP_3) | instid1(SALU_CYCLE_1)
	s_or_b32 vcc_lo, vcc_lo, s22
	v_cndmask_b32_e32 v8, 0x3ff00000, v8, vcc_lo
	v_cndmask_b32_e32 v7, 0, v7, vcc_lo
	s_or_b32 s22, s0, vcc_lo
	s_xor_b32 s23, s22, -1
	s_delay_alu instid0(SALU_CYCLE_1)
	s_and_saveexec_b32 s22, s23
	s_cbranch_execz .LBB20_16
; %bb.13:                               ;   in Loop: Header=BB20_8 Depth=1
	v_mbcnt_lo_u32_b32 v1, exec_lo, 0
	s_mov_b32 s23, exec_lo
	s_delay_alu instid0(VALU_DEP_1)
	v_cmpx_eq_u32_e32 0, v1
	s_cbranch_execz .LBB20_15
; %bb.14:                               ;   in Loop: Header=BB20_8 Depth=1
	v_mov_b32_e32 v1, s26
	global_atomic_min_i32 v2, v1, s[20:21]
.LBB20_15:                              ;   in Loop: Header=BB20_8 Depth=1
	s_or_b32 exec_lo, exec_lo, s23
	v_mov_b32_e32 v7, 0
	v_mov_b32_e32 v8, 0x3ff00000
.LBB20_16:                              ;   in Loop: Header=BB20_8 Depth=1
	s_or_b32 exec_lo, exec_lo, s22
	s_cmp_lt_i32 s5, 1
	s_mov_b32 s22, 0
	s_cbranch_scc1 .LBB20_21
; %bb.17:                               ;   in Loop: Header=BB20_8 Depth=1
	s_cmp_eq_u32 s5, 1
	s_cbranch_scc0 .LBB20_22
; %bb.18:                               ;   in Loop: Header=BB20_8 Depth=1
	v_dual_mov_b32 v10, v6 :: v_dual_mov_b32 v9, v5
	s_cmp_ge_i32 s28, s16
	s_mov_b32 s23, 0
	s_cbranch_scc0 .LBB20_24
; %bb.19:                               ;   in Loop: Header=BB20_8 Depth=1
	s_cmp_eq_u32 s28, s16
	s_cbranch_scc0 .LBB20_23
; %bb.20:                               ;   in Loop: Header=BB20_8 Depth=1
	v_div_scale_f64 v[9:10], null, v[7:8], v[7:8], 1.0
	v_div_scale_f64 v[19:20], vcc_lo, 1.0, v[7:8], 1.0
	s_delay_alu instid0(VALU_DEP_2) | instskip(SKIP_2) | instid1(VALU_DEP_1)
	v_rcp_f64_e32 v[11:12], v[9:10]
	s_waitcnt_depctr 0xfff
	v_fma_f64 v[17:18], -v[9:10], v[11:12], 1.0
	v_fma_f64 v[11:12], v[11:12], v[17:18], v[11:12]
	s_delay_alu instid0(VALU_DEP_1) | instskip(NEXT) | instid1(VALU_DEP_1)
	v_fma_f64 v[17:18], -v[9:10], v[11:12], 1.0
	v_fma_f64 v[11:12], v[11:12], v[17:18], v[11:12]
	s_delay_alu instid0(VALU_DEP_1) | instskip(NEXT) | instid1(VALU_DEP_1)
	v_mul_f64 v[17:18], v[19:20], v[11:12]
	v_fma_f64 v[9:10], -v[9:10], v[17:18], v[19:20]
	s_delay_alu instid0(VALU_DEP_1) | instskip(NEXT) | instid1(VALU_DEP_1)
	v_div_fmas_f64 v[9:10], v[9:10], v[11:12], v[17:18]
	v_div_fixup_f64 v[9:10], v[9:10], v[7:8], 1.0
	s_delay_alu instid0(VALU_DEP_1) | instskip(NEXT) | instid1(VALU_DEP_2)
	v_cndmask_b32_e64 v10, v6, v10, s1
	v_cndmask_b32_e64 v9, v5, v9, s1
	s_branch .LBB20_24
.LBB20_21:                              ;   in Loop: Header=BB20_8 Depth=1
	s_mov_b32 s23, 0
                                        ; implicit-def: $vgpr11_vgpr12
                                        ; implicit-def: $vgpr9_vgpr10
                                        ; implicit-def: $sgpr29
	s_cbranch_execnz .LBB20_25
	s_branch .LBB20_27
.LBB20_22:                              ;   in Loop: Header=BB20_8 Depth=1
	s_mov_b32 s23, -1
                                        ; implicit-def: $vgpr11_vgpr12
                                        ; implicit-def: $vgpr9_vgpr10
                                        ; implicit-def: $sgpr29
	s_branch .LBB20_27
.LBB20_23:                              ;   in Loop: Header=BB20_8 Depth=1
	s_mov_b32 s23, -1
                                        ; implicit-def: $vgpr9_vgpr10
.LBB20_24:                              ;   in Loop: Header=BB20_8 Depth=1
	v_dual_mov_b32 v12, v4 :: v_dual_mov_b32 v11, v3
	s_mov_b32 s29, 4
	s_branch .LBB20_27
.LBB20_25:                              ;   in Loop: Header=BB20_8 Depth=1
	s_cmp_eq_u32 s5, 0
	s_cbranch_scc1 .LBB20_31
; %bb.26:                               ;   in Loop: Header=BB20_8 Depth=1
	s_mov_b32 s23, -1
                                        ; implicit-def: $vgpr11_vgpr12
                                        ; implicit-def: $vgpr9_vgpr10
                                        ; implicit-def: $sgpr29
.LBB20_27:                              ;   in Loop: Header=BB20_8 Depth=1
	s_delay_alu instid0(SALU_CYCLE_1)
	s_and_b32 vcc_lo, exec_lo, s23
	s_cbranch_vccnz .LBB20_34
.LBB20_28:                              ;   in Loop: Header=BB20_8 Depth=1
	s_and_b32 vcc_lo, exec_lo, s22
	s_cbranch_vccnz .LBB20_39
.LBB20_29:                              ;   in Loop: Header=BB20_8 Depth=1
	s_cmp_gt_i32 s29, 3
	s_mov_b32 s22, -1
	s_cbranch_scc1 .LBB20_40
.LBB20_30:                              ;   in Loop: Header=BB20_8 Depth=1
	s_cmp_eq_u32 s29, 0
	s_cselect_b32 s23, -1, 0
	s_delay_alu instid0(SALU_CYCLE_1)
	s_and_not1_b32 vcc_lo, exec_lo, s23
	s_cbranch_vccz .LBB20_6
	s_branch .LBB20_41
.LBB20_31:                              ;   in Loop: Header=BB20_8 Depth=1
	s_cmp_le_i32 s28, s16
	s_mov_b32 s23, 0
	s_cbranch_scc0 .LBB20_33
; %bb.32:                               ;   in Loop: Header=BB20_8 Depth=1
	s_cmp_lg_u32 s28, s16
	s_mov_b32 s22, -1
	s_cselect_b32 s23, -1, 0
.LBB20_33:                              ;   in Loop: Header=BB20_8 Depth=1
	v_dual_mov_b32 v12, v4 :: v_dual_mov_b32 v11, v3
	v_dual_mov_b32 v10, v6 :: v_dual_mov_b32 v9, v5
	s_mov_b32 s29, 2
	s_and_b32 vcc_lo, exec_lo, s23
	s_cbranch_vccz .LBB20_28
.LBB20_34:                              ;   in Loop: Header=BB20_8 Depth=1
	s_and_saveexec_b32 s29, s3
	s_cbranch_execz .LBB20_36
; %bb.35:                               ;   in Loop: Header=BB20_8 Depth=1
	s_add_i32 s22, s28, s7
	s_delay_alu instid0(SALU_CYCLE_1) | instskip(NEXT) | instid1(SALU_CYCLE_1)
	s_ashr_i32 s23, s22, 31
	s_lshl_b64 s[22:23], s[22:23], 2
	s_delay_alu instid0(SALU_CYCLE_1)
	s_add_u32 s22, s10, s22
	s_addc_u32 s23, s11, s23
	global_load_b32 v1, v2, s[22:23] glc
	s_waitcnt vmcnt(0)
	v_cmp_ne_u32_e32 vcc_lo, 0, v1
	s_cbranch_vccz .LBB20_42
.LBB20_36:                              ;   in Loop: Header=BB20_8 Depth=1
	s_or_b32 exec_lo, exec_lo, s29
	v_mov_b32_e32 v11, 0
	v_mov_b32_e32 v12, 0
	s_waitcnt_vscnt null, 0x0
	s_barrier
	buffer_gl0_inv
	buffer_gl1_inv
	buffer_gl0_inv
	s_and_saveexec_b32 s22, s2
	s_cbranch_execz .LBB20_38
; %bb.37:                               ;   in Loop: Header=BB20_8 Depth=1
	s_mul_i32 s23, s28, s9
	s_mul_hi_u32 s29, s28, s8
	s_ashr_i32 s30, s28, 31
	s_add_i32 s23, s29, s23
	s_mul_i32 s30, s30, s8
	s_mul_i32 s28, s28, s8
	s_add_i32 s29, s23, s30
	s_delay_alu instid0(SALU_CYCLE_1) | instskip(NEXT) | instid1(SALU_CYCLE_1)
	s_lshl_b64 s[28:29], s[28:29], 3
	v_add_co_u32 v9, vcc_lo, v13, s28
	v_add_co_ci_u32_e32 v10, vcc_lo, s29, v14, vcc_lo
	global_load_b64 v[9:10], v[9:10], off
	s_waitcnt vmcnt(0)
	v_fma_f64 v[11:12], -v[7:8], v[9:10], v[3:4]
.LBB20_38:                              ;   in Loop: Header=BB20_8 Depth=1
	s_or_b32 exec_lo, exec_lo, s22
	v_dual_mov_b32 v10, v6 :: v_dual_mov_b32 v9, v5
	s_mov_b32 s29, 0
	s_branch .LBB20_29
.LBB20_39:                              ;   in Loop: Header=BB20_8 Depth=1
	v_div_scale_f64 v[9:10], null, v[7:8], v[7:8], 1.0
	v_div_scale_f64 v[19:20], vcc_lo, 1.0, v[7:8], 1.0
	s_mov_b32 s29, 2
	s_delay_alu instid0(VALU_DEP_2) | instskip(SKIP_2) | instid1(VALU_DEP_1)
	v_rcp_f64_e32 v[11:12], v[9:10]
	s_waitcnt_depctr 0xfff
	v_fma_f64 v[17:18], -v[9:10], v[11:12], 1.0
	v_fma_f64 v[11:12], v[11:12], v[17:18], v[11:12]
	s_delay_alu instid0(VALU_DEP_1) | instskip(NEXT) | instid1(VALU_DEP_1)
	v_fma_f64 v[17:18], -v[9:10], v[11:12], 1.0
	v_fma_f64 v[11:12], v[11:12], v[17:18], v[11:12]
	s_delay_alu instid0(VALU_DEP_1) | instskip(NEXT) | instid1(VALU_DEP_1)
	v_mul_f64 v[17:18], v[19:20], v[11:12]
	v_fma_f64 v[9:10], -v[9:10], v[17:18], v[19:20]
	s_delay_alu instid0(VALU_DEP_1) | instskip(SKIP_1) | instid1(VALU_DEP_2)
	v_div_fmas_f64 v[9:10], v[9:10], v[11:12], v[17:18]
	v_dual_mov_b32 v12, v4 :: v_dual_mov_b32 v11, v3
	v_div_fixup_f64 v[7:8], v[9:10], v[7:8], 1.0
	s_delay_alu instid0(VALU_DEP_1) | instskip(NEXT) | instid1(VALU_DEP_2)
	v_cndmask_b32_e64 v10, v6, v8, s1
	v_cndmask_b32_e64 v9, v5, v7, s1
	s_cmp_gt_i32 s29, 3
	s_mov_b32 s22, -1
	s_cbranch_scc0 .LBB20_30
.LBB20_40:                              ;   in Loop: Header=BB20_8 Depth=1
	s_branch .LBB20_6
.LBB20_41:                              ;   in Loop: Header=BB20_8 Depth=1
                                        ; implicit-def: $sgpr27
	s_branch .LBB20_7
.LBB20_42:                              ;   in Loop: Header=BB20_8 Depth=1
	s_mov_b32 s30, 0
	s_branch .LBB20_44
	.p2align	6
.LBB20_43:                              ;   in Loop: Header=BB20_44 Depth=2
	global_load_b32 v1, v2, s[22:23] glc
	s_cmpk_lt_u32 s30, 0xf43
	s_cselect_b32 s31, -1, 0
	s_delay_alu instid0(SALU_CYCLE_1)
	s_cmp_lg_u32 s31, 0
	s_addc_u32 s30, s30, 0
	s_waitcnt vmcnt(0)
	v_cmp_ne_u32_e32 vcc_lo, 0, v1
	s_cbranch_vccnz .LBB20_36
.LBB20_44:                              ;   Parent Loop BB20_8 Depth=1
                                        ; =>  This Loop Header: Depth=2
                                        ;       Child Loop BB20_45 Depth 3
	s_cmp_eq_u32 s30, 0
	s_mov_b32 s31, s30
	s_cbranch_scc1 .LBB20_43
.LBB20_45:                              ;   Parent Loop BB20_8 Depth=1
                                        ;     Parent Loop BB20_44 Depth=2
                                        ; =>    This Inner Loop Header: Depth=3
	s_add_i32 s31, s31, -1
	s_sleep 1
	s_cmp_eq_u32 s31, 0
	s_cbranch_scc0 .LBB20_45
	s_branch .LBB20_43
.LBB20_46:
	v_dual_mov_b32 v12, v4 :: v_dual_mov_b32 v11, v3
.LBB20_47:
	s_and_saveexec_b32 s0, s2
	s_cbranch_execz .LBB20_49
; %bb.48:
	s_delay_alu instid0(VALU_DEP_1) | instskip(SKIP_3) | instid1(VALU_DEP_1)
	v_mul_f64 v[1:2], v[9:10], v[11:12]
	s_cmp_eq_u32 s6, 0
	s_cselect_b32 vcc_lo, -1, 0
	s_lshl_b64 s[2:3], s[18:19], 3
	v_dual_cndmask_b32 v2, v12, v2 :: v_dual_cndmask_b32 v1, v11, v1
	v_add_co_u32 v3, vcc_lo, v13, s2
	v_add_co_ci_u32_e32 v4, vcc_lo, s3, v14, vcc_lo
	global_store_b64 v[3:4], v[1:2], off
.LBB20_49:
	s_or_b32 exec_lo, exec_lo, s0
	s_waitcnt_vscnt null, 0x0
	buffer_gl1_inv
	buffer_gl0_inv
	s_barrier
	buffer_gl0_inv
	s_mov_b32 s0, exec_lo
	v_cmpx_eq_u32_e32 0, v0
	s_cbranch_execz .LBB20_51
; %bb.50:
	s_add_i32 s0, s16, s7
	v_dual_mov_b32 v0, 0 :: v_dual_mov_b32 v1, 1
	s_ashr_i32 s1, s0, 31
	s_delay_alu instid0(SALU_CYCLE_1) | instskip(NEXT) | instid1(SALU_CYCLE_1)
	s_lshl_b64 s[0:1], s[0:1], 2
	s_add_u32 s0, s10, s0
	s_addc_u32 s1, s11, s1
	global_store_b32 v0, v1, s[0:1]
.LBB20_51:
	s_nop 0
	s_sendmsg sendmsg(MSG_DEALLOC_VGPRS)
	s_endpgm
	.section	.rodata,"a",@progbits
	.p2align	6, 0x0
	.amdhsa_kernel _ZN9rocsparseL5csrsmILj1024ELj64ELb1EiidEEv20rocsparse_operation_T3_S2_NS_24const_host_device_scalarIT4_EEPKT2_PKS2_PKS4_PS4_lPiSA_PS2_21rocsparse_index_base_20rocsparse_fill_mode_20rocsparse_diag_type_b
		.amdhsa_group_segment_fixed_size 12288
		.amdhsa_private_segment_fixed_size 0
		.amdhsa_kernarg_size 104
		.amdhsa_user_sgpr_count 15
		.amdhsa_user_sgpr_dispatch_ptr 0
		.amdhsa_user_sgpr_queue_ptr 0
		.amdhsa_user_sgpr_kernarg_segment_ptr 1
		.amdhsa_user_sgpr_dispatch_id 0
		.amdhsa_user_sgpr_private_segment_size 0
		.amdhsa_wavefront_size32 1
		.amdhsa_uses_dynamic_stack 0
		.amdhsa_enable_private_segment 0
		.amdhsa_system_sgpr_workgroup_id_x 1
		.amdhsa_system_sgpr_workgroup_id_y 0
		.amdhsa_system_sgpr_workgroup_id_z 0
		.amdhsa_system_sgpr_workgroup_info 0
		.amdhsa_system_vgpr_workitem_id 0
		.amdhsa_next_free_vgpr 21
		.amdhsa_next_free_sgpr 32
		.amdhsa_reserve_vcc 1
		.amdhsa_float_round_mode_32 0
		.amdhsa_float_round_mode_16_64 0
		.amdhsa_float_denorm_mode_32 3
		.amdhsa_float_denorm_mode_16_64 3
		.amdhsa_dx10_clamp 1
		.amdhsa_ieee_mode 1
		.amdhsa_fp16_overflow 0
		.amdhsa_workgroup_processor_mode 1
		.amdhsa_memory_ordered 1
		.amdhsa_forward_progress 0
		.amdhsa_shared_vgpr_count 0
		.amdhsa_exception_fp_ieee_invalid_op 0
		.amdhsa_exception_fp_denorm_src 0
		.amdhsa_exception_fp_ieee_div_zero 0
		.amdhsa_exception_fp_ieee_overflow 0
		.amdhsa_exception_fp_ieee_underflow 0
		.amdhsa_exception_fp_ieee_inexact 0
		.amdhsa_exception_int_div_zero 0
	.end_amdhsa_kernel
	.section	.text._ZN9rocsparseL5csrsmILj1024ELj64ELb1EiidEEv20rocsparse_operation_T3_S2_NS_24const_host_device_scalarIT4_EEPKT2_PKS2_PKS4_PS4_lPiSA_PS2_21rocsparse_index_base_20rocsparse_fill_mode_20rocsparse_diag_type_b,"axG",@progbits,_ZN9rocsparseL5csrsmILj1024ELj64ELb1EiidEEv20rocsparse_operation_T3_S2_NS_24const_host_device_scalarIT4_EEPKT2_PKS2_PKS4_PS4_lPiSA_PS2_21rocsparse_index_base_20rocsparse_fill_mode_20rocsparse_diag_type_b,comdat
.Lfunc_end20:
	.size	_ZN9rocsparseL5csrsmILj1024ELj64ELb1EiidEEv20rocsparse_operation_T3_S2_NS_24const_host_device_scalarIT4_EEPKT2_PKS2_PKS4_PS4_lPiSA_PS2_21rocsparse_index_base_20rocsparse_fill_mode_20rocsparse_diag_type_b, .Lfunc_end20-_ZN9rocsparseL5csrsmILj1024ELj64ELb1EiidEEv20rocsparse_operation_T3_S2_NS_24const_host_device_scalarIT4_EEPKT2_PKS2_PKS4_PS4_lPiSA_PS2_21rocsparse_index_base_20rocsparse_fill_mode_20rocsparse_diag_type_b
                                        ; -- End function
	.section	.AMDGPU.csdata,"",@progbits
; Kernel info:
; codeLenInByte = 1884
; NumSgprs: 34
; NumVgprs: 21
; ScratchSize: 0
; MemoryBound: 0
; FloatMode: 240
; IeeeMode: 1
; LDSByteSize: 12288 bytes/workgroup (compile time only)
; SGPRBlocks: 4
; VGPRBlocks: 2
; NumSGPRsForWavesPerEU: 34
; NumVGPRsForWavesPerEU: 21
; Occupancy: 16
; WaveLimiterHint : 1
; COMPUTE_PGM_RSRC2:SCRATCH_EN: 0
; COMPUTE_PGM_RSRC2:USER_SGPR: 15
; COMPUTE_PGM_RSRC2:TRAP_HANDLER: 0
; COMPUTE_PGM_RSRC2:TGID_X_EN: 1
; COMPUTE_PGM_RSRC2:TGID_Y_EN: 0
; COMPUTE_PGM_RSRC2:TGID_Z_EN: 0
; COMPUTE_PGM_RSRC2:TIDIG_COMP_CNT: 0
	.section	.text._ZN9rocsparseL5csrsmILj1024ELj64ELb0EiidEEv20rocsparse_operation_T3_S2_NS_24const_host_device_scalarIT4_EEPKT2_PKS2_PKS4_PS4_lPiSA_PS2_21rocsparse_index_base_20rocsparse_fill_mode_20rocsparse_diag_type_b,"axG",@progbits,_ZN9rocsparseL5csrsmILj1024ELj64ELb0EiidEEv20rocsparse_operation_T3_S2_NS_24const_host_device_scalarIT4_EEPKT2_PKS2_PKS4_PS4_lPiSA_PS2_21rocsparse_index_base_20rocsparse_fill_mode_20rocsparse_diag_type_b,comdat
	.globl	_ZN9rocsparseL5csrsmILj1024ELj64ELb0EiidEEv20rocsparse_operation_T3_S2_NS_24const_host_device_scalarIT4_EEPKT2_PKS2_PKS4_PS4_lPiSA_PS2_21rocsparse_index_base_20rocsparse_fill_mode_20rocsparse_diag_type_b ; -- Begin function _ZN9rocsparseL5csrsmILj1024ELj64ELb0EiidEEv20rocsparse_operation_T3_S2_NS_24const_host_device_scalarIT4_EEPKT2_PKS2_PKS4_PS4_lPiSA_PS2_21rocsparse_index_base_20rocsparse_fill_mode_20rocsparse_diag_type_b
	.p2align	8
	.type	_ZN9rocsparseL5csrsmILj1024ELj64ELb0EiidEEv20rocsparse_operation_T3_S2_NS_24const_host_device_scalarIT4_EEPKT2_PKS2_PKS4_PS4_lPiSA_PS2_21rocsparse_index_base_20rocsparse_fill_mode_20rocsparse_diag_type_b,@function
_ZN9rocsparseL5csrsmILj1024ELj64ELb0EiidEEv20rocsparse_operation_T3_S2_NS_24const_host_device_scalarIT4_EEPKT2_PKS2_PKS4_PS4_lPiSA_PS2_21rocsparse_index_base_20rocsparse_fill_mode_20rocsparse_diag_type_b: ; @_ZN9rocsparseL5csrsmILj1024ELj64ELb0EiidEEv20rocsparse_operation_T3_S2_NS_24const_host_device_scalarIT4_EEPKT2_PKS2_PKS4_PS4_lPiSA_PS2_21rocsparse_index_base_20rocsparse_fill_mode_20rocsparse_diag_type_b
; %bb.0:
	s_clause 0x3
	s_load_b128 s[4:7], s[0:1], 0x58
	s_load_b128 s[16:19], s[0:1], 0x10
	s_load_b64 s[2:3], s[0:1], 0x48
	s_load_b64 s[12:13], s[0:1], 0x30
	s_waitcnt lgkmcnt(0)
	s_bitcmp1_b32 s7, 0
	v_dual_mov_b32 v1, s16 :: v_dual_mov_b32 v2, s17
	s_cselect_b32 s7, -1, 0
	s_delay_alu instid0(SALU_CYCLE_1)
	s_and_b32 vcc_lo, exec_lo, s7
	s_cbranch_vccnz .LBB21_2
; %bb.1:
	v_dual_mov_b32 v1, s16 :: v_dual_mov_b32 v2, s17
	flat_load_b64 v[1:2], v[1:2]
.LBB21_2:
	s_load_b64 s[20:21], s[0:1], 0x4
	s_waitcnt lgkmcnt(0)
	v_cvt_f32_u32_e32 v3, s20
	s_sub_i32 s8, 0, s20
	s_delay_alu instid0(VALU_DEP_1) | instskip(SKIP_2) | instid1(VALU_DEP_1)
	v_rcp_iflag_f32_e32 v3, v3
	s_waitcnt_depctr 0xfff
	v_mul_f32_e32 v3, 0x4f7ffffe, v3
	v_cvt_u32_f32_e32 v3, v3
	s_delay_alu instid0(VALU_DEP_1) | instskip(SKIP_2) | instid1(VALU_DEP_3)
	v_readfirstlane_b32 s7, v3
	v_mov_b32_e32 v3, 0
	v_mov_b32_e32 v4, 0
	s_mul_i32 s8, s8, s7
	s_delay_alu instid0(SALU_CYCLE_1) | instskip(NEXT) | instid1(SALU_CYCLE_1)
	s_mul_hi_u32 s8, s7, s8
	s_add_i32 s7, s7, s8
	s_delay_alu instid0(SALU_CYCLE_1) | instskip(NEXT) | instid1(SALU_CYCLE_1)
	s_mul_hi_u32 s7, s15, s7
	s_mul_i32 s8, s7, s20
	s_add_i32 s9, s7, 1
	s_sub_i32 s8, s15, s8
	s_delay_alu instid0(SALU_CYCLE_1)
	s_sub_i32 s10, s8, s20
	s_cmp_ge_u32 s8, s20
	s_cselect_b32 s7, s9, s7
	s_cselect_b32 s8, s10, s8
	s_add_i32 s9, s7, 1
	s_cmp_ge_u32 s8, s20
	s_cselect_b32 s14, s9, s7
	s_delay_alu instid0(SALU_CYCLE_1) | instskip(SKIP_2) | instid1(SALU_CYCLE_1)
	s_mul_i32 s7, s14, s20
	v_lshl_or_b32 v5, s14, 10, v0
	s_sub_i32 s8, s15, s7
	s_ashr_i32 s9, s8, 31
	s_delay_alu instid0(VALU_DEP_1) | instskip(SKIP_1) | instid1(SALU_CYCLE_1)
	v_ashrrev_i32_e32 v6, 31, v5
	s_lshl_b64 s[8:9], s[8:9], 2
	s_add_u32 s2, s2, s8
	s_addc_u32 s3, s3, s9
	s_load_b32 s16, s[2:3], 0x0
	s_load_b128 s[8:11], s[0:1], 0x38
	s_waitcnt lgkmcnt(0)
	s_ashr_i32 s17, s16, 31
	s_delay_alu instid0(SALU_CYCLE_1)
	s_lshl_b64 s[2:3], s[16:17], 2
	s_mul_i32 s14, s17, s8
	s_add_u32 s2, s18, s2
	s_addc_u32 s3, s19, s3
	s_mul_i32 s18, s16, s8
	s_load_b64 s[22:23], s[2:3], 0x0
	s_mul_i32 s2, s16, s9
	s_mul_hi_u32 s3, s16, s8
	s_delay_alu instid0(SALU_CYCLE_1) | instskip(SKIP_2) | instid1(VALU_DEP_1)
	s_add_i32 s3, s3, s2
	v_cmp_gt_i32_e64 s2, s21, v5
	s_add_i32 s19, s3, s14
	s_and_saveexec_b32 s3, s2
	s_cbranch_execz .LBB21_4
; %bb.3:
	v_add_co_u32 v3, vcc_lo, s18, v5
	v_add_co_ci_u32_e32 v4, vcc_lo, s19, v6, vcc_lo
	s_delay_alu instid0(VALU_DEP_1) | instskip(NEXT) | instid1(VALU_DEP_1)
	v_lshlrev_b64 v[3:4], 3, v[3:4]
	v_add_co_u32 v3, vcc_lo, s12, v3
	s_delay_alu instid0(VALU_DEP_2)
	v_add_co_ci_u32_e32 v4, vcc_lo, s13, v4, vcc_lo
	global_load_b64 v[3:4], v[3:4], off
	s_waitcnt vmcnt(0)
	v_mul_f64 v[3:4], v[1:2], v[3:4]
.LBB21_4:
	s_or_b32 exec_lo, exec_lo, s3
	s_waitcnt vmcnt(0)
	v_lshlrev_b64 v[1:2], 3, v[5:6]
	v_mov_b32_e32 v9, 0
	v_mov_b32_e32 v10, 0x3ff00000
	v_cmp_eq_u32_e64 s3, 0, v0
	s_waitcnt lgkmcnt(0)
	s_cmp_ge_i32 s22, s23
	v_add_co_u32 v13, vcc_lo, s12, v1
	v_add_co_ci_u32_e32 v14, vcc_lo, s13, v2, vcc_lo
	s_cbranch_scc1 .LBB21_43
; %bb.5:
	s_clause 0x1
	s_load_b64 s[20:21], s[0:1], 0x50
	s_load_b128 s[12:15], s[0:1], 0x20
	s_sub_i32 s17, s22, s4
	s_sub_i32 s24, s23, s4
	s_cmp_lg_u32 s6, 0
	v_dual_mov_b32 v5, 0 :: v_dual_lshlrev_b32 v16, 3, v0
	v_lshl_or_b32 v15, v0, 2, 0x2000
	s_cselect_b32 s25, -1, 0
	v_cmp_ne_u32_e64 s0, 0, v0
	s_add_i32 s26, s16, s4
	v_mov_b32_e32 v6, 0x3ff00000
	v_mov_b32_e32 v2, 0
	s_cmp_eq_u32 s6, 0
	s_mov_b32 s27, s17
	s_cselect_b32 s1, -1, 0
	s_branch .LBB21_8
.LBB21_6:                               ;   in Loop: Header=BB21_8 Depth=1
	s_add_i32 s27, s27, 1
	s_delay_alu instid0(SALU_CYCLE_1)
	s_cmp_ge_i32 s27, s24
	s_cselect_b32 s22, -1, 0
.LBB21_7:                               ;   in Loop: Header=BB21_8 Depth=1
	s_delay_alu instid0(VALU_DEP_2)
	v_dual_mov_b32 v3, v11 :: v_dual_mov_b32 v4, v12
	v_dual_mov_b32 v5, v9 :: v_dual_mov_b32 v6, v10
	s_and_not1_b32 vcc_lo, exec_lo, s22
	s_cbranch_vccz .LBB21_44
.LBB21_8:                               ; =>This Loop Header: Depth=1
                                        ;     Child Loop BB21_36 Depth 2
	s_sub_i32 s22, s27, s17
	s_delay_alu instid0(SALU_CYCLE_1) | instskip(NEXT) | instid1(SALU_CYCLE_1)
	s_and_b32 s22, s22, 0x3ff
	s_cmp_lg_u32 s22, 0
	s_cbranch_scc1 .LBB21_12
; %bb.9:                                ;   in Loop: Header=BB21_8 Depth=1
	s_sub_i32 s23, s24, s27
	v_mov_b32_e32 v7, 0
	v_dual_mov_b32 v8, 0xbff00000 :: v_dual_mov_b32 v1, -1
	v_cmp_gt_u32_e32 vcc_lo, s23, v0
	s_and_saveexec_b32 s23, vcc_lo
	s_cbranch_execz .LBB21_11
; %bb.10:                               ;   in Loop: Header=BB21_8 Depth=1
	v_add_nc_u32_e32 v1, s27, v0
	s_delay_alu instid0(VALU_DEP_1) | instskip(SKIP_2) | instid1(VALU_DEP_2)
	v_lshlrev_b64 v[7:8], 2, v[1:2]
	v_lshlrev_b64 v[9:10], 3, v[1:2]
	s_waitcnt lgkmcnt(0)
	v_add_co_u32 v7, vcc_lo, s12, v7
	s_delay_alu instid0(VALU_DEP_3)
	v_add_co_ci_u32_e32 v8, vcc_lo, s13, v8, vcc_lo
	global_load_b32 v1, v[7:8], off
	v_add_co_u32 v7, vcc_lo, s14, v9
	v_add_co_ci_u32_e32 v8, vcc_lo, s15, v10, vcc_lo
	global_load_b64 v[7:8], v[7:8], off
	s_waitcnt vmcnt(1)
	v_subrev_nc_u32_e32 v1, s4, v1
.LBB21_11:                              ;   in Loop: Header=BB21_8 Depth=1
	s_or_b32 exec_lo, exec_lo, s23
	ds_store_b32 v15, v1
	s_waitcnt vmcnt(0)
	ds_store_b64 v16, v[7:8]
.LBB21_12:                              ;   in Loop: Header=BB21_8 Depth=1
	s_lshl_b32 s23, s22, 3
	s_waitcnt lgkmcnt(0)
	v_mov_b32_e32 v1, s23
	s_waitcnt_vscnt null, 0x0
	s_barrier
	buffer_gl0_inv
	s_lshl_b32 s22, s22, 2
	ds_load_b64 v[7:8], v1
	v_mov_b32_e32 v1, s22
	ds_load_b32 v1, v1 offset:8192
	s_waitcnt lgkmcnt(1)
	v_cmp_neq_f64_e32 vcc_lo, 0, v[7:8]
	s_waitcnt lgkmcnt(0)
	v_readfirstlane_b32 s28, v1
	s_delay_alu instid0(VALU_DEP_1) | instskip(SKIP_1) | instid1(SALU_CYCLE_1)
	s_cmp_lg_u32 s28, s16
	s_cselect_b32 s22, -1, 0
	s_or_b32 s22, s25, s22
	s_delay_alu instid0(SALU_CYCLE_1) | instskip(SKIP_3) | instid1(SALU_CYCLE_1)
	s_or_b32 vcc_lo, vcc_lo, s22
	v_cndmask_b32_e32 v8, 0x3ff00000, v8, vcc_lo
	v_cndmask_b32_e32 v7, 0, v7, vcc_lo
	s_or_b32 s22, s0, vcc_lo
	s_xor_b32 s23, s22, -1
	s_delay_alu instid0(SALU_CYCLE_1)
	s_and_saveexec_b32 s22, s23
	s_cbranch_execz .LBB21_16
; %bb.13:                               ;   in Loop: Header=BB21_8 Depth=1
	v_mbcnt_lo_u32_b32 v1, exec_lo, 0
	s_mov_b32 s23, exec_lo
	s_delay_alu instid0(VALU_DEP_1)
	v_cmpx_eq_u32_e32 0, v1
	s_cbranch_execz .LBB21_15
; %bb.14:                               ;   in Loop: Header=BB21_8 Depth=1
	v_mov_b32_e32 v1, s26
	global_atomic_min_i32 v2, v1, s[20:21]
.LBB21_15:                              ;   in Loop: Header=BB21_8 Depth=1
	s_or_b32 exec_lo, exec_lo, s23
	v_mov_b32_e32 v7, 0
	v_mov_b32_e32 v8, 0x3ff00000
.LBB21_16:                              ;   in Loop: Header=BB21_8 Depth=1
	s_or_b32 exec_lo, exec_lo, s22
	s_cmp_lt_i32 s5, 1
	s_mov_b32 s22, 0
	s_cbranch_scc1 .LBB21_21
; %bb.17:                               ;   in Loop: Header=BB21_8 Depth=1
	s_cmp_eq_u32 s5, 1
	s_cbranch_scc0 .LBB21_22
; %bb.18:                               ;   in Loop: Header=BB21_8 Depth=1
	v_dual_mov_b32 v10, v6 :: v_dual_mov_b32 v9, v5
	s_cmp_ge_i32 s28, s16
	s_mov_b32 s23, 0
	s_cbranch_scc0 .LBB21_24
; %bb.19:                               ;   in Loop: Header=BB21_8 Depth=1
	s_cmp_eq_u32 s28, s16
	s_cbranch_scc0 .LBB21_23
; %bb.20:                               ;   in Loop: Header=BB21_8 Depth=1
	v_div_scale_f64 v[9:10], null, v[7:8], v[7:8], 1.0
	v_div_scale_f64 v[19:20], vcc_lo, 1.0, v[7:8], 1.0
	s_delay_alu instid0(VALU_DEP_2) | instskip(SKIP_2) | instid1(VALU_DEP_1)
	v_rcp_f64_e32 v[11:12], v[9:10]
	s_waitcnt_depctr 0xfff
	v_fma_f64 v[17:18], -v[9:10], v[11:12], 1.0
	v_fma_f64 v[11:12], v[11:12], v[17:18], v[11:12]
	s_delay_alu instid0(VALU_DEP_1) | instskip(NEXT) | instid1(VALU_DEP_1)
	v_fma_f64 v[17:18], -v[9:10], v[11:12], 1.0
	v_fma_f64 v[11:12], v[11:12], v[17:18], v[11:12]
	s_delay_alu instid0(VALU_DEP_1) | instskip(NEXT) | instid1(VALU_DEP_1)
	v_mul_f64 v[17:18], v[19:20], v[11:12]
	v_fma_f64 v[9:10], -v[9:10], v[17:18], v[19:20]
	s_delay_alu instid0(VALU_DEP_1) | instskip(NEXT) | instid1(VALU_DEP_1)
	v_div_fmas_f64 v[9:10], v[9:10], v[11:12], v[17:18]
	v_div_fixup_f64 v[9:10], v[9:10], v[7:8], 1.0
	s_delay_alu instid0(VALU_DEP_1) | instskip(NEXT) | instid1(VALU_DEP_2)
	v_cndmask_b32_e64 v10, v6, v10, s1
	v_cndmask_b32_e64 v9, v5, v9, s1
	s_branch .LBB21_24
.LBB21_21:                              ;   in Loop: Header=BB21_8 Depth=1
	s_mov_b32 s23, 0
                                        ; implicit-def: $vgpr11_vgpr12
                                        ; implicit-def: $vgpr9_vgpr10
                                        ; implicit-def: $sgpr29
	s_cbranch_execnz .LBB21_25
	s_branch .LBB21_27
.LBB21_22:                              ;   in Loop: Header=BB21_8 Depth=1
	s_mov_b32 s23, -1
                                        ; implicit-def: $vgpr11_vgpr12
                                        ; implicit-def: $vgpr9_vgpr10
                                        ; implicit-def: $sgpr29
	s_branch .LBB21_27
.LBB21_23:                              ;   in Loop: Header=BB21_8 Depth=1
	s_mov_b32 s23, -1
                                        ; implicit-def: $vgpr9_vgpr10
.LBB21_24:                              ;   in Loop: Header=BB21_8 Depth=1
	v_dual_mov_b32 v12, v4 :: v_dual_mov_b32 v11, v3
	s_mov_b32 s29, 4
	s_branch .LBB21_27
.LBB21_25:                              ;   in Loop: Header=BB21_8 Depth=1
	s_cmp_eq_u32 s5, 0
	s_cbranch_scc1 .LBB21_31
; %bb.26:                               ;   in Loop: Header=BB21_8 Depth=1
	s_mov_b32 s23, -1
                                        ; implicit-def: $vgpr11_vgpr12
                                        ; implicit-def: $vgpr9_vgpr10
                                        ; implicit-def: $sgpr29
.LBB21_27:                              ;   in Loop: Header=BB21_8 Depth=1
	s_delay_alu instid0(SALU_CYCLE_1)
	s_and_b32 vcc_lo, exec_lo, s23
	s_cbranch_vccnz .LBB21_34
.LBB21_28:                              ;   in Loop: Header=BB21_8 Depth=1
	s_and_b32 vcc_lo, exec_lo, s22
	s_cbranch_vccnz .LBB21_40
.LBB21_29:                              ;   in Loop: Header=BB21_8 Depth=1
	s_cmp_gt_i32 s29, 3
	s_mov_b32 s22, -1
	s_cbranch_scc1 .LBB21_41
.LBB21_30:                              ;   in Loop: Header=BB21_8 Depth=1
	s_cmp_eq_u32 s29, 0
	s_cselect_b32 s23, -1, 0
	s_delay_alu instid0(SALU_CYCLE_1)
	s_and_not1_b32 vcc_lo, exec_lo, s23
	s_cbranch_vccz .LBB21_6
	s_branch .LBB21_42
.LBB21_31:                              ;   in Loop: Header=BB21_8 Depth=1
	s_cmp_le_i32 s28, s16
	s_mov_b32 s23, 0
	s_cbranch_scc0 .LBB21_33
; %bb.32:                               ;   in Loop: Header=BB21_8 Depth=1
	s_cmp_lg_u32 s28, s16
	s_mov_b32 s22, -1
	s_cselect_b32 s23, -1, 0
.LBB21_33:                              ;   in Loop: Header=BB21_8 Depth=1
	v_dual_mov_b32 v12, v4 :: v_dual_mov_b32 v11, v3
	v_dual_mov_b32 v10, v6 :: v_dual_mov_b32 v9, v5
	s_mov_b32 s29, 2
	s_and_b32 vcc_lo, exec_lo, s23
	s_cbranch_vccz .LBB21_28
.LBB21_34:                              ;   in Loop: Header=BB21_8 Depth=1
	s_and_saveexec_b32 s29, s3
	s_cbranch_execz .LBB21_37
; %bb.35:                               ;   in Loop: Header=BB21_8 Depth=1
	s_add_i32 s22, s28, s7
	s_delay_alu instid0(SALU_CYCLE_1) | instskip(NEXT) | instid1(SALU_CYCLE_1)
	s_ashr_i32 s23, s22, 31
	s_lshl_b64 s[22:23], s[22:23], 2
	s_delay_alu instid0(SALU_CYCLE_1)
	s_add_u32 s22, s10, s22
	s_addc_u32 s23, s11, s23
	global_load_b32 v1, v2, s[22:23] glc
	s_waitcnt vmcnt(0)
	v_cmp_ne_u32_e32 vcc_lo, 0, v1
	s_cbranch_vccnz .LBB21_37
.LBB21_36:                              ;   Parent Loop BB21_8 Depth=1
                                        ; =>  This Inner Loop Header: Depth=2
	global_load_b32 v1, v2, s[22:23] glc
	s_waitcnt vmcnt(0)
	v_cmp_eq_u32_e32 vcc_lo, 0, v1
	s_cbranch_vccnz .LBB21_36
.LBB21_37:                              ;   in Loop: Header=BB21_8 Depth=1
	s_or_b32 exec_lo, exec_lo, s29
	v_mov_b32_e32 v11, 0
	v_mov_b32_e32 v12, 0
	s_waitcnt_vscnt null, 0x0
	s_barrier
	buffer_gl0_inv
	buffer_gl1_inv
	buffer_gl0_inv
	s_and_saveexec_b32 s22, s2
	s_cbranch_execz .LBB21_39
; %bb.38:                               ;   in Loop: Header=BB21_8 Depth=1
	s_mul_i32 s23, s28, s9
	s_mul_hi_u32 s29, s28, s8
	s_ashr_i32 s30, s28, 31
	s_add_i32 s23, s29, s23
	s_mul_i32 s30, s30, s8
	s_mul_i32 s28, s28, s8
	s_add_i32 s29, s23, s30
	s_delay_alu instid0(SALU_CYCLE_1) | instskip(NEXT) | instid1(SALU_CYCLE_1)
	s_lshl_b64 s[28:29], s[28:29], 3
	v_add_co_u32 v9, vcc_lo, v13, s28
	v_add_co_ci_u32_e32 v10, vcc_lo, s29, v14, vcc_lo
	global_load_b64 v[9:10], v[9:10], off
	s_waitcnt vmcnt(0)
	v_fma_f64 v[11:12], -v[7:8], v[9:10], v[3:4]
.LBB21_39:                              ;   in Loop: Header=BB21_8 Depth=1
	s_or_b32 exec_lo, exec_lo, s22
	v_dual_mov_b32 v10, v6 :: v_dual_mov_b32 v9, v5
	s_mov_b32 s29, 0
	s_branch .LBB21_29
.LBB21_40:                              ;   in Loop: Header=BB21_8 Depth=1
	v_div_scale_f64 v[9:10], null, v[7:8], v[7:8], 1.0
	v_div_scale_f64 v[19:20], vcc_lo, 1.0, v[7:8], 1.0
	s_mov_b32 s29, 2
	s_delay_alu instid0(VALU_DEP_2) | instskip(SKIP_2) | instid1(VALU_DEP_1)
	v_rcp_f64_e32 v[11:12], v[9:10]
	s_waitcnt_depctr 0xfff
	v_fma_f64 v[17:18], -v[9:10], v[11:12], 1.0
	v_fma_f64 v[11:12], v[11:12], v[17:18], v[11:12]
	s_delay_alu instid0(VALU_DEP_1) | instskip(NEXT) | instid1(VALU_DEP_1)
	v_fma_f64 v[17:18], -v[9:10], v[11:12], 1.0
	v_fma_f64 v[11:12], v[11:12], v[17:18], v[11:12]
	s_delay_alu instid0(VALU_DEP_1) | instskip(NEXT) | instid1(VALU_DEP_1)
	v_mul_f64 v[17:18], v[19:20], v[11:12]
	v_fma_f64 v[9:10], -v[9:10], v[17:18], v[19:20]
	s_delay_alu instid0(VALU_DEP_1) | instskip(SKIP_1) | instid1(VALU_DEP_2)
	v_div_fmas_f64 v[9:10], v[9:10], v[11:12], v[17:18]
	v_dual_mov_b32 v12, v4 :: v_dual_mov_b32 v11, v3
	v_div_fixup_f64 v[7:8], v[9:10], v[7:8], 1.0
	s_delay_alu instid0(VALU_DEP_1) | instskip(NEXT) | instid1(VALU_DEP_2)
	v_cndmask_b32_e64 v10, v6, v8, s1
	v_cndmask_b32_e64 v9, v5, v7, s1
	s_cmp_gt_i32 s29, 3
	s_mov_b32 s22, -1
	s_cbranch_scc0 .LBB21_30
.LBB21_41:                              ;   in Loop: Header=BB21_8 Depth=1
	s_branch .LBB21_6
.LBB21_42:                              ;   in Loop: Header=BB21_8 Depth=1
                                        ; implicit-def: $sgpr27
	s_branch .LBB21_7
.LBB21_43:
	v_dual_mov_b32 v12, v4 :: v_dual_mov_b32 v11, v3
.LBB21_44:
	s_and_saveexec_b32 s0, s2
	s_cbranch_execz .LBB21_46
; %bb.45:
	s_delay_alu instid0(VALU_DEP_1) | instskip(SKIP_3) | instid1(VALU_DEP_1)
	v_mul_f64 v[1:2], v[9:10], v[11:12]
	s_cmp_eq_u32 s6, 0
	s_cselect_b32 vcc_lo, -1, 0
	s_lshl_b64 s[2:3], s[18:19], 3
	v_dual_cndmask_b32 v2, v12, v2 :: v_dual_cndmask_b32 v1, v11, v1
	v_add_co_u32 v3, vcc_lo, v13, s2
	v_add_co_ci_u32_e32 v4, vcc_lo, s3, v14, vcc_lo
	global_store_b64 v[3:4], v[1:2], off
.LBB21_46:
	s_or_b32 exec_lo, exec_lo, s0
	s_waitcnt_vscnt null, 0x0
	buffer_gl1_inv
	buffer_gl0_inv
	s_barrier
	buffer_gl0_inv
	s_mov_b32 s0, exec_lo
	v_cmpx_eq_u32_e32 0, v0
	s_cbranch_execz .LBB21_48
; %bb.47:
	s_add_i32 s0, s16, s7
	v_dual_mov_b32 v0, 0 :: v_dual_mov_b32 v1, 1
	s_ashr_i32 s1, s0, 31
	s_delay_alu instid0(SALU_CYCLE_1) | instskip(NEXT) | instid1(SALU_CYCLE_1)
	s_lshl_b64 s[0:1], s[0:1], 2
	s_add_u32 s0, s10, s0
	s_addc_u32 s1, s11, s1
	global_store_b32 v0, v1, s[0:1]
.LBB21_48:
	s_nop 0
	s_sendmsg sendmsg(MSG_DEALLOC_VGPRS)
	s_endpgm
	.section	.rodata,"a",@progbits
	.p2align	6, 0x0
	.amdhsa_kernel _ZN9rocsparseL5csrsmILj1024ELj64ELb0EiidEEv20rocsparse_operation_T3_S2_NS_24const_host_device_scalarIT4_EEPKT2_PKS2_PKS4_PS4_lPiSA_PS2_21rocsparse_index_base_20rocsparse_fill_mode_20rocsparse_diag_type_b
		.amdhsa_group_segment_fixed_size 12288
		.amdhsa_private_segment_fixed_size 0
		.amdhsa_kernarg_size 104
		.amdhsa_user_sgpr_count 15
		.amdhsa_user_sgpr_dispatch_ptr 0
		.amdhsa_user_sgpr_queue_ptr 0
		.amdhsa_user_sgpr_kernarg_segment_ptr 1
		.amdhsa_user_sgpr_dispatch_id 0
		.amdhsa_user_sgpr_private_segment_size 0
		.amdhsa_wavefront_size32 1
		.amdhsa_uses_dynamic_stack 0
		.amdhsa_enable_private_segment 0
		.amdhsa_system_sgpr_workgroup_id_x 1
		.amdhsa_system_sgpr_workgroup_id_y 0
		.amdhsa_system_sgpr_workgroup_id_z 0
		.amdhsa_system_sgpr_workgroup_info 0
		.amdhsa_system_vgpr_workitem_id 0
		.amdhsa_next_free_vgpr 21
		.amdhsa_next_free_sgpr 31
		.amdhsa_reserve_vcc 1
		.amdhsa_float_round_mode_32 0
		.amdhsa_float_round_mode_16_64 0
		.amdhsa_float_denorm_mode_32 3
		.amdhsa_float_denorm_mode_16_64 3
		.amdhsa_dx10_clamp 1
		.amdhsa_ieee_mode 1
		.amdhsa_fp16_overflow 0
		.amdhsa_workgroup_processor_mode 1
		.amdhsa_memory_ordered 1
		.amdhsa_forward_progress 0
		.amdhsa_shared_vgpr_count 0
		.amdhsa_exception_fp_ieee_invalid_op 0
		.amdhsa_exception_fp_denorm_src 0
		.amdhsa_exception_fp_ieee_div_zero 0
		.amdhsa_exception_fp_ieee_overflow 0
		.amdhsa_exception_fp_ieee_underflow 0
		.amdhsa_exception_fp_ieee_inexact 0
		.amdhsa_exception_int_div_zero 0
	.end_amdhsa_kernel
	.section	.text._ZN9rocsparseL5csrsmILj1024ELj64ELb0EiidEEv20rocsparse_operation_T3_S2_NS_24const_host_device_scalarIT4_EEPKT2_PKS2_PKS4_PS4_lPiSA_PS2_21rocsparse_index_base_20rocsparse_fill_mode_20rocsparse_diag_type_b,"axG",@progbits,_ZN9rocsparseL5csrsmILj1024ELj64ELb0EiidEEv20rocsparse_operation_T3_S2_NS_24const_host_device_scalarIT4_EEPKT2_PKS2_PKS4_PS4_lPiSA_PS2_21rocsparse_index_base_20rocsparse_fill_mode_20rocsparse_diag_type_b,comdat
.Lfunc_end21:
	.size	_ZN9rocsparseL5csrsmILj1024ELj64ELb0EiidEEv20rocsparse_operation_T3_S2_NS_24const_host_device_scalarIT4_EEPKT2_PKS2_PKS4_PS4_lPiSA_PS2_21rocsparse_index_base_20rocsparse_fill_mode_20rocsparse_diag_type_b, .Lfunc_end21-_ZN9rocsparseL5csrsmILj1024ELj64ELb0EiidEEv20rocsparse_operation_T3_S2_NS_24const_host_device_scalarIT4_EEPKT2_PKS2_PKS4_PS4_lPiSA_PS2_21rocsparse_index_base_20rocsparse_fill_mode_20rocsparse_diag_type_b
                                        ; -- End function
	.section	.AMDGPU.csdata,"",@progbits
; Kernel info:
; codeLenInByte = 1824
; NumSgprs: 33
; NumVgprs: 21
; ScratchSize: 0
; MemoryBound: 0
; FloatMode: 240
; IeeeMode: 1
; LDSByteSize: 12288 bytes/workgroup (compile time only)
; SGPRBlocks: 4
; VGPRBlocks: 2
; NumSGPRsForWavesPerEU: 33
; NumVGPRsForWavesPerEU: 21
; Occupancy: 16
; WaveLimiterHint : 1
; COMPUTE_PGM_RSRC2:SCRATCH_EN: 0
; COMPUTE_PGM_RSRC2:USER_SGPR: 15
; COMPUTE_PGM_RSRC2:TRAP_HANDLER: 0
; COMPUTE_PGM_RSRC2:TGID_X_EN: 1
; COMPUTE_PGM_RSRC2:TGID_Y_EN: 0
; COMPUTE_PGM_RSRC2:TGID_Z_EN: 0
; COMPUTE_PGM_RSRC2:TIDIG_COMP_CNT: 0
	.section	.text._ZN9rocsparseL23csrsm_solve_copy_y_to_BILj1024E21rocsparse_complex_numIfEEEvlPT0_lPKS3_,"axG",@progbits,_ZN9rocsparseL23csrsm_solve_copy_y_to_BILj1024E21rocsparse_complex_numIfEEEvlPT0_lPKS3_,comdat
	.globl	_ZN9rocsparseL23csrsm_solve_copy_y_to_BILj1024E21rocsparse_complex_numIfEEEvlPT0_lPKS3_ ; -- Begin function _ZN9rocsparseL23csrsm_solve_copy_y_to_BILj1024E21rocsparse_complex_numIfEEEvlPT0_lPKS3_
	.p2align	8
	.type	_ZN9rocsparseL23csrsm_solve_copy_y_to_BILj1024E21rocsparse_complex_numIfEEEvlPT0_lPKS3_,@function
_ZN9rocsparseL23csrsm_solve_copy_y_to_BILj1024E21rocsparse_complex_numIfEEEvlPT0_lPKS3_: ; @_ZN9rocsparseL23csrsm_solve_copy_y_to_BILj1024E21rocsparse_complex_numIfEEEvlPT0_lPKS3_
; %bb.0:
	s_load_b256 s[0:7], s[0:1], 0x0
	v_lshl_or_b32 v0, s15, 10, v0
	v_mov_b32_e32 v1, 0
	s_waitcnt lgkmcnt(0)
	s_delay_alu instid0(VALU_DEP_1)
	v_cmp_gt_u64_e32 vcc_lo, s[0:1], v[0:1]
	s_and_saveexec_b32 s0, vcc_lo
	s_cbranch_execz .LBB22_2
; %bb.1:
	v_lshlrev_b64 v[1:2], 3, v[0:1]
	v_mad_u64_u32 v[3:4], null, v0, s4, 0
	s_delay_alu instid0(VALU_DEP_2) | instskip(NEXT) | instid1(VALU_DEP_3)
	v_add_co_u32 v1, vcc_lo, s6, v1
	v_add_co_ci_u32_e32 v2, vcc_lo, s7, v2, vcc_lo
	s_delay_alu instid0(VALU_DEP_3) | instskip(SKIP_2) | instid1(VALU_DEP_1)
	v_mad_u64_u32 v[5:6], null, v0, s5, v[4:5]
	global_load_b64 v[1:2], v[1:2], off
	v_mov_b32_e32 v4, v5
	v_lshlrev_b64 v[3:4], 3, v[3:4]
	s_delay_alu instid0(VALU_DEP_1) | instskip(NEXT) | instid1(VALU_DEP_2)
	v_add_co_u32 v3, vcc_lo, s2, v3
	v_add_co_ci_u32_e32 v4, vcc_lo, s3, v4, vcc_lo
	s_waitcnt vmcnt(0)
	global_store_b64 v[3:4], v[1:2], off
.LBB22_2:
	s_nop 0
	s_sendmsg sendmsg(MSG_DEALLOC_VGPRS)
	s_endpgm
	.section	.rodata,"a",@progbits
	.p2align	6, 0x0
	.amdhsa_kernel _ZN9rocsparseL23csrsm_solve_copy_y_to_BILj1024E21rocsparse_complex_numIfEEEvlPT0_lPKS3_
		.amdhsa_group_segment_fixed_size 0
		.amdhsa_private_segment_fixed_size 0
		.amdhsa_kernarg_size 32
		.amdhsa_user_sgpr_count 15
		.amdhsa_user_sgpr_dispatch_ptr 0
		.amdhsa_user_sgpr_queue_ptr 0
		.amdhsa_user_sgpr_kernarg_segment_ptr 1
		.amdhsa_user_sgpr_dispatch_id 0
		.amdhsa_user_sgpr_private_segment_size 0
		.amdhsa_wavefront_size32 1
		.amdhsa_uses_dynamic_stack 0
		.amdhsa_enable_private_segment 0
		.amdhsa_system_sgpr_workgroup_id_x 1
		.amdhsa_system_sgpr_workgroup_id_y 0
		.amdhsa_system_sgpr_workgroup_id_z 0
		.amdhsa_system_sgpr_workgroup_info 0
		.amdhsa_system_vgpr_workitem_id 0
		.amdhsa_next_free_vgpr 7
		.amdhsa_next_free_sgpr 16
		.amdhsa_reserve_vcc 1
		.amdhsa_float_round_mode_32 0
		.amdhsa_float_round_mode_16_64 0
		.amdhsa_float_denorm_mode_32 3
		.amdhsa_float_denorm_mode_16_64 3
		.amdhsa_dx10_clamp 1
		.amdhsa_ieee_mode 1
		.amdhsa_fp16_overflow 0
		.amdhsa_workgroup_processor_mode 1
		.amdhsa_memory_ordered 1
		.amdhsa_forward_progress 0
		.amdhsa_shared_vgpr_count 0
		.amdhsa_exception_fp_ieee_invalid_op 0
		.amdhsa_exception_fp_denorm_src 0
		.amdhsa_exception_fp_ieee_div_zero 0
		.amdhsa_exception_fp_ieee_overflow 0
		.amdhsa_exception_fp_ieee_underflow 0
		.amdhsa_exception_fp_ieee_inexact 0
		.amdhsa_exception_int_div_zero 0
	.end_amdhsa_kernel
	.section	.text._ZN9rocsparseL23csrsm_solve_copy_y_to_BILj1024E21rocsparse_complex_numIfEEEvlPT0_lPKS3_,"axG",@progbits,_ZN9rocsparseL23csrsm_solve_copy_y_to_BILj1024E21rocsparse_complex_numIfEEEvlPT0_lPKS3_,comdat
.Lfunc_end22:
	.size	_ZN9rocsparseL23csrsm_solve_copy_y_to_BILj1024E21rocsparse_complex_numIfEEEvlPT0_lPKS3_, .Lfunc_end22-_ZN9rocsparseL23csrsm_solve_copy_y_to_BILj1024E21rocsparse_complex_numIfEEEvlPT0_lPKS3_
                                        ; -- End function
	.section	.AMDGPU.csdata,"",@progbits
; Kernel info:
; codeLenInByte = 144
; NumSgprs: 18
; NumVgprs: 7
; ScratchSize: 0
; MemoryBound: 0
; FloatMode: 240
; IeeeMode: 1
; LDSByteSize: 0 bytes/workgroup (compile time only)
; SGPRBlocks: 2
; VGPRBlocks: 0
; NumSGPRsForWavesPerEU: 18
; NumVGPRsForWavesPerEU: 7
; Occupancy: 16
; WaveLimiterHint : 0
; COMPUTE_PGM_RSRC2:SCRATCH_EN: 0
; COMPUTE_PGM_RSRC2:USER_SGPR: 15
; COMPUTE_PGM_RSRC2:TRAP_HANDLER: 0
; COMPUTE_PGM_RSRC2:TGID_X_EN: 1
; COMPUTE_PGM_RSRC2:TGID_Y_EN: 0
; COMPUTE_PGM_RSRC2:TGID_Z_EN: 0
; COMPUTE_PGM_RSRC2:TIDIG_COMP_CNT: 0
	.section	.text._ZN9rocsparseL5csrsmILj64ELj64ELb1Eii21rocsparse_complex_numIfEEEv20rocsparse_operation_T3_S4_NS_24const_host_device_scalarIT4_EEPKT2_PKS4_PKS6_PS6_lPiSC_PS4_21rocsparse_index_base_20rocsparse_fill_mode_20rocsparse_diag_type_b,"axG",@progbits,_ZN9rocsparseL5csrsmILj64ELj64ELb1Eii21rocsparse_complex_numIfEEEv20rocsparse_operation_T3_S4_NS_24const_host_device_scalarIT4_EEPKT2_PKS4_PKS6_PS6_lPiSC_PS4_21rocsparse_index_base_20rocsparse_fill_mode_20rocsparse_diag_type_b,comdat
	.globl	_ZN9rocsparseL5csrsmILj64ELj64ELb1Eii21rocsparse_complex_numIfEEEv20rocsparse_operation_T3_S4_NS_24const_host_device_scalarIT4_EEPKT2_PKS4_PKS6_PS6_lPiSC_PS4_21rocsparse_index_base_20rocsparse_fill_mode_20rocsparse_diag_type_b ; -- Begin function _ZN9rocsparseL5csrsmILj64ELj64ELb1Eii21rocsparse_complex_numIfEEEv20rocsparse_operation_T3_S4_NS_24const_host_device_scalarIT4_EEPKT2_PKS4_PKS6_PS6_lPiSC_PS4_21rocsparse_index_base_20rocsparse_fill_mode_20rocsparse_diag_type_b
	.p2align	8
	.type	_ZN9rocsparseL5csrsmILj64ELj64ELb1Eii21rocsparse_complex_numIfEEEv20rocsparse_operation_T3_S4_NS_24const_host_device_scalarIT4_EEPKT2_PKS4_PKS6_PS6_lPiSC_PS4_21rocsparse_index_base_20rocsparse_fill_mode_20rocsparse_diag_type_b,@function
_ZN9rocsparseL5csrsmILj64ELj64ELb1Eii21rocsparse_complex_numIfEEEv20rocsparse_operation_T3_S4_NS_24const_host_device_scalarIT4_EEPKT2_PKS4_PKS6_PS6_lPiSC_PS4_21rocsparse_index_base_20rocsparse_fill_mode_20rocsparse_diag_type_b: ; @_ZN9rocsparseL5csrsmILj64ELj64ELb1Eii21rocsparse_complex_numIfEEEv20rocsparse_operation_T3_S4_NS_24const_host_device_scalarIT4_EEPKT2_PKS4_PKS6_PS6_lPiSC_PS4_21rocsparse_index_base_20rocsparse_fill_mode_20rocsparse_diag_type_b
; %bb.0:
	s_clause 0x2
	s_load_b128 s[4:7], s[0:1], 0x58
	s_load_b128 s[8:11], s[0:1], 0x10
	s_load_b64 s[2:3], s[0:1], 0x48
	s_waitcnt lgkmcnt(0)
	s_bitcmp1_b32 s7, 0
	s_mov_b32 s26, s8
	s_cselect_b32 s12, -1, 0
	s_delay_alu instid0(SALU_CYCLE_1)
	s_xor_b32 s7, s12, -1
	s_and_b32 vcc_lo, exec_lo, s12
	s_cbranch_vccnz .LBB23_2
; %bb.1:
	s_load_b32 s26, s[8:9], 0x0
.LBB23_2:
	s_load_b64 s[22:23], s[0:1], 0x30
	s_and_not1_b32 vcc_lo, exec_lo, s7
	s_cbranch_vccnz .LBB23_4
; %bb.3:
	s_load_b32 s9, s[8:9], 0x4
.LBB23_4:
	s_clause 0x1
	s_load_b128 s[16:19], s[0:1], 0x0
	s_load_b64 s[20:21], s[0:1], 0x38
	s_waitcnt lgkmcnt(0)
	v_cvt_f32_u32_e32 v1, s17
	s_sub_i32 s8, 0, s17
	s_delay_alu instid0(VALU_DEP_1) | instskip(SKIP_2) | instid1(VALU_DEP_1)
	v_rcp_iflag_f32_e32 v1, v1
	s_waitcnt_depctr 0xfff
	v_mul_f32_e32 v1, 0x4f7ffffe, v1
	v_cvt_u32_f32_e32 v1, v1
	s_delay_alu instid0(VALU_DEP_1) | instskip(NEXT) | instid1(VALU_DEP_1)
	v_readfirstlane_b32 s7, v1
	s_mul_i32 s8, s8, s7
	s_delay_alu instid0(SALU_CYCLE_1) | instskip(NEXT) | instid1(SALU_CYCLE_1)
	s_mul_hi_u32 s8, s7, s8
	s_add_i32 s7, s7, s8
	s_delay_alu instid0(SALU_CYCLE_1) | instskip(NEXT) | instid1(SALU_CYCLE_1)
	s_mul_hi_u32 s7, s15, s7
	s_mul_i32 s8, s7, s17
	s_add_i32 s12, s7, 1
	s_sub_i32 s8, s15, s8
	s_delay_alu instid0(SALU_CYCLE_1)
	s_sub_i32 s13, s8, s17
	s_cmp_ge_u32 s8, s17
	s_cselect_b32 s7, s12, s7
	s_cselect_b32 s8, s13, s8
	s_add_i32 s12, s7, 1
	s_cmp_ge_u32 s8, s17
	s_cselect_b32 s8, s12, s7
	s_delay_alu instid0(SALU_CYCLE_1) | instskip(SKIP_2) | instid1(SALU_CYCLE_1)
	s_mul_i32 s7, s8, s17
	v_lshl_or_b32 v1, s8, 6, v0
	s_sub_i32 s12, s15, s7
	s_ashr_i32 s13, s12, 31
	s_delay_alu instid0(VALU_DEP_1) | instskip(SKIP_1) | instid1(SALU_CYCLE_1)
	v_ashrrev_i32_e32 v2, 31, v1
	s_lshl_b64 s[12:13], s[12:13], 2
	s_add_u32 s2, s2, s12
	s_addc_u32 s3, s3, s13
	s_load_b32 s12, s[2:3], 0x0
	s_waitcnt lgkmcnt(0)
	s_ashr_i32 s13, s12, 31
	s_mul_i32 s14, s12, s20
	s_lshl_b64 s[2:3], s[12:13], 2
	v_add_co_u32 v3, vcc_lo, s14, v1
	s_add_u32 s2, s10, s2
	s_addc_u32 s3, s11, s3
	s_load_b64 s[24:25], s[2:3], 0x0
	s_mul_i32 s2, s12, s21
	s_mul_hi_u32 s3, s12, s20
	s_delay_alu instid0(SALU_CYCLE_1) | instskip(SKIP_1) | instid1(SALU_CYCLE_1)
	s_add_i32 s2, s3, s2
	s_mul_i32 s3, s13, s20
	s_add_i32 s15, s2, s3
	v_cmp_gt_i32_e64 s2, s18, v1
	v_add_co_ci_u32_e32 v4, vcc_lo, s15, v2, vcc_lo
	s_cmpk_lg_i32 s16, 0x71
	s_cbranch_scc0 .LBB23_8
; %bb.5:
	v_dual_mov_b32 v7, 0 :: v_dual_mov_b32 v8, 0
	s_mov_b32 s3, 0
	s_and_saveexec_b32 s8, s2
	s_cbranch_execz .LBB23_7
; %bb.6:
	v_lshlrev_b64 v[5:6], 3, v[3:4]
	s_delay_alu instid0(VALU_DEP_1) | instskip(NEXT) | instid1(VALU_DEP_2)
	v_add_co_u32 v5, vcc_lo, s22, v5
	v_add_co_ci_u32_e32 v6, vcc_lo, s23, v6, vcc_lo
	global_load_b64 v[5:6], v[5:6], off
	s_waitcnt vmcnt(0)
	v_mul_f32_e64 v8, v6, -s9
	s_delay_alu instid0(VALU_DEP_1) | instskip(NEXT) | instid1(VALU_DEP_1)
	v_dual_mul_f32 v7, s26, v6 :: v_dual_fmac_f32 v8, s26, v5
	v_fmac_f32_e32 v7, s9, v5
.LBB23_7:
	s_or_b32 exec_lo, exec_lo, s8
	s_load_b64 s[16:17], s[0:1], 0x40
	s_and_not1_b32 vcc_lo, exec_lo, s3
	s_cbranch_vccz .LBB23_9
	s_branch .LBB23_12
.LBB23_8:
                                        ; implicit-def: $vgpr7
                                        ; implicit-def: $vgpr8
	s_load_b64 s[16:17], s[0:1], 0x40
.LBB23_9:
	v_dual_mov_b32 v7, 0 :: v_dual_mov_b32 v8, 0
	s_and_saveexec_b32 s3, s2
	s_cbranch_execz .LBB23_11
; %bb.10:
	v_lshlrev_b64 v[3:4], 3, v[3:4]
	s_delay_alu instid0(VALU_DEP_1) | instskip(NEXT) | instid1(VALU_DEP_2)
	v_add_co_u32 v3, vcc_lo, s22, v3
	v_add_co_ci_u32_e32 v4, vcc_lo, s23, v4, vcc_lo
	global_load_b64 v[3:4], v[3:4], off
	s_waitcnt vmcnt(0)
	v_mul_f32_e64 v7, s26, -v4
	s_delay_alu instid0(VALU_DEP_1) | instskip(NEXT) | instid1(VALU_DEP_1)
	v_dual_mul_f32 v8, s9, v4 :: v_dual_fmac_f32 v7, s9, v3
	v_fmac_f32_e32 v8, s26, v3
.LBB23_11:
	s_or_b32 exec_lo, exec_lo, s3
.LBB23_12:
	v_lshlrev_b64 v[1:2], 3, v[1:2]
	v_cmp_eq_u32_e64 s3, 0, v0
	s_waitcnt lgkmcnt(0)
	s_cmp_ge_i32 s24, s25
	s_delay_alu instid0(VALU_DEP_2) | instskip(NEXT) | instid1(VALU_DEP_3)
	v_add_co_u32 v5, vcc_lo, s22, v1
	v_add_co_ci_u32_e32 v6, vcc_lo, s23, v2, vcc_lo
	s_cbranch_scc1 .LBB23_57
; %bb.13:
	s_clause 0x1
	s_load_b64 s[18:19], s[0:1], 0x50
	s_load_b128 s[8:11], s[0:1], 0x20
	s_sub_i32 s13, s24, s4
	s_sub_i32 s22, s25, s4
	v_lshl_or_b32 v9, v0, 2, 0x200
	v_dual_mov_b32 v11, 1.0 :: v_dual_lshlrev_b32 v10, 3, v0
	v_mov_b32_e32 v2, 0
	v_mov_b32_e32 v12, 0
	s_cmp_eq_u32 s6, 0
	s_mov_b32 s25, s13
	s_cselect_b32 s23, -1, 0
	s_add_i32 s24, s12, s4
	s_branch .LBB23_16
.LBB23_14:                              ;   in Loop: Header=BB23_16 Depth=1
	s_add_i32 s25, s25, 1
	s_delay_alu instid0(SALU_CYCLE_1)
	s_cmp_ge_i32 s25, s22
	s_cselect_b32 s0, -1, 0
.LBB23_15:                              ;   in Loop: Header=BB23_16 Depth=1
	v_dual_mov_b32 v7, v14 :: v_dual_mov_b32 v8, v15
	v_dual_mov_b32 v12, v4 :: v_dual_mov_b32 v11, v13
	s_and_not1_b32 vcc_lo, exec_lo, s0
	s_cbranch_vccz .LBB23_58
.LBB23_16:                              ; =>This Loop Header: Depth=1
                                        ;     Child Loop BB23_55 Depth 2
                                        ;       Child Loop BB23_56 Depth 3
	s_sub_i32 s0, s25, s13
	s_delay_alu instid0(SALU_CYCLE_1) | instskip(NEXT) | instid1(SALU_CYCLE_1)
	s_and_b32 s0, s0, 63
	s_cmp_lg_u32 s0, 0
	s_cbranch_scc1 .LBB23_20
; %bb.17:                               ;   in Loop: Header=BB23_16 Depth=1
	s_sub_i32 s1, s22, s25
	v_dual_mov_b32 v1, -1 :: v_dual_mov_b32 v4, 0
	v_cmp_gt_u32_e32 vcc_lo, s1, v0
	v_mov_b32_e32 v3, -1.0
	s_and_saveexec_b32 s1, vcc_lo
	s_cbranch_execz .LBB23_19
; %bb.18:                               ;   in Loop: Header=BB23_16 Depth=1
	v_add_nc_u32_e32 v1, s25, v0
	s_delay_alu instid0(VALU_DEP_1) | instskip(SKIP_2) | instid1(VALU_DEP_2)
	v_lshlrev_b64 v[3:4], 2, v[1:2]
	v_lshlrev_b64 v[13:14], 3, v[1:2]
	s_waitcnt lgkmcnt(0)
	v_add_co_u32 v3, vcc_lo, s8, v3
	s_delay_alu instid0(VALU_DEP_3)
	v_add_co_ci_u32_e32 v4, vcc_lo, s9, v4, vcc_lo
	global_load_b32 v1, v[3:4], off
	v_add_co_u32 v3, vcc_lo, s10, v13
	v_add_co_ci_u32_e32 v4, vcc_lo, s11, v14, vcc_lo
	global_load_b64 v[3:4], v[3:4], off
	s_waitcnt vmcnt(1)
	v_subrev_nc_u32_e32 v1, s4, v1
.LBB23_19:                              ;   in Loop: Header=BB23_16 Depth=1
	s_or_b32 exec_lo, exec_lo, s1
	ds_store_b32 v9, v1
	s_waitcnt vmcnt(0)
	ds_store_b64 v10, v[3:4]
.LBB23_20:                              ;   in Loop: Header=BB23_16 Depth=1
	s_lshl_b32 s1, s0, 3
	s_lshl_b32 s0, s0, 2
	v_mov_b32_e32 v1, s1
	v_mov_b32_e32 v13, s0
	s_waitcnt lgkmcnt(0)
	s_waitcnt_vscnt null, 0x0
	s_barrier
	buffer_gl0_inv
	ds_load_b64 v[3:4], v1
	ds_load_b32 v1, v13 offset:512
	s_waitcnt lgkmcnt(1)
	v_cmp_eq_f32_e32 vcc_lo, 0, v3
	v_cmp_eq_f32_e64 s0, 0, v4
	s_waitcnt lgkmcnt(0)
	v_readfirstlane_b32 s26, v1
	v_cmp_ne_u32_e64 s1, s12, v1
	s_delay_alu instid0(VALU_DEP_3) | instskip(NEXT) | instid1(VALU_DEP_2)
	s_and_b32 s0, vcc_lo, s0
	s_cmp_eq_u32 s26, s12
	s_cselect_b32 s28, -1, 0
	s_delay_alu instid0(SALU_CYCLE_1) | instskip(NEXT) | instid1(SALU_CYCLE_1)
	s_and_b32 s0, s0, s28
	s_and_b32 s0, s23, s0
	s_delay_alu instid0(SALU_CYCLE_1) | instskip(SKIP_2) | instid1(SALU_CYCLE_1)
	v_cndmask_b32_e64 v1, v4, 0, s0
	v_cndmask_b32_e64 v3, v3, 1.0, s0
	s_and_b32 s27, s3, s0
	s_and_saveexec_b32 s0, s27
	s_cbranch_execz .LBB23_24
; %bb.21:                               ;   in Loop: Header=BB23_16 Depth=1
	v_mbcnt_lo_u32_b32 v1, exec_lo, 0
	s_mov_b32 s27, exec_lo
	s_delay_alu instid0(VALU_DEP_1)
	v_cmpx_eq_u32_e32 0, v1
	s_cbranch_execz .LBB23_23
; %bb.22:                               ;   in Loop: Header=BB23_16 Depth=1
	v_mov_b32_e32 v1, s24
	global_atomic_min_i32 v2, v1, s[18:19]
.LBB23_23:                              ;   in Loop: Header=BB23_16 Depth=1
	s_or_b32 exec_lo, exec_lo, s27
	v_mov_b32_e32 v1, 0
	v_mov_b32_e32 v3, 1.0
.LBB23_24:                              ;   in Loop: Header=BB23_16 Depth=1
	s_or_b32 exec_lo, exec_lo, s0
	s_cmp_lt_i32 s5, 1
	s_mov_b32 s0, 0
	s_cbranch_scc1 .LBB23_30
; %bb.25:                               ;   in Loop: Header=BB23_16 Depth=1
	s_cmp_eq_u32 s5, 1
	s_cbranch_scc0 .LBB23_31
; %bb.26:                               ;   in Loop: Header=BB23_16 Depth=1
	v_dual_mov_b32 v4, v12 :: v_dual_mov_b32 v13, v11
	s_cmp_ge_i32 s26, s12
	s_mov_b32 s27, 0
	s_cbranch_scc0 .LBB23_33
; %bb.27:                               ;   in Loop: Header=BB23_16 Depth=1
	s_and_b32 vcc_lo, exec_lo, s28
	s_cbranch_vccz .LBB23_32
; %bb.28:                               ;   in Loop: Header=BB23_16 Depth=1
	v_dual_mov_b32 v4, v12 :: v_dual_mov_b32 v13, v11
	s_and_not1_b32 vcc_lo, exec_lo, s23
	s_cbranch_vccnz .LBB23_33
; %bb.29:                               ;   in Loop: Header=BB23_16 Depth=1
	v_mul_f32_e32 v4, v1, v1
	s_delay_alu instid0(VALU_DEP_1) | instskip(NEXT) | instid1(VALU_DEP_1)
	v_fmac_f32_e32 v4, v3, v3
	v_div_scale_f32 v13, null, v4, v4, 1.0
	v_div_scale_f32 v16, vcc_lo, 1.0, v4, 1.0
	s_delay_alu instid0(VALU_DEP_2) | instskip(SKIP_2) | instid1(VALU_DEP_1)
	v_rcp_f32_e32 v14, v13
	s_waitcnt_depctr 0xfff
	v_fma_f32 v15, -v13, v14, 1.0
	v_fmac_f32_e32 v14, v15, v14
	s_delay_alu instid0(VALU_DEP_1) | instskip(NEXT) | instid1(VALU_DEP_1)
	v_mul_f32_e32 v15, v16, v14
	v_fma_f32 v17, -v13, v15, v16
	s_delay_alu instid0(VALU_DEP_1) | instskip(NEXT) | instid1(VALU_DEP_1)
	v_fmac_f32_e32 v15, v17, v14
	v_fma_f32 v13, -v13, v15, v16
	s_delay_alu instid0(VALU_DEP_1) | instskip(SKIP_2) | instid1(VALU_DEP_3)
	v_div_fmas_f32 v13, v13, v14, v15
	v_fma_f32 v14, 0, v1, v3
	v_fma_f32 v15, v3, 0, -v1
	v_div_fixup_f32 v4, v13, v4, 1.0
	s_delay_alu instid0(VALU_DEP_1) | instskip(NEXT) | instid1(VALU_DEP_3)
	v_mul_f32_e32 v13, v14, v4
	v_mul_f32_e32 v4, v15, v4
	s_branch .LBB23_33
.LBB23_30:                              ;   in Loop: Header=BB23_16 Depth=1
	s_mov_b32 s27, 0
                                        ; implicit-def: $sgpr28
                                        ; implicit-def: $vgpr14
                                        ; implicit-def: $vgpr15
                                        ; implicit-def: $vgpr4
                                        ; implicit-def: $vgpr13
	s_cbranch_execnz .LBB23_34
	s_branch .LBB23_36
.LBB23_31:                              ;   in Loop: Header=BB23_16 Depth=1
	s_mov_b32 s27, -1
                                        ; implicit-def: $sgpr28
                                        ; implicit-def: $vgpr14
                                        ; implicit-def: $vgpr15
                                        ; implicit-def: $vgpr4
                                        ; implicit-def: $vgpr13
	s_branch .LBB23_36
.LBB23_32:                              ;   in Loop: Header=BB23_16 Depth=1
	s_mov_b32 s27, -1
                                        ; implicit-def: $vgpr4
                                        ; implicit-def: $vgpr13
.LBB23_33:                              ;   in Loop: Header=BB23_16 Depth=1
	v_dual_mov_b32 v14, v7 :: v_dual_mov_b32 v15, v8
	s_mov_b32 s28, 4
	s_branch .LBB23_36
.LBB23_34:                              ;   in Loop: Header=BB23_16 Depth=1
	s_cmp_eq_u32 s5, 0
	s_cbranch_scc1 .LBB23_40
; %bb.35:                               ;   in Loop: Header=BB23_16 Depth=1
	s_mov_b32 s27, -1
                                        ; implicit-def: $sgpr28
                                        ; implicit-def: $vgpr14
                                        ; implicit-def: $vgpr15
                                        ; implicit-def: $vgpr4
                                        ; implicit-def: $vgpr13
.LBB23_36:                              ;   in Loop: Header=BB23_16 Depth=1
	s_delay_alu instid0(SALU_CYCLE_1)
	s_and_b32 vcc_lo, exec_lo, s27
	s_cbranch_vccnz .LBB23_43
.LBB23_37:                              ;   in Loop: Header=BB23_16 Depth=1
	s_and_b32 vcc_lo, exec_lo, s0
	s_cbranch_vccnz .LBB23_48
.LBB23_38:                              ;   in Loop: Header=BB23_16 Depth=1
	s_cmp_gt_i32 s28, 3
	s_mov_b32 s0, -1
	s_cbranch_scc1 .LBB23_51
.LBB23_39:                              ;   in Loop: Header=BB23_16 Depth=1
	s_cmp_eq_u32 s28, 0
	s_cselect_b32 s1, -1, 0
	s_delay_alu instid0(SALU_CYCLE_1)
	s_and_not1_b32 vcc_lo, exec_lo, s1
	s_cbranch_vccz .LBB23_14
	s_branch .LBB23_52
.LBB23_40:                              ;   in Loop: Header=BB23_16 Depth=1
	s_cmp_le_i32 s26, s12
	s_mov_b32 s27, 0
	s_cbranch_scc0 .LBB23_42
; %bb.41:                               ;   in Loop: Header=BB23_16 Depth=1
	s_mov_b32 s0, -1
	s_mov_b32 s27, s1
.LBB23_42:                              ;   in Loop: Header=BB23_16 Depth=1
	v_dual_mov_b32 v14, v7 :: v_dual_mov_b32 v15, v8
	v_dual_mov_b32 v4, v12 :: v_dual_mov_b32 v13, v11
	s_mov_b32 s28, 2
	s_and_b32 vcc_lo, exec_lo, s27
	s_cbranch_vccz .LBB23_37
.LBB23_43:                              ;   in Loop: Header=BB23_16 Depth=1
	s_and_saveexec_b32 s27, s3
	s_cbranch_execz .LBB23_45
; %bb.44:                               ;   in Loop: Header=BB23_16 Depth=1
	s_add_i32 s0, s26, s7
	s_delay_alu instid0(SALU_CYCLE_1) | instskip(NEXT) | instid1(SALU_CYCLE_1)
	s_ashr_i32 s1, s0, 31
	s_lshl_b64 s[0:1], s[0:1], 2
	s_delay_alu instid0(SALU_CYCLE_1)
	s_add_u32 s0, s16, s0
	s_addc_u32 s1, s17, s1
	global_load_b32 v4, v2, s[0:1] glc
	s_waitcnt vmcnt(0)
	v_cmp_ne_u32_e32 vcc_lo, 0, v4
	s_cbranch_vccz .LBB23_53
.LBB23_45:                              ;   in Loop: Header=BB23_16 Depth=1
	s_or_b32 exec_lo, exec_lo, s27
	v_dual_mov_b32 v14, 0 :: v_dual_mov_b32 v15, 0
	s_mov_b32 s0, 0
	s_waitcnt_vscnt null, 0x0
	s_barrier
	buffer_gl0_inv
	buffer_gl1_inv
	buffer_gl0_inv
	s_and_saveexec_b32 s1, s2
	s_cbranch_execz .LBB23_47
; %bb.46:                               ;   in Loop: Header=BB23_16 Depth=1
	s_mul_i32 s27, s26, s21
	s_mul_hi_u32 s28, s26, s20
	s_ashr_i32 s29, s26, 31
	s_add_i32 s27, s28, s27
	s_mul_i32 s29, s29, s20
	s_mul_i32 s26, s26, s20
	s_add_i32 s27, s27, s29
	s_delay_alu instid0(SALU_CYCLE_1) | instskip(NEXT) | instid1(SALU_CYCLE_1)
	s_lshl_b64 s[26:27], s[26:27], 3
	v_add_co_u32 v13, vcc_lo, v5, s26
	v_add_co_ci_u32_e32 v14, vcc_lo, s27, v6, vcc_lo
	global_load_b64 v[13:14], v[13:14], off
	s_waitcnt vmcnt(0)
	v_fma_f32 v15, -v3, v13, v8
	v_fma_f32 v4, -v1, v13, v7
	s_delay_alu instid0(VALU_DEP_2) | instskip(NEXT) | instid1(VALU_DEP_2)
	v_fmac_f32_e32 v15, v1, v14
	v_fma_f32 v14, -v3, v14, v4
.LBB23_47:                              ;   in Loop: Header=BB23_16 Depth=1
	s_or_b32 exec_lo, exec_lo, s1
	v_dual_mov_b32 v4, v12 :: v_dual_mov_b32 v13, v11
	s_mov_b32 s28, 0
	s_and_b32 vcc_lo, exec_lo, s0
	s_cbranch_vccz .LBB23_38
.LBB23_48:                              ;   in Loop: Header=BB23_16 Depth=1
	s_and_not1_b32 vcc_lo, exec_lo, s23
	s_cbranch_vccnz .LBB23_50
; %bb.49:                               ;   in Loop: Header=BB23_16 Depth=1
	v_mul_f32_e32 v4, v1, v1
	s_delay_alu instid0(VALU_DEP_1) | instskip(NEXT) | instid1(VALU_DEP_1)
	v_fmac_f32_e32 v4, v3, v3
	v_div_scale_f32 v11, null, v4, v4, 1.0
	v_div_scale_f32 v14, vcc_lo, 1.0, v4, 1.0
	s_delay_alu instid0(VALU_DEP_2) | instskip(SKIP_2) | instid1(VALU_DEP_1)
	v_rcp_f32_e32 v12, v11
	s_waitcnt_depctr 0xfff
	v_fma_f32 v13, -v11, v12, 1.0
	v_fmac_f32_e32 v12, v13, v12
	s_delay_alu instid0(VALU_DEP_1) | instskip(NEXT) | instid1(VALU_DEP_1)
	v_mul_f32_e32 v13, v14, v12
	v_fma_f32 v15, -v11, v13, v14
	s_delay_alu instid0(VALU_DEP_1) | instskip(NEXT) | instid1(VALU_DEP_1)
	v_fmac_f32_e32 v13, v15, v12
	v_fma_f32 v11, -v11, v13, v14
	s_delay_alu instid0(VALU_DEP_1) | instskip(SKIP_2) | instid1(VALU_DEP_3)
	v_div_fmas_f32 v11, v11, v12, v13
	v_fma_f32 v12, 0, v1, v3
	v_fma_f32 v1, v3, 0, -v1
	v_div_fixup_f32 v4, v11, v4, 1.0
	s_delay_alu instid0(VALU_DEP_1) | instskip(NEXT) | instid1(VALU_DEP_3)
	v_mul_f32_e32 v11, v12, v4
	v_mul_f32_e32 v12, v1, v4
.LBB23_50:                              ;   in Loop: Header=BB23_16 Depth=1
	s_delay_alu instid0(VALU_DEP_1) | instskip(SKIP_2) | instid1(SALU_CYCLE_1)
	v_dual_mov_b32 v13, v11 :: v_dual_mov_b32 v4, v12
	v_dual_mov_b32 v15, v8 :: v_dual_mov_b32 v14, v7
	s_mov_b32 s28, 2
	s_cmp_gt_i32 s28, 3
	s_mov_b32 s0, -1
	s_cbranch_scc0 .LBB23_39
.LBB23_51:                              ;   in Loop: Header=BB23_16 Depth=1
	s_branch .LBB23_14
.LBB23_52:                              ;   in Loop: Header=BB23_16 Depth=1
                                        ; implicit-def: $sgpr25
	s_branch .LBB23_15
.LBB23_53:                              ;   in Loop: Header=BB23_16 Depth=1
	s_mov_b32 s28, 0
	s_branch .LBB23_55
	.p2align	6
.LBB23_54:                              ;   in Loop: Header=BB23_55 Depth=2
	global_load_b32 v4, v2, s[0:1] glc
	s_cmpk_lt_u32 s28, 0xf43
	s_cselect_b32 s29, -1, 0
	s_delay_alu instid0(SALU_CYCLE_1)
	s_cmp_lg_u32 s29, 0
	s_addc_u32 s28, s28, 0
	s_waitcnt vmcnt(0)
	v_cmp_ne_u32_e32 vcc_lo, 0, v4
	s_cbranch_vccnz .LBB23_45
.LBB23_55:                              ;   Parent Loop BB23_16 Depth=1
                                        ; =>  This Loop Header: Depth=2
                                        ;       Child Loop BB23_56 Depth 3
	s_cmp_eq_u32 s28, 0
	s_mov_b32 s29, s28
	s_cbranch_scc1 .LBB23_54
.LBB23_56:                              ;   Parent Loop BB23_16 Depth=1
                                        ;     Parent Loop BB23_55 Depth=2
                                        ; =>    This Inner Loop Header: Depth=3
	s_add_i32 s29, s29, -1
	s_sleep 1
	s_cmp_eq_u32 s29, 0
	s_cbranch_scc0 .LBB23_56
	s_branch .LBB23_54
.LBB23_57:
	v_dual_mov_b32 v4, 0 :: v_dual_mov_b32 v13, 1.0
	s_and_saveexec_b32 s0, s2
	s_cbranch_execnz .LBB23_59
	s_branch .LBB23_60
.LBB23_58:
	v_dual_mov_b32 v7, v14 :: v_dual_mov_b32 v8, v15
	s_and_saveexec_b32 s0, s2
	s_cbranch_execz .LBB23_60
.LBB23_59:
	s_delay_alu instid0(VALU_DEP_1) | instskip(NEXT) | instid1(VALU_DEP_2)
	v_mul_f32_e32 v3, v4, v8
	v_mul_f32_e64 v9, v4, -v7
	s_lshl_b64 s[2:3], s[14:15], 3
	s_cmp_eq_u32 s6, 0
	v_add_co_u32 v1, vcc_lo, v5, s2
	v_add_co_ci_u32_e32 v2, vcc_lo, s3, v6, vcc_lo
	v_fmac_f32_e32 v3, v7, v13
	s_cselect_b32 vcc_lo, -1, 0
	s_delay_alu instid0(VALU_DEP_1) | instskip(NEXT) | instid1(VALU_DEP_1)
	v_dual_fmac_f32 v9, v8, v13 :: v_dual_cndmask_b32 v4, v7, v3
	v_cndmask_b32_e32 v3, v8, v9, vcc_lo
	global_store_b64 v[1:2], v[3:4], off
.LBB23_60:
	s_or_b32 exec_lo, exec_lo, s0
	s_waitcnt_vscnt null, 0x0
	buffer_gl1_inv
	buffer_gl0_inv
	s_barrier
	buffer_gl0_inv
	s_mov_b32 s0, exec_lo
	v_cmpx_eq_u32_e32 0, v0
	s_cbranch_execz .LBB23_62
; %bb.61:
	s_add_i32 s0, s12, s7
	v_dual_mov_b32 v0, 0 :: v_dual_mov_b32 v1, 1
	s_ashr_i32 s1, s0, 31
	s_delay_alu instid0(SALU_CYCLE_1) | instskip(NEXT) | instid1(SALU_CYCLE_1)
	s_lshl_b64 s[0:1], s[0:1], 2
	s_add_u32 s0, s16, s0
	s_addc_u32 s1, s17, s1
	global_store_b32 v0, v1, s[0:1]
.LBB23_62:
	s_nop 0
	s_sendmsg sendmsg(MSG_DEALLOC_VGPRS)
	s_endpgm
	.section	.rodata,"a",@progbits
	.p2align	6, 0x0
	.amdhsa_kernel _ZN9rocsparseL5csrsmILj64ELj64ELb1Eii21rocsparse_complex_numIfEEEv20rocsparse_operation_T3_S4_NS_24const_host_device_scalarIT4_EEPKT2_PKS4_PKS6_PS6_lPiSC_PS4_21rocsparse_index_base_20rocsparse_fill_mode_20rocsparse_diag_type_b
		.amdhsa_group_segment_fixed_size 768
		.amdhsa_private_segment_fixed_size 0
		.amdhsa_kernarg_size 104
		.amdhsa_user_sgpr_count 15
		.amdhsa_user_sgpr_dispatch_ptr 0
		.amdhsa_user_sgpr_queue_ptr 0
		.amdhsa_user_sgpr_kernarg_segment_ptr 1
		.amdhsa_user_sgpr_dispatch_id 0
		.amdhsa_user_sgpr_private_segment_size 0
		.amdhsa_wavefront_size32 1
		.amdhsa_uses_dynamic_stack 0
		.amdhsa_enable_private_segment 0
		.amdhsa_system_sgpr_workgroup_id_x 1
		.amdhsa_system_sgpr_workgroup_id_y 0
		.amdhsa_system_sgpr_workgroup_id_z 0
		.amdhsa_system_sgpr_workgroup_info 0
		.amdhsa_system_vgpr_workitem_id 0
		.amdhsa_next_free_vgpr 18
		.amdhsa_next_free_sgpr 30
		.amdhsa_reserve_vcc 1
		.amdhsa_float_round_mode_32 0
		.amdhsa_float_round_mode_16_64 0
		.amdhsa_float_denorm_mode_32 3
		.amdhsa_float_denorm_mode_16_64 3
		.amdhsa_dx10_clamp 1
		.amdhsa_ieee_mode 1
		.amdhsa_fp16_overflow 0
		.amdhsa_workgroup_processor_mode 1
		.amdhsa_memory_ordered 1
		.amdhsa_forward_progress 0
		.amdhsa_shared_vgpr_count 0
		.amdhsa_exception_fp_ieee_invalid_op 0
		.amdhsa_exception_fp_denorm_src 0
		.amdhsa_exception_fp_ieee_div_zero 0
		.amdhsa_exception_fp_ieee_overflow 0
		.amdhsa_exception_fp_ieee_underflow 0
		.amdhsa_exception_fp_ieee_inexact 0
		.amdhsa_exception_int_div_zero 0
	.end_amdhsa_kernel
	.section	.text._ZN9rocsparseL5csrsmILj64ELj64ELb1Eii21rocsparse_complex_numIfEEEv20rocsparse_operation_T3_S4_NS_24const_host_device_scalarIT4_EEPKT2_PKS4_PKS6_PS6_lPiSC_PS4_21rocsparse_index_base_20rocsparse_fill_mode_20rocsparse_diag_type_b,"axG",@progbits,_ZN9rocsparseL5csrsmILj64ELj64ELb1Eii21rocsparse_complex_numIfEEEv20rocsparse_operation_T3_S4_NS_24const_host_device_scalarIT4_EEPKT2_PKS4_PKS6_PS6_lPiSC_PS4_21rocsparse_index_base_20rocsparse_fill_mode_20rocsparse_diag_type_b,comdat
.Lfunc_end23:
	.size	_ZN9rocsparseL5csrsmILj64ELj64ELb1Eii21rocsparse_complex_numIfEEEv20rocsparse_operation_T3_S4_NS_24const_host_device_scalarIT4_EEPKT2_PKS4_PKS6_PS6_lPiSC_PS4_21rocsparse_index_base_20rocsparse_fill_mode_20rocsparse_diag_type_b, .Lfunc_end23-_ZN9rocsparseL5csrsmILj64ELj64ELb1Eii21rocsparse_complex_numIfEEEv20rocsparse_operation_T3_S4_NS_24const_host_device_scalarIT4_EEPKT2_PKS4_PKS6_PS6_lPiSC_PS4_21rocsparse_index_base_20rocsparse_fill_mode_20rocsparse_diag_type_b
                                        ; -- End function
	.section	.AMDGPU.csdata,"",@progbits
; Kernel info:
; codeLenInByte = 2112
; NumSgprs: 32
; NumVgprs: 18
; ScratchSize: 0
; MemoryBound: 0
; FloatMode: 240
; IeeeMode: 1
; LDSByteSize: 768 bytes/workgroup (compile time only)
; SGPRBlocks: 3
; VGPRBlocks: 2
; NumSGPRsForWavesPerEU: 32
; NumVGPRsForWavesPerEU: 18
; Occupancy: 16
; WaveLimiterHint : 1
; COMPUTE_PGM_RSRC2:SCRATCH_EN: 0
; COMPUTE_PGM_RSRC2:USER_SGPR: 15
; COMPUTE_PGM_RSRC2:TRAP_HANDLER: 0
; COMPUTE_PGM_RSRC2:TGID_X_EN: 1
; COMPUTE_PGM_RSRC2:TGID_Y_EN: 0
; COMPUTE_PGM_RSRC2:TGID_Z_EN: 0
; COMPUTE_PGM_RSRC2:TIDIG_COMP_CNT: 0
	.section	.text._ZN9rocsparseL5csrsmILj64ELj64ELb0Eii21rocsparse_complex_numIfEEEv20rocsparse_operation_T3_S4_NS_24const_host_device_scalarIT4_EEPKT2_PKS4_PKS6_PS6_lPiSC_PS4_21rocsparse_index_base_20rocsparse_fill_mode_20rocsparse_diag_type_b,"axG",@progbits,_ZN9rocsparseL5csrsmILj64ELj64ELb0Eii21rocsparse_complex_numIfEEEv20rocsparse_operation_T3_S4_NS_24const_host_device_scalarIT4_EEPKT2_PKS4_PKS6_PS6_lPiSC_PS4_21rocsparse_index_base_20rocsparse_fill_mode_20rocsparse_diag_type_b,comdat
	.globl	_ZN9rocsparseL5csrsmILj64ELj64ELb0Eii21rocsparse_complex_numIfEEEv20rocsparse_operation_T3_S4_NS_24const_host_device_scalarIT4_EEPKT2_PKS4_PKS6_PS6_lPiSC_PS4_21rocsparse_index_base_20rocsparse_fill_mode_20rocsparse_diag_type_b ; -- Begin function _ZN9rocsparseL5csrsmILj64ELj64ELb0Eii21rocsparse_complex_numIfEEEv20rocsparse_operation_T3_S4_NS_24const_host_device_scalarIT4_EEPKT2_PKS4_PKS6_PS6_lPiSC_PS4_21rocsparse_index_base_20rocsparse_fill_mode_20rocsparse_diag_type_b
	.p2align	8
	.type	_ZN9rocsparseL5csrsmILj64ELj64ELb0Eii21rocsparse_complex_numIfEEEv20rocsparse_operation_T3_S4_NS_24const_host_device_scalarIT4_EEPKT2_PKS4_PKS6_PS6_lPiSC_PS4_21rocsparse_index_base_20rocsparse_fill_mode_20rocsparse_diag_type_b,@function
_ZN9rocsparseL5csrsmILj64ELj64ELb0Eii21rocsparse_complex_numIfEEEv20rocsparse_operation_T3_S4_NS_24const_host_device_scalarIT4_EEPKT2_PKS4_PKS6_PS6_lPiSC_PS4_21rocsparse_index_base_20rocsparse_fill_mode_20rocsparse_diag_type_b: ; @_ZN9rocsparseL5csrsmILj64ELj64ELb0Eii21rocsparse_complex_numIfEEEv20rocsparse_operation_T3_S4_NS_24const_host_device_scalarIT4_EEPKT2_PKS4_PKS6_PS6_lPiSC_PS4_21rocsparse_index_base_20rocsparse_fill_mode_20rocsparse_diag_type_b
; %bb.0:
	s_clause 0x2
	s_load_b128 s[4:7], s[0:1], 0x58
	s_load_b128 s[8:11], s[0:1], 0x10
	s_load_b64 s[2:3], s[0:1], 0x48
	s_waitcnt lgkmcnt(0)
	s_bitcmp1_b32 s7, 0
	s_mov_b32 s26, s8
	s_cselect_b32 s12, -1, 0
	s_delay_alu instid0(SALU_CYCLE_1)
	s_xor_b32 s7, s12, -1
	s_and_b32 vcc_lo, exec_lo, s12
	s_cbranch_vccnz .LBB24_2
; %bb.1:
	s_load_b32 s26, s[8:9], 0x0
.LBB24_2:
	s_load_b64 s[22:23], s[0:1], 0x30
	s_and_not1_b32 vcc_lo, exec_lo, s7
	s_cbranch_vccnz .LBB24_4
; %bb.3:
	s_load_b32 s9, s[8:9], 0x4
.LBB24_4:
	s_clause 0x1
	s_load_b128 s[16:19], s[0:1], 0x0
	s_load_b64 s[20:21], s[0:1], 0x38
	s_waitcnt lgkmcnt(0)
	v_cvt_f32_u32_e32 v1, s17
	s_sub_i32 s8, 0, s17
	s_delay_alu instid0(VALU_DEP_1) | instskip(SKIP_2) | instid1(VALU_DEP_1)
	v_rcp_iflag_f32_e32 v1, v1
	s_waitcnt_depctr 0xfff
	v_mul_f32_e32 v1, 0x4f7ffffe, v1
	v_cvt_u32_f32_e32 v1, v1
	s_delay_alu instid0(VALU_DEP_1) | instskip(NEXT) | instid1(VALU_DEP_1)
	v_readfirstlane_b32 s7, v1
	s_mul_i32 s8, s8, s7
	s_delay_alu instid0(SALU_CYCLE_1) | instskip(NEXT) | instid1(SALU_CYCLE_1)
	s_mul_hi_u32 s8, s7, s8
	s_add_i32 s7, s7, s8
	s_delay_alu instid0(SALU_CYCLE_1) | instskip(NEXT) | instid1(SALU_CYCLE_1)
	s_mul_hi_u32 s7, s15, s7
	s_mul_i32 s8, s7, s17
	s_add_i32 s12, s7, 1
	s_sub_i32 s8, s15, s8
	s_delay_alu instid0(SALU_CYCLE_1)
	s_sub_i32 s13, s8, s17
	s_cmp_ge_u32 s8, s17
	s_cselect_b32 s7, s12, s7
	s_cselect_b32 s8, s13, s8
	s_add_i32 s12, s7, 1
	s_cmp_ge_u32 s8, s17
	s_cselect_b32 s8, s12, s7
	s_delay_alu instid0(SALU_CYCLE_1) | instskip(SKIP_2) | instid1(SALU_CYCLE_1)
	s_mul_i32 s7, s8, s17
	v_lshl_or_b32 v1, s8, 6, v0
	s_sub_i32 s12, s15, s7
	s_ashr_i32 s13, s12, 31
	s_delay_alu instid0(VALU_DEP_1) | instskip(SKIP_1) | instid1(SALU_CYCLE_1)
	v_ashrrev_i32_e32 v2, 31, v1
	s_lshl_b64 s[12:13], s[12:13], 2
	s_add_u32 s2, s2, s12
	s_addc_u32 s3, s3, s13
	s_load_b32 s12, s[2:3], 0x0
	s_waitcnt lgkmcnt(0)
	s_ashr_i32 s13, s12, 31
	s_mul_i32 s14, s12, s20
	s_lshl_b64 s[2:3], s[12:13], 2
	v_add_co_u32 v3, vcc_lo, s14, v1
	s_add_u32 s2, s10, s2
	s_addc_u32 s3, s11, s3
	s_load_b64 s[24:25], s[2:3], 0x0
	s_mul_i32 s2, s12, s21
	s_mul_hi_u32 s3, s12, s20
	s_delay_alu instid0(SALU_CYCLE_1) | instskip(SKIP_1) | instid1(SALU_CYCLE_1)
	s_add_i32 s2, s3, s2
	s_mul_i32 s3, s13, s20
	s_add_i32 s15, s2, s3
	v_cmp_gt_i32_e64 s2, s18, v1
	v_add_co_ci_u32_e32 v4, vcc_lo, s15, v2, vcc_lo
	s_cmpk_lg_i32 s16, 0x71
	s_cbranch_scc0 .LBB24_8
; %bb.5:
	v_dual_mov_b32 v7, 0 :: v_dual_mov_b32 v8, 0
	s_mov_b32 s3, 0
	s_and_saveexec_b32 s8, s2
	s_cbranch_execz .LBB24_7
; %bb.6:
	v_lshlrev_b64 v[5:6], 3, v[3:4]
	s_delay_alu instid0(VALU_DEP_1) | instskip(NEXT) | instid1(VALU_DEP_2)
	v_add_co_u32 v5, vcc_lo, s22, v5
	v_add_co_ci_u32_e32 v6, vcc_lo, s23, v6, vcc_lo
	global_load_b64 v[5:6], v[5:6], off
	s_waitcnt vmcnt(0)
	v_mul_f32_e64 v8, v6, -s9
	s_delay_alu instid0(VALU_DEP_1) | instskip(NEXT) | instid1(VALU_DEP_1)
	v_dual_mul_f32 v7, s26, v6 :: v_dual_fmac_f32 v8, s26, v5
	v_fmac_f32_e32 v7, s9, v5
.LBB24_7:
	s_or_b32 exec_lo, exec_lo, s8
	s_load_b64 s[16:17], s[0:1], 0x40
	s_and_not1_b32 vcc_lo, exec_lo, s3
	s_cbranch_vccz .LBB24_9
	s_branch .LBB24_12
.LBB24_8:
                                        ; implicit-def: $vgpr7
                                        ; implicit-def: $vgpr8
	s_load_b64 s[16:17], s[0:1], 0x40
.LBB24_9:
	v_dual_mov_b32 v7, 0 :: v_dual_mov_b32 v8, 0
	s_and_saveexec_b32 s3, s2
	s_cbranch_execz .LBB24_11
; %bb.10:
	v_lshlrev_b64 v[3:4], 3, v[3:4]
	s_delay_alu instid0(VALU_DEP_1) | instskip(NEXT) | instid1(VALU_DEP_2)
	v_add_co_u32 v3, vcc_lo, s22, v3
	v_add_co_ci_u32_e32 v4, vcc_lo, s23, v4, vcc_lo
	global_load_b64 v[3:4], v[3:4], off
	s_waitcnt vmcnt(0)
	v_mul_f32_e64 v7, s26, -v4
	s_delay_alu instid0(VALU_DEP_1) | instskip(NEXT) | instid1(VALU_DEP_1)
	v_dual_mul_f32 v8, s9, v4 :: v_dual_fmac_f32 v7, s9, v3
	v_fmac_f32_e32 v8, s26, v3
.LBB24_11:
	s_or_b32 exec_lo, exec_lo, s3
.LBB24_12:
	v_lshlrev_b64 v[1:2], 3, v[1:2]
	v_cmp_eq_u32_e64 s3, 0, v0
	s_waitcnt lgkmcnt(0)
	s_cmp_ge_i32 s24, s25
	s_delay_alu instid0(VALU_DEP_2) | instskip(NEXT) | instid1(VALU_DEP_3)
	v_add_co_u32 v5, vcc_lo, s22, v1
	v_add_co_ci_u32_e32 v6, vcc_lo, s23, v2, vcc_lo
	s_cbranch_scc1 .LBB24_54
; %bb.13:
	s_clause 0x1
	s_load_b64 s[18:19], s[0:1], 0x50
	s_load_b128 s[8:11], s[0:1], 0x20
	s_sub_i32 s13, s24, s4
	s_sub_i32 s22, s25, s4
	v_lshl_or_b32 v9, v0, 2, 0x200
	v_dual_mov_b32 v11, 1.0 :: v_dual_lshlrev_b32 v10, 3, v0
	v_mov_b32_e32 v2, 0
	v_mov_b32_e32 v12, 0
	s_cmp_eq_u32 s6, 0
	s_mov_b32 s25, s13
	s_cselect_b32 s23, -1, 0
	s_add_i32 s24, s12, s4
	s_branch .LBB24_16
.LBB24_14:                              ;   in Loop: Header=BB24_16 Depth=1
	s_add_i32 s25, s25, 1
	s_delay_alu instid0(SALU_CYCLE_1)
	s_cmp_ge_i32 s25, s22
	s_cselect_b32 s0, -1, 0
.LBB24_15:                              ;   in Loop: Header=BB24_16 Depth=1
	v_dual_mov_b32 v7, v14 :: v_dual_mov_b32 v8, v15
	v_dual_mov_b32 v12, v4 :: v_dual_mov_b32 v11, v13
	s_and_not1_b32 vcc_lo, exec_lo, s0
	s_cbranch_vccz .LBB24_55
.LBB24_16:                              ; =>This Loop Header: Depth=1
                                        ;     Child Loop BB24_45 Depth 2
	s_sub_i32 s0, s25, s13
	s_delay_alu instid0(SALU_CYCLE_1) | instskip(NEXT) | instid1(SALU_CYCLE_1)
	s_and_b32 s0, s0, 63
	s_cmp_lg_u32 s0, 0
	s_cbranch_scc1 .LBB24_20
; %bb.17:                               ;   in Loop: Header=BB24_16 Depth=1
	s_sub_i32 s1, s22, s25
	v_dual_mov_b32 v1, -1 :: v_dual_mov_b32 v4, 0
	v_cmp_gt_u32_e32 vcc_lo, s1, v0
	v_mov_b32_e32 v3, -1.0
	s_and_saveexec_b32 s1, vcc_lo
	s_cbranch_execz .LBB24_19
; %bb.18:                               ;   in Loop: Header=BB24_16 Depth=1
	v_add_nc_u32_e32 v1, s25, v0
	s_delay_alu instid0(VALU_DEP_1) | instskip(SKIP_2) | instid1(VALU_DEP_2)
	v_lshlrev_b64 v[3:4], 2, v[1:2]
	v_lshlrev_b64 v[13:14], 3, v[1:2]
	s_waitcnt lgkmcnt(0)
	v_add_co_u32 v3, vcc_lo, s8, v3
	s_delay_alu instid0(VALU_DEP_3)
	v_add_co_ci_u32_e32 v4, vcc_lo, s9, v4, vcc_lo
	global_load_b32 v1, v[3:4], off
	v_add_co_u32 v3, vcc_lo, s10, v13
	v_add_co_ci_u32_e32 v4, vcc_lo, s11, v14, vcc_lo
	global_load_b64 v[3:4], v[3:4], off
	s_waitcnt vmcnt(1)
	v_subrev_nc_u32_e32 v1, s4, v1
.LBB24_19:                              ;   in Loop: Header=BB24_16 Depth=1
	s_or_b32 exec_lo, exec_lo, s1
	ds_store_b32 v9, v1
	s_waitcnt vmcnt(0)
	ds_store_b64 v10, v[3:4]
.LBB24_20:                              ;   in Loop: Header=BB24_16 Depth=1
	s_lshl_b32 s1, s0, 3
	s_lshl_b32 s0, s0, 2
	v_mov_b32_e32 v1, s1
	v_mov_b32_e32 v13, s0
	s_waitcnt lgkmcnt(0)
	s_waitcnt_vscnt null, 0x0
	s_barrier
	buffer_gl0_inv
	ds_load_b64 v[3:4], v1
	ds_load_b32 v1, v13 offset:512
	s_waitcnt lgkmcnt(1)
	v_cmp_eq_f32_e32 vcc_lo, 0, v3
	v_cmp_eq_f32_e64 s0, 0, v4
	s_waitcnt lgkmcnt(0)
	v_readfirstlane_b32 s26, v1
	v_cmp_ne_u32_e64 s1, s12, v1
	s_delay_alu instid0(VALU_DEP_3) | instskip(NEXT) | instid1(VALU_DEP_2)
	s_and_b32 s0, vcc_lo, s0
	s_cmp_eq_u32 s26, s12
	s_cselect_b32 s28, -1, 0
	s_delay_alu instid0(SALU_CYCLE_1) | instskip(NEXT) | instid1(SALU_CYCLE_1)
	s_and_b32 s0, s0, s28
	s_and_b32 s0, s23, s0
	s_delay_alu instid0(SALU_CYCLE_1) | instskip(SKIP_2) | instid1(SALU_CYCLE_1)
	v_cndmask_b32_e64 v1, v4, 0, s0
	v_cndmask_b32_e64 v3, v3, 1.0, s0
	s_and_b32 s27, s3, s0
	s_and_saveexec_b32 s0, s27
	s_cbranch_execz .LBB24_24
; %bb.21:                               ;   in Loop: Header=BB24_16 Depth=1
	v_mbcnt_lo_u32_b32 v1, exec_lo, 0
	s_mov_b32 s27, exec_lo
	s_delay_alu instid0(VALU_DEP_1)
	v_cmpx_eq_u32_e32 0, v1
	s_cbranch_execz .LBB24_23
; %bb.22:                               ;   in Loop: Header=BB24_16 Depth=1
	v_mov_b32_e32 v1, s24
	global_atomic_min_i32 v2, v1, s[18:19]
.LBB24_23:                              ;   in Loop: Header=BB24_16 Depth=1
	s_or_b32 exec_lo, exec_lo, s27
	v_mov_b32_e32 v1, 0
	v_mov_b32_e32 v3, 1.0
.LBB24_24:                              ;   in Loop: Header=BB24_16 Depth=1
	s_or_b32 exec_lo, exec_lo, s0
	s_cmp_lt_i32 s5, 1
	s_mov_b32 s0, 0
	s_cbranch_scc1 .LBB24_30
; %bb.25:                               ;   in Loop: Header=BB24_16 Depth=1
	s_cmp_eq_u32 s5, 1
	s_cbranch_scc0 .LBB24_31
; %bb.26:                               ;   in Loop: Header=BB24_16 Depth=1
	v_dual_mov_b32 v4, v12 :: v_dual_mov_b32 v13, v11
	s_cmp_ge_i32 s26, s12
	s_mov_b32 s27, 0
	s_cbranch_scc0 .LBB24_33
; %bb.27:                               ;   in Loop: Header=BB24_16 Depth=1
	s_and_b32 vcc_lo, exec_lo, s28
	s_cbranch_vccz .LBB24_32
; %bb.28:                               ;   in Loop: Header=BB24_16 Depth=1
	v_dual_mov_b32 v4, v12 :: v_dual_mov_b32 v13, v11
	s_and_not1_b32 vcc_lo, exec_lo, s23
	s_cbranch_vccnz .LBB24_33
; %bb.29:                               ;   in Loop: Header=BB24_16 Depth=1
	v_mul_f32_e32 v4, v1, v1
	s_delay_alu instid0(VALU_DEP_1) | instskip(NEXT) | instid1(VALU_DEP_1)
	v_fmac_f32_e32 v4, v3, v3
	v_div_scale_f32 v13, null, v4, v4, 1.0
	v_div_scale_f32 v16, vcc_lo, 1.0, v4, 1.0
	s_delay_alu instid0(VALU_DEP_2) | instskip(SKIP_2) | instid1(VALU_DEP_1)
	v_rcp_f32_e32 v14, v13
	s_waitcnt_depctr 0xfff
	v_fma_f32 v15, -v13, v14, 1.0
	v_fmac_f32_e32 v14, v15, v14
	s_delay_alu instid0(VALU_DEP_1) | instskip(NEXT) | instid1(VALU_DEP_1)
	v_mul_f32_e32 v15, v16, v14
	v_fma_f32 v17, -v13, v15, v16
	s_delay_alu instid0(VALU_DEP_1) | instskip(NEXT) | instid1(VALU_DEP_1)
	v_fmac_f32_e32 v15, v17, v14
	v_fma_f32 v13, -v13, v15, v16
	s_delay_alu instid0(VALU_DEP_1) | instskip(SKIP_2) | instid1(VALU_DEP_3)
	v_div_fmas_f32 v13, v13, v14, v15
	v_fma_f32 v14, 0, v1, v3
	v_fma_f32 v15, v3, 0, -v1
	v_div_fixup_f32 v4, v13, v4, 1.0
	s_delay_alu instid0(VALU_DEP_1) | instskip(NEXT) | instid1(VALU_DEP_3)
	v_mul_f32_e32 v13, v14, v4
	v_mul_f32_e32 v4, v15, v4
	s_branch .LBB24_33
.LBB24_30:                              ;   in Loop: Header=BB24_16 Depth=1
	s_mov_b32 s27, 0
                                        ; implicit-def: $sgpr28
                                        ; implicit-def: $vgpr14
                                        ; implicit-def: $vgpr15
                                        ; implicit-def: $vgpr4
                                        ; implicit-def: $vgpr13
	s_cbranch_execnz .LBB24_34
	s_branch .LBB24_36
.LBB24_31:                              ;   in Loop: Header=BB24_16 Depth=1
	s_mov_b32 s27, -1
                                        ; implicit-def: $sgpr28
                                        ; implicit-def: $vgpr14
                                        ; implicit-def: $vgpr15
                                        ; implicit-def: $vgpr4
                                        ; implicit-def: $vgpr13
	s_branch .LBB24_36
.LBB24_32:                              ;   in Loop: Header=BB24_16 Depth=1
	s_mov_b32 s27, -1
                                        ; implicit-def: $vgpr4
                                        ; implicit-def: $vgpr13
.LBB24_33:                              ;   in Loop: Header=BB24_16 Depth=1
	v_dual_mov_b32 v14, v7 :: v_dual_mov_b32 v15, v8
	s_mov_b32 s28, 4
	s_branch .LBB24_36
.LBB24_34:                              ;   in Loop: Header=BB24_16 Depth=1
	s_cmp_eq_u32 s5, 0
	s_cbranch_scc1 .LBB24_40
; %bb.35:                               ;   in Loop: Header=BB24_16 Depth=1
	s_mov_b32 s27, -1
                                        ; implicit-def: $sgpr28
                                        ; implicit-def: $vgpr14
                                        ; implicit-def: $vgpr15
                                        ; implicit-def: $vgpr4
                                        ; implicit-def: $vgpr13
.LBB24_36:                              ;   in Loop: Header=BB24_16 Depth=1
	s_delay_alu instid0(SALU_CYCLE_1)
	s_and_b32 vcc_lo, exec_lo, s27
	s_cbranch_vccnz .LBB24_43
.LBB24_37:                              ;   in Loop: Header=BB24_16 Depth=1
	s_and_b32 vcc_lo, exec_lo, s0
	s_cbranch_vccnz .LBB24_49
.LBB24_38:                              ;   in Loop: Header=BB24_16 Depth=1
	s_cmp_gt_i32 s28, 3
	s_mov_b32 s0, -1
	s_cbranch_scc1 .LBB24_52
.LBB24_39:                              ;   in Loop: Header=BB24_16 Depth=1
	s_cmp_eq_u32 s28, 0
	s_cselect_b32 s1, -1, 0
	s_delay_alu instid0(SALU_CYCLE_1)
	s_and_not1_b32 vcc_lo, exec_lo, s1
	s_cbranch_vccz .LBB24_14
	s_branch .LBB24_53
.LBB24_40:                              ;   in Loop: Header=BB24_16 Depth=1
	s_cmp_le_i32 s26, s12
	s_mov_b32 s27, 0
	s_cbranch_scc0 .LBB24_42
; %bb.41:                               ;   in Loop: Header=BB24_16 Depth=1
	s_mov_b32 s0, -1
	s_mov_b32 s27, s1
.LBB24_42:                              ;   in Loop: Header=BB24_16 Depth=1
	v_dual_mov_b32 v14, v7 :: v_dual_mov_b32 v15, v8
	v_dual_mov_b32 v4, v12 :: v_dual_mov_b32 v13, v11
	s_mov_b32 s28, 2
	s_and_b32 vcc_lo, exec_lo, s27
	s_cbranch_vccz .LBB24_37
.LBB24_43:                              ;   in Loop: Header=BB24_16 Depth=1
	s_and_saveexec_b32 s27, s3
	s_cbranch_execz .LBB24_46
; %bb.44:                               ;   in Loop: Header=BB24_16 Depth=1
	s_add_i32 s0, s26, s7
	s_delay_alu instid0(SALU_CYCLE_1) | instskip(NEXT) | instid1(SALU_CYCLE_1)
	s_ashr_i32 s1, s0, 31
	s_lshl_b64 s[0:1], s[0:1], 2
	s_delay_alu instid0(SALU_CYCLE_1)
	s_add_u32 s0, s16, s0
	s_addc_u32 s1, s17, s1
	global_load_b32 v4, v2, s[0:1] glc
	s_waitcnt vmcnt(0)
	v_cmp_ne_u32_e32 vcc_lo, 0, v4
	s_cbranch_vccnz .LBB24_46
.LBB24_45:                              ;   Parent Loop BB24_16 Depth=1
                                        ; =>  This Inner Loop Header: Depth=2
	global_load_b32 v4, v2, s[0:1] glc
	s_waitcnt vmcnt(0)
	v_cmp_eq_u32_e32 vcc_lo, 0, v4
	s_cbranch_vccnz .LBB24_45
.LBB24_46:                              ;   in Loop: Header=BB24_16 Depth=1
	s_or_b32 exec_lo, exec_lo, s27
	v_dual_mov_b32 v14, 0 :: v_dual_mov_b32 v15, 0
	s_mov_b32 s0, 0
	s_waitcnt_vscnt null, 0x0
	s_barrier
	buffer_gl0_inv
	buffer_gl1_inv
	buffer_gl0_inv
	s_and_saveexec_b32 s1, s2
	s_cbranch_execz .LBB24_48
; %bb.47:                               ;   in Loop: Header=BB24_16 Depth=1
	s_mul_i32 s27, s26, s21
	s_mul_hi_u32 s28, s26, s20
	s_ashr_i32 s29, s26, 31
	s_add_i32 s27, s28, s27
	s_mul_i32 s29, s29, s20
	s_mul_i32 s26, s26, s20
	s_add_i32 s27, s27, s29
	s_delay_alu instid0(SALU_CYCLE_1) | instskip(NEXT) | instid1(SALU_CYCLE_1)
	s_lshl_b64 s[26:27], s[26:27], 3
	v_add_co_u32 v13, vcc_lo, v5, s26
	v_add_co_ci_u32_e32 v14, vcc_lo, s27, v6, vcc_lo
	global_load_b64 v[13:14], v[13:14], off
	s_waitcnt vmcnt(0)
	v_fma_f32 v15, -v3, v13, v8
	v_fma_f32 v4, -v1, v13, v7
	s_delay_alu instid0(VALU_DEP_2) | instskip(NEXT) | instid1(VALU_DEP_2)
	v_fmac_f32_e32 v15, v1, v14
	v_fma_f32 v14, -v3, v14, v4
.LBB24_48:                              ;   in Loop: Header=BB24_16 Depth=1
	s_or_b32 exec_lo, exec_lo, s1
	v_dual_mov_b32 v4, v12 :: v_dual_mov_b32 v13, v11
	s_mov_b32 s28, 0
	s_and_b32 vcc_lo, exec_lo, s0
	s_cbranch_vccz .LBB24_38
.LBB24_49:                              ;   in Loop: Header=BB24_16 Depth=1
	s_and_not1_b32 vcc_lo, exec_lo, s23
	s_cbranch_vccnz .LBB24_51
; %bb.50:                               ;   in Loop: Header=BB24_16 Depth=1
	v_mul_f32_e32 v4, v1, v1
	s_delay_alu instid0(VALU_DEP_1) | instskip(NEXT) | instid1(VALU_DEP_1)
	v_fmac_f32_e32 v4, v3, v3
	v_div_scale_f32 v11, null, v4, v4, 1.0
	v_div_scale_f32 v14, vcc_lo, 1.0, v4, 1.0
	s_delay_alu instid0(VALU_DEP_2) | instskip(SKIP_2) | instid1(VALU_DEP_1)
	v_rcp_f32_e32 v12, v11
	s_waitcnt_depctr 0xfff
	v_fma_f32 v13, -v11, v12, 1.0
	v_fmac_f32_e32 v12, v13, v12
	s_delay_alu instid0(VALU_DEP_1) | instskip(NEXT) | instid1(VALU_DEP_1)
	v_mul_f32_e32 v13, v14, v12
	v_fma_f32 v15, -v11, v13, v14
	s_delay_alu instid0(VALU_DEP_1) | instskip(NEXT) | instid1(VALU_DEP_1)
	v_fmac_f32_e32 v13, v15, v12
	v_fma_f32 v11, -v11, v13, v14
	s_delay_alu instid0(VALU_DEP_1) | instskip(SKIP_2) | instid1(VALU_DEP_3)
	v_div_fmas_f32 v11, v11, v12, v13
	v_fma_f32 v12, 0, v1, v3
	v_fma_f32 v1, v3, 0, -v1
	v_div_fixup_f32 v4, v11, v4, 1.0
	s_delay_alu instid0(VALU_DEP_1) | instskip(NEXT) | instid1(VALU_DEP_3)
	v_mul_f32_e32 v11, v12, v4
	v_mul_f32_e32 v12, v1, v4
.LBB24_51:                              ;   in Loop: Header=BB24_16 Depth=1
	s_delay_alu instid0(VALU_DEP_1) | instskip(SKIP_2) | instid1(SALU_CYCLE_1)
	v_dual_mov_b32 v13, v11 :: v_dual_mov_b32 v4, v12
	v_dual_mov_b32 v15, v8 :: v_dual_mov_b32 v14, v7
	s_mov_b32 s28, 2
	s_cmp_gt_i32 s28, 3
	s_mov_b32 s0, -1
	s_cbranch_scc0 .LBB24_39
.LBB24_52:                              ;   in Loop: Header=BB24_16 Depth=1
	s_branch .LBB24_14
.LBB24_53:                              ;   in Loop: Header=BB24_16 Depth=1
                                        ; implicit-def: $sgpr25
	s_branch .LBB24_15
.LBB24_54:
	v_dual_mov_b32 v4, 0 :: v_dual_mov_b32 v13, 1.0
	s_and_saveexec_b32 s0, s2
	s_cbranch_execnz .LBB24_56
	s_branch .LBB24_57
.LBB24_55:
	v_dual_mov_b32 v7, v14 :: v_dual_mov_b32 v8, v15
	s_and_saveexec_b32 s0, s2
	s_cbranch_execz .LBB24_57
.LBB24_56:
	s_delay_alu instid0(VALU_DEP_1) | instskip(NEXT) | instid1(VALU_DEP_2)
	v_mul_f32_e32 v3, v4, v8
	v_mul_f32_e64 v9, v4, -v7
	s_lshl_b64 s[2:3], s[14:15], 3
	s_cmp_eq_u32 s6, 0
	v_add_co_u32 v1, vcc_lo, v5, s2
	v_add_co_ci_u32_e32 v2, vcc_lo, s3, v6, vcc_lo
	v_fmac_f32_e32 v3, v7, v13
	s_cselect_b32 vcc_lo, -1, 0
	s_delay_alu instid0(VALU_DEP_1) | instskip(NEXT) | instid1(VALU_DEP_1)
	v_dual_fmac_f32 v9, v8, v13 :: v_dual_cndmask_b32 v4, v7, v3
	v_cndmask_b32_e32 v3, v8, v9, vcc_lo
	global_store_b64 v[1:2], v[3:4], off
.LBB24_57:
	s_or_b32 exec_lo, exec_lo, s0
	s_waitcnt_vscnt null, 0x0
	buffer_gl1_inv
	buffer_gl0_inv
	s_barrier
	buffer_gl0_inv
	s_mov_b32 s0, exec_lo
	v_cmpx_eq_u32_e32 0, v0
	s_cbranch_execz .LBB24_59
; %bb.58:
	s_add_i32 s0, s12, s7
	v_dual_mov_b32 v0, 0 :: v_dual_mov_b32 v1, 1
	s_ashr_i32 s1, s0, 31
	s_delay_alu instid0(SALU_CYCLE_1) | instskip(NEXT) | instid1(SALU_CYCLE_1)
	s_lshl_b64 s[0:1], s[0:1], 2
	s_add_u32 s0, s16, s0
	s_addc_u32 s1, s17, s1
	global_store_b32 v0, v1, s[0:1]
.LBB24_59:
	s_nop 0
	s_sendmsg sendmsg(MSG_DEALLOC_VGPRS)
	s_endpgm
	.section	.rodata,"a",@progbits
	.p2align	6, 0x0
	.amdhsa_kernel _ZN9rocsparseL5csrsmILj64ELj64ELb0Eii21rocsparse_complex_numIfEEEv20rocsparse_operation_T3_S4_NS_24const_host_device_scalarIT4_EEPKT2_PKS4_PKS6_PS6_lPiSC_PS4_21rocsparse_index_base_20rocsparse_fill_mode_20rocsparse_diag_type_b
		.amdhsa_group_segment_fixed_size 768
		.amdhsa_private_segment_fixed_size 0
		.amdhsa_kernarg_size 104
		.amdhsa_user_sgpr_count 15
		.amdhsa_user_sgpr_dispatch_ptr 0
		.amdhsa_user_sgpr_queue_ptr 0
		.amdhsa_user_sgpr_kernarg_segment_ptr 1
		.amdhsa_user_sgpr_dispatch_id 0
		.amdhsa_user_sgpr_private_segment_size 0
		.amdhsa_wavefront_size32 1
		.amdhsa_uses_dynamic_stack 0
		.amdhsa_enable_private_segment 0
		.amdhsa_system_sgpr_workgroup_id_x 1
		.amdhsa_system_sgpr_workgroup_id_y 0
		.amdhsa_system_sgpr_workgroup_id_z 0
		.amdhsa_system_sgpr_workgroup_info 0
		.amdhsa_system_vgpr_workitem_id 0
		.amdhsa_next_free_vgpr 18
		.amdhsa_next_free_sgpr 30
		.amdhsa_reserve_vcc 1
		.amdhsa_float_round_mode_32 0
		.amdhsa_float_round_mode_16_64 0
		.amdhsa_float_denorm_mode_32 3
		.amdhsa_float_denorm_mode_16_64 3
		.amdhsa_dx10_clamp 1
		.amdhsa_ieee_mode 1
		.amdhsa_fp16_overflow 0
		.amdhsa_workgroup_processor_mode 1
		.amdhsa_memory_ordered 1
		.amdhsa_forward_progress 0
		.amdhsa_shared_vgpr_count 0
		.amdhsa_exception_fp_ieee_invalid_op 0
		.amdhsa_exception_fp_denorm_src 0
		.amdhsa_exception_fp_ieee_div_zero 0
		.amdhsa_exception_fp_ieee_overflow 0
		.amdhsa_exception_fp_ieee_underflow 0
		.amdhsa_exception_fp_ieee_inexact 0
		.amdhsa_exception_int_div_zero 0
	.end_amdhsa_kernel
	.section	.text._ZN9rocsparseL5csrsmILj64ELj64ELb0Eii21rocsparse_complex_numIfEEEv20rocsparse_operation_T3_S4_NS_24const_host_device_scalarIT4_EEPKT2_PKS4_PKS6_PS6_lPiSC_PS4_21rocsparse_index_base_20rocsparse_fill_mode_20rocsparse_diag_type_b,"axG",@progbits,_ZN9rocsparseL5csrsmILj64ELj64ELb0Eii21rocsparse_complex_numIfEEEv20rocsparse_operation_T3_S4_NS_24const_host_device_scalarIT4_EEPKT2_PKS4_PKS6_PS6_lPiSC_PS4_21rocsparse_index_base_20rocsparse_fill_mode_20rocsparse_diag_type_b,comdat
.Lfunc_end24:
	.size	_ZN9rocsparseL5csrsmILj64ELj64ELb0Eii21rocsparse_complex_numIfEEEv20rocsparse_operation_T3_S4_NS_24const_host_device_scalarIT4_EEPKT2_PKS4_PKS6_PS6_lPiSC_PS4_21rocsparse_index_base_20rocsparse_fill_mode_20rocsparse_diag_type_b, .Lfunc_end24-_ZN9rocsparseL5csrsmILj64ELj64ELb0Eii21rocsparse_complex_numIfEEEv20rocsparse_operation_T3_S4_NS_24const_host_device_scalarIT4_EEPKT2_PKS4_PKS6_PS6_lPiSC_PS4_21rocsparse_index_base_20rocsparse_fill_mode_20rocsparse_diag_type_b
                                        ; -- End function
	.section	.AMDGPU.csdata,"",@progbits
; Kernel info:
; codeLenInByte = 2052
; NumSgprs: 32
; NumVgprs: 18
; ScratchSize: 0
; MemoryBound: 0
; FloatMode: 240
; IeeeMode: 1
; LDSByteSize: 768 bytes/workgroup (compile time only)
; SGPRBlocks: 3
; VGPRBlocks: 2
; NumSGPRsForWavesPerEU: 32
; NumVGPRsForWavesPerEU: 18
; Occupancy: 16
; WaveLimiterHint : 1
; COMPUTE_PGM_RSRC2:SCRATCH_EN: 0
; COMPUTE_PGM_RSRC2:USER_SGPR: 15
; COMPUTE_PGM_RSRC2:TRAP_HANDLER: 0
; COMPUTE_PGM_RSRC2:TGID_X_EN: 1
; COMPUTE_PGM_RSRC2:TGID_Y_EN: 0
; COMPUTE_PGM_RSRC2:TGID_Z_EN: 0
; COMPUTE_PGM_RSRC2:TIDIG_COMP_CNT: 0
	.section	.text._ZN9rocsparseL5csrsmILj128ELj64ELb1Eii21rocsparse_complex_numIfEEEv20rocsparse_operation_T3_S4_NS_24const_host_device_scalarIT4_EEPKT2_PKS4_PKS6_PS6_lPiSC_PS4_21rocsparse_index_base_20rocsparse_fill_mode_20rocsparse_diag_type_b,"axG",@progbits,_ZN9rocsparseL5csrsmILj128ELj64ELb1Eii21rocsparse_complex_numIfEEEv20rocsparse_operation_T3_S4_NS_24const_host_device_scalarIT4_EEPKT2_PKS4_PKS6_PS6_lPiSC_PS4_21rocsparse_index_base_20rocsparse_fill_mode_20rocsparse_diag_type_b,comdat
	.globl	_ZN9rocsparseL5csrsmILj128ELj64ELb1Eii21rocsparse_complex_numIfEEEv20rocsparse_operation_T3_S4_NS_24const_host_device_scalarIT4_EEPKT2_PKS4_PKS6_PS6_lPiSC_PS4_21rocsparse_index_base_20rocsparse_fill_mode_20rocsparse_diag_type_b ; -- Begin function _ZN9rocsparseL5csrsmILj128ELj64ELb1Eii21rocsparse_complex_numIfEEEv20rocsparse_operation_T3_S4_NS_24const_host_device_scalarIT4_EEPKT2_PKS4_PKS6_PS6_lPiSC_PS4_21rocsparse_index_base_20rocsparse_fill_mode_20rocsparse_diag_type_b
	.p2align	8
	.type	_ZN9rocsparseL5csrsmILj128ELj64ELb1Eii21rocsparse_complex_numIfEEEv20rocsparse_operation_T3_S4_NS_24const_host_device_scalarIT4_EEPKT2_PKS4_PKS6_PS6_lPiSC_PS4_21rocsparse_index_base_20rocsparse_fill_mode_20rocsparse_diag_type_b,@function
_ZN9rocsparseL5csrsmILj128ELj64ELb1Eii21rocsparse_complex_numIfEEEv20rocsparse_operation_T3_S4_NS_24const_host_device_scalarIT4_EEPKT2_PKS4_PKS6_PS6_lPiSC_PS4_21rocsparse_index_base_20rocsparse_fill_mode_20rocsparse_diag_type_b: ; @_ZN9rocsparseL5csrsmILj128ELj64ELb1Eii21rocsparse_complex_numIfEEEv20rocsparse_operation_T3_S4_NS_24const_host_device_scalarIT4_EEPKT2_PKS4_PKS6_PS6_lPiSC_PS4_21rocsparse_index_base_20rocsparse_fill_mode_20rocsparse_diag_type_b
; %bb.0:
	s_clause 0x2
	s_load_b128 s[4:7], s[0:1], 0x58
	s_load_b128 s[8:11], s[0:1], 0x10
	s_load_b64 s[2:3], s[0:1], 0x48
	s_waitcnt lgkmcnt(0)
	s_bitcmp1_b32 s7, 0
	s_mov_b32 s26, s8
	s_cselect_b32 s12, -1, 0
	s_delay_alu instid0(SALU_CYCLE_1)
	s_xor_b32 s7, s12, -1
	s_and_b32 vcc_lo, exec_lo, s12
	s_cbranch_vccnz .LBB25_2
; %bb.1:
	s_load_b32 s26, s[8:9], 0x0
.LBB25_2:
	s_load_b64 s[22:23], s[0:1], 0x30
	s_and_not1_b32 vcc_lo, exec_lo, s7
	s_cbranch_vccnz .LBB25_4
; %bb.3:
	s_load_b32 s9, s[8:9], 0x4
.LBB25_4:
	s_clause 0x1
	s_load_b128 s[16:19], s[0:1], 0x0
	s_load_b64 s[20:21], s[0:1], 0x38
	s_waitcnt lgkmcnt(0)
	v_cvt_f32_u32_e32 v1, s17
	s_sub_i32 s8, 0, s17
	s_delay_alu instid0(VALU_DEP_1) | instskip(SKIP_2) | instid1(VALU_DEP_1)
	v_rcp_iflag_f32_e32 v1, v1
	s_waitcnt_depctr 0xfff
	v_mul_f32_e32 v1, 0x4f7ffffe, v1
	v_cvt_u32_f32_e32 v1, v1
	s_delay_alu instid0(VALU_DEP_1) | instskip(NEXT) | instid1(VALU_DEP_1)
	v_readfirstlane_b32 s7, v1
	s_mul_i32 s8, s8, s7
	s_delay_alu instid0(SALU_CYCLE_1) | instskip(NEXT) | instid1(SALU_CYCLE_1)
	s_mul_hi_u32 s8, s7, s8
	s_add_i32 s7, s7, s8
	s_delay_alu instid0(SALU_CYCLE_1) | instskip(NEXT) | instid1(SALU_CYCLE_1)
	s_mul_hi_u32 s7, s15, s7
	s_mul_i32 s8, s7, s17
	s_add_i32 s12, s7, 1
	s_sub_i32 s8, s15, s8
	s_delay_alu instid0(SALU_CYCLE_1)
	s_sub_i32 s13, s8, s17
	s_cmp_ge_u32 s8, s17
	s_cselect_b32 s7, s12, s7
	s_cselect_b32 s8, s13, s8
	s_add_i32 s12, s7, 1
	s_cmp_ge_u32 s8, s17
	s_cselect_b32 s8, s12, s7
	s_delay_alu instid0(SALU_CYCLE_1) | instskip(SKIP_2) | instid1(SALU_CYCLE_1)
	s_mul_i32 s7, s8, s17
	v_lshl_or_b32 v1, s8, 7, v0
	s_sub_i32 s12, s15, s7
	s_ashr_i32 s13, s12, 31
	s_delay_alu instid0(VALU_DEP_1) | instskip(SKIP_1) | instid1(SALU_CYCLE_1)
	v_ashrrev_i32_e32 v2, 31, v1
	s_lshl_b64 s[12:13], s[12:13], 2
	s_add_u32 s2, s2, s12
	s_addc_u32 s3, s3, s13
	s_load_b32 s12, s[2:3], 0x0
	s_waitcnt lgkmcnt(0)
	s_ashr_i32 s13, s12, 31
	s_mul_i32 s14, s12, s20
	s_lshl_b64 s[2:3], s[12:13], 2
	v_add_co_u32 v3, vcc_lo, s14, v1
	s_add_u32 s2, s10, s2
	s_addc_u32 s3, s11, s3
	s_load_b64 s[24:25], s[2:3], 0x0
	s_mul_i32 s2, s12, s21
	s_mul_hi_u32 s3, s12, s20
	s_delay_alu instid0(SALU_CYCLE_1) | instskip(SKIP_1) | instid1(SALU_CYCLE_1)
	s_add_i32 s2, s3, s2
	s_mul_i32 s3, s13, s20
	s_add_i32 s15, s2, s3
	v_cmp_gt_i32_e64 s2, s18, v1
	v_add_co_ci_u32_e32 v4, vcc_lo, s15, v2, vcc_lo
	s_cmpk_lg_i32 s16, 0x71
	s_cbranch_scc0 .LBB25_8
; %bb.5:
	v_dual_mov_b32 v7, 0 :: v_dual_mov_b32 v8, 0
	s_mov_b32 s3, 0
	s_and_saveexec_b32 s8, s2
	s_cbranch_execz .LBB25_7
; %bb.6:
	v_lshlrev_b64 v[5:6], 3, v[3:4]
	s_delay_alu instid0(VALU_DEP_1) | instskip(NEXT) | instid1(VALU_DEP_2)
	v_add_co_u32 v5, vcc_lo, s22, v5
	v_add_co_ci_u32_e32 v6, vcc_lo, s23, v6, vcc_lo
	global_load_b64 v[5:6], v[5:6], off
	s_waitcnt vmcnt(0)
	v_mul_f32_e64 v8, v6, -s9
	s_delay_alu instid0(VALU_DEP_1) | instskip(NEXT) | instid1(VALU_DEP_1)
	v_dual_mul_f32 v7, s26, v6 :: v_dual_fmac_f32 v8, s26, v5
	v_fmac_f32_e32 v7, s9, v5
.LBB25_7:
	s_or_b32 exec_lo, exec_lo, s8
	s_load_b64 s[16:17], s[0:1], 0x40
	s_and_not1_b32 vcc_lo, exec_lo, s3
	s_cbranch_vccz .LBB25_9
	s_branch .LBB25_12
.LBB25_8:
                                        ; implicit-def: $vgpr7
                                        ; implicit-def: $vgpr8
	s_load_b64 s[16:17], s[0:1], 0x40
.LBB25_9:
	v_dual_mov_b32 v7, 0 :: v_dual_mov_b32 v8, 0
	s_and_saveexec_b32 s3, s2
	s_cbranch_execz .LBB25_11
; %bb.10:
	v_lshlrev_b64 v[3:4], 3, v[3:4]
	s_delay_alu instid0(VALU_DEP_1) | instskip(NEXT) | instid1(VALU_DEP_2)
	v_add_co_u32 v3, vcc_lo, s22, v3
	v_add_co_ci_u32_e32 v4, vcc_lo, s23, v4, vcc_lo
	global_load_b64 v[3:4], v[3:4], off
	s_waitcnt vmcnt(0)
	v_mul_f32_e64 v7, s26, -v4
	s_delay_alu instid0(VALU_DEP_1) | instskip(NEXT) | instid1(VALU_DEP_1)
	v_dual_mul_f32 v8, s9, v4 :: v_dual_fmac_f32 v7, s9, v3
	v_fmac_f32_e32 v8, s26, v3
.LBB25_11:
	s_or_b32 exec_lo, exec_lo, s3
.LBB25_12:
	v_lshlrev_b64 v[1:2], 3, v[1:2]
	v_cmp_eq_u32_e64 s3, 0, v0
	s_waitcnt lgkmcnt(0)
	s_cmp_ge_i32 s24, s25
	s_delay_alu instid0(VALU_DEP_2) | instskip(NEXT) | instid1(VALU_DEP_3)
	v_add_co_u32 v5, vcc_lo, s22, v1
	v_add_co_ci_u32_e32 v6, vcc_lo, s23, v2, vcc_lo
	s_cbranch_scc1 .LBB25_57
; %bb.13:
	s_clause 0x1
	s_load_b64 s[18:19], s[0:1], 0x50
	s_load_b128 s[8:11], s[0:1], 0x20
	s_sub_i32 s13, s24, s4
	s_sub_i32 s22, s25, s4
	v_lshl_or_b32 v9, v0, 2, 0x400
	v_dual_mov_b32 v11, 1.0 :: v_dual_lshlrev_b32 v10, 3, v0
	v_mov_b32_e32 v2, 0
	v_mov_b32_e32 v12, 0
	s_cmp_eq_u32 s6, 0
	s_mov_b32 s25, s13
	s_cselect_b32 s23, -1, 0
	s_add_i32 s24, s12, s4
	s_branch .LBB25_16
.LBB25_14:                              ;   in Loop: Header=BB25_16 Depth=1
	s_add_i32 s25, s25, 1
	s_delay_alu instid0(SALU_CYCLE_1)
	s_cmp_ge_i32 s25, s22
	s_cselect_b32 s0, -1, 0
.LBB25_15:                              ;   in Loop: Header=BB25_16 Depth=1
	v_dual_mov_b32 v7, v14 :: v_dual_mov_b32 v8, v15
	v_dual_mov_b32 v12, v4 :: v_dual_mov_b32 v11, v13
	s_and_not1_b32 vcc_lo, exec_lo, s0
	s_cbranch_vccz .LBB25_58
.LBB25_16:                              ; =>This Loop Header: Depth=1
                                        ;     Child Loop BB25_55 Depth 2
                                        ;       Child Loop BB25_56 Depth 3
	s_sub_i32 s0, s25, s13
	s_delay_alu instid0(SALU_CYCLE_1) | instskip(NEXT) | instid1(SALU_CYCLE_1)
	s_and_b32 s0, s0, 0x7f
	s_cmp_lg_u32 s0, 0
	s_cbranch_scc1 .LBB25_20
; %bb.17:                               ;   in Loop: Header=BB25_16 Depth=1
	s_sub_i32 s1, s22, s25
	v_dual_mov_b32 v1, -1 :: v_dual_mov_b32 v4, 0
	v_cmp_gt_u32_e32 vcc_lo, s1, v0
	v_mov_b32_e32 v3, -1.0
	s_and_saveexec_b32 s1, vcc_lo
	s_cbranch_execz .LBB25_19
; %bb.18:                               ;   in Loop: Header=BB25_16 Depth=1
	v_add_nc_u32_e32 v1, s25, v0
	s_delay_alu instid0(VALU_DEP_1) | instskip(SKIP_2) | instid1(VALU_DEP_2)
	v_lshlrev_b64 v[3:4], 2, v[1:2]
	v_lshlrev_b64 v[13:14], 3, v[1:2]
	s_waitcnt lgkmcnt(0)
	v_add_co_u32 v3, vcc_lo, s8, v3
	s_delay_alu instid0(VALU_DEP_3)
	v_add_co_ci_u32_e32 v4, vcc_lo, s9, v4, vcc_lo
	global_load_b32 v1, v[3:4], off
	v_add_co_u32 v3, vcc_lo, s10, v13
	v_add_co_ci_u32_e32 v4, vcc_lo, s11, v14, vcc_lo
	global_load_b64 v[3:4], v[3:4], off
	s_waitcnt vmcnt(1)
	v_subrev_nc_u32_e32 v1, s4, v1
.LBB25_19:                              ;   in Loop: Header=BB25_16 Depth=1
	s_or_b32 exec_lo, exec_lo, s1
	ds_store_b32 v9, v1
	s_waitcnt vmcnt(0)
	ds_store_b64 v10, v[3:4]
.LBB25_20:                              ;   in Loop: Header=BB25_16 Depth=1
	s_lshl_b32 s1, s0, 3
	s_lshl_b32 s0, s0, 2
	v_mov_b32_e32 v1, s1
	v_mov_b32_e32 v13, s0
	s_waitcnt lgkmcnt(0)
	s_waitcnt_vscnt null, 0x0
	s_barrier
	buffer_gl0_inv
	ds_load_b64 v[3:4], v1
	ds_load_b32 v1, v13 offset:1024
	s_waitcnt lgkmcnt(1)
	v_cmp_eq_f32_e32 vcc_lo, 0, v3
	v_cmp_eq_f32_e64 s0, 0, v4
	s_waitcnt lgkmcnt(0)
	v_readfirstlane_b32 s26, v1
	v_cmp_ne_u32_e64 s1, s12, v1
	s_delay_alu instid0(VALU_DEP_3) | instskip(NEXT) | instid1(VALU_DEP_2)
	s_and_b32 s0, vcc_lo, s0
	s_cmp_eq_u32 s26, s12
	s_cselect_b32 s28, -1, 0
	s_delay_alu instid0(SALU_CYCLE_1) | instskip(NEXT) | instid1(SALU_CYCLE_1)
	s_and_b32 s0, s0, s28
	s_and_b32 s0, s23, s0
	s_delay_alu instid0(SALU_CYCLE_1) | instskip(SKIP_2) | instid1(SALU_CYCLE_1)
	v_cndmask_b32_e64 v1, v4, 0, s0
	v_cndmask_b32_e64 v3, v3, 1.0, s0
	s_and_b32 s27, s3, s0
	s_and_saveexec_b32 s0, s27
	s_cbranch_execz .LBB25_24
; %bb.21:                               ;   in Loop: Header=BB25_16 Depth=1
	v_mbcnt_lo_u32_b32 v1, exec_lo, 0
	s_mov_b32 s27, exec_lo
	s_delay_alu instid0(VALU_DEP_1)
	v_cmpx_eq_u32_e32 0, v1
	s_cbranch_execz .LBB25_23
; %bb.22:                               ;   in Loop: Header=BB25_16 Depth=1
	v_mov_b32_e32 v1, s24
	global_atomic_min_i32 v2, v1, s[18:19]
.LBB25_23:                              ;   in Loop: Header=BB25_16 Depth=1
	s_or_b32 exec_lo, exec_lo, s27
	v_mov_b32_e32 v1, 0
	v_mov_b32_e32 v3, 1.0
.LBB25_24:                              ;   in Loop: Header=BB25_16 Depth=1
	s_or_b32 exec_lo, exec_lo, s0
	s_cmp_lt_i32 s5, 1
	s_mov_b32 s0, 0
	s_cbranch_scc1 .LBB25_30
; %bb.25:                               ;   in Loop: Header=BB25_16 Depth=1
	s_cmp_eq_u32 s5, 1
	s_cbranch_scc0 .LBB25_31
; %bb.26:                               ;   in Loop: Header=BB25_16 Depth=1
	v_dual_mov_b32 v4, v12 :: v_dual_mov_b32 v13, v11
	s_cmp_ge_i32 s26, s12
	s_mov_b32 s27, 0
	s_cbranch_scc0 .LBB25_33
; %bb.27:                               ;   in Loop: Header=BB25_16 Depth=1
	s_and_b32 vcc_lo, exec_lo, s28
	s_cbranch_vccz .LBB25_32
; %bb.28:                               ;   in Loop: Header=BB25_16 Depth=1
	v_dual_mov_b32 v4, v12 :: v_dual_mov_b32 v13, v11
	s_and_not1_b32 vcc_lo, exec_lo, s23
	s_cbranch_vccnz .LBB25_33
; %bb.29:                               ;   in Loop: Header=BB25_16 Depth=1
	v_mul_f32_e32 v4, v1, v1
	s_delay_alu instid0(VALU_DEP_1) | instskip(NEXT) | instid1(VALU_DEP_1)
	v_fmac_f32_e32 v4, v3, v3
	v_div_scale_f32 v13, null, v4, v4, 1.0
	v_div_scale_f32 v16, vcc_lo, 1.0, v4, 1.0
	s_delay_alu instid0(VALU_DEP_2) | instskip(SKIP_2) | instid1(VALU_DEP_1)
	v_rcp_f32_e32 v14, v13
	s_waitcnt_depctr 0xfff
	v_fma_f32 v15, -v13, v14, 1.0
	v_fmac_f32_e32 v14, v15, v14
	s_delay_alu instid0(VALU_DEP_1) | instskip(NEXT) | instid1(VALU_DEP_1)
	v_mul_f32_e32 v15, v16, v14
	v_fma_f32 v17, -v13, v15, v16
	s_delay_alu instid0(VALU_DEP_1) | instskip(NEXT) | instid1(VALU_DEP_1)
	v_fmac_f32_e32 v15, v17, v14
	v_fma_f32 v13, -v13, v15, v16
	s_delay_alu instid0(VALU_DEP_1) | instskip(SKIP_2) | instid1(VALU_DEP_3)
	v_div_fmas_f32 v13, v13, v14, v15
	v_fma_f32 v14, 0, v1, v3
	v_fma_f32 v15, v3, 0, -v1
	v_div_fixup_f32 v4, v13, v4, 1.0
	s_delay_alu instid0(VALU_DEP_1) | instskip(NEXT) | instid1(VALU_DEP_3)
	v_mul_f32_e32 v13, v14, v4
	v_mul_f32_e32 v4, v15, v4
	s_branch .LBB25_33
.LBB25_30:                              ;   in Loop: Header=BB25_16 Depth=1
	s_mov_b32 s27, 0
                                        ; implicit-def: $sgpr28
                                        ; implicit-def: $vgpr14
                                        ; implicit-def: $vgpr15
                                        ; implicit-def: $vgpr4
                                        ; implicit-def: $vgpr13
	s_cbranch_execnz .LBB25_34
	s_branch .LBB25_36
.LBB25_31:                              ;   in Loop: Header=BB25_16 Depth=1
	s_mov_b32 s27, -1
                                        ; implicit-def: $sgpr28
                                        ; implicit-def: $vgpr14
                                        ; implicit-def: $vgpr15
                                        ; implicit-def: $vgpr4
                                        ; implicit-def: $vgpr13
	s_branch .LBB25_36
.LBB25_32:                              ;   in Loop: Header=BB25_16 Depth=1
	s_mov_b32 s27, -1
                                        ; implicit-def: $vgpr4
                                        ; implicit-def: $vgpr13
.LBB25_33:                              ;   in Loop: Header=BB25_16 Depth=1
	v_dual_mov_b32 v14, v7 :: v_dual_mov_b32 v15, v8
	s_mov_b32 s28, 4
	s_branch .LBB25_36
.LBB25_34:                              ;   in Loop: Header=BB25_16 Depth=1
	s_cmp_eq_u32 s5, 0
	s_cbranch_scc1 .LBB25_40
; %bb.35:                               ;   in Loop: Header=BB25_16 Depth=1
	s_mov_b32 s27, -1
                                        ; implicit-def: $sgpr28
                                        ; implicit-def: $vgpr14
                                        ; implicit-def: $vgpr15
                                        ; implicit-def: $vgpr4
                                        ; implicit-def: $vgpr13
.LBB25_36:                              ;   in Loop: Header=BB25_16 Depth=1
	s_delay_alu instid0(SALU_CYCLE_1)
	s_and_b32 vcc_lo, exec_lo, s27
	s_cbranch_vccnz .LBB25_43
.LBB25_37:                              ;   in Loop: Header=BB25_16 Depth=1
	s_and_b32 vcc_lo, exec_lo, s0
	s_cbranch_vccnz .LBB25_48
.LBB25_38:                              ;   in Loop: Header=BB25_16 Depth=1
	s_cmp_gt_i32 s28, 3
	s_mov_b32 s0, -1
	s_cbranch_scc1 .LBB25_51
.LBB25_39:                              ;   in Loop: Header=BB25_16 Depth=1
	s_cmp_eq_u32 s28, 0
	s_cselect_b32 s1, -1, 0
	s_delay_alu instid0(SALU_CYCLE_1)
	s_and_not1_b32 vcc_lo, exec_lo, s1
	s_cbranch_vccz .LBB25_14
	s_branch .LBB25_52
.LBB25_40:                              ;   in Loop: Header=BB25_16 Depth=1
	s_cmp_le_i32 s26, s12
	s_mov_b32 s27, 0
	s_cbranch_scc0 .LBB25_42
; %bb.41:                               ;   in Loop: Header=BB25_16 Depth=1
	s_mov_b32 s0, -1
	s_mov_b32 s27, s1
.LBB25_42:                              ;   in Loop: Header=BB25_16 Depth=1
	v_dual_mov_b32 v14, v7 :: v_dual_mov_b32 v15, v8
	v_dual_mov_b32 v4, v12 :: v_dual_mov_b32 v13, v11
	s_mov_b32 s28, 2
	s_and_b32 vcc_lo, exec_lo, s27
	s_cbranch_vccz .LBB25_37
.LBB25_43:                              ;   in Loop: Header=BB25_16 Depth=1
	s_and_saveexec_b32 s27, s3
	s_cbranch_execz .LBB25_45
; %bb.44:                               ;   in Loop: Header=BB25_16 Depth=1
	s_add_i32 s0, s26, s7
	s_delay_alu instid0(SALU_CYCLE_1) | instskip(NEXT) | instid1(SALU_CYCLE_1)
	s_ashr_i32 s1, s0, 31
	s_lshl_b64 s[0:1], s[0:1], 2
	s_delay_alu instid0(SALU_CYCLE_1)
	s_add_u32 s0, s16, s0
	s_addc_u32 s1, s17, s1
	global_load_b32 v4, v2, s[0:1] glc
	s_waitcnt vmcnt(0)
	v_cmp_ne_u32_e32 vcc_lo, 0, v4
	s_cbranch_vccz .LBB25_53
.LBB25_45:                              ;   in Loop: Header=BB25_16 Depth=1
	s_or_b32 exec_lo, exec_lo, s27
	v_dual_mov_b32 v14, 0 :: v_dual_mov_b32 v15, 0
	s_mov_b32 s0, 0
	s_waitcnt_vscnt null, 0x0
	s_barrier
	buffer_gl0_inv
	buffer_gl1_inv
	buffer_gl0_inv
	s_and_saveexec_b32 s1, s2
	s_cbranch_execz .LBB25_47
; %bb.46:                               ;   in Loop: Header=BB25_16 Depth=1
	s_mul_i32 s27, s26, s21
	s_mul_hi_u32 s28, s26, s20
	s_ashr_i32 s29, s26, 31
	s_add_i32 s27, s28, s27
	s_mul_i32 s29, s29, s20
	s_mul_i32 s26, s26, s20
	s_add_i32 s27, s27, s29
	s_delay_alu instid0(SALU_CYCLE_1) | instskip(NEXT) | instid1(SALU_CYCLE_1)
	s_lshl_b64 s[26:27], s[26:27], 3
	v_add_co_u32 v13, vcc_lo, v5, s26
	v_add_co_ci_u32_e32 v14, vcc_lo, s27, v6, vcc_lo
	global_load_b64 v[13:14], v[13:14], off
	s_waitcnt vmcnt(0)
	v_fma_f32 v15, -v3, v13, v8
	v_fma_f32 v4, -v1, v13, v7
	s_delay_alu instid0(VALU_DEP_2) | instskip(NEXT) | instid1(VALU_DEP_2)
	v_fmac_f32_e32 v15, v1, v14
	v_fma_f32 v14, -v3, v14, v4
.LBB25_47:                              ;   in Loop: Header=BB25_16 Depth=1
	s_or_b32 exec_lo, exec_lo, s1
	v_dual_mov_b32 v4, v12 :: v_dual_mov_b32 v13, v11
	s_mov_b32 s28, 0
	s_and_b32 vcc_lo, exec_lo, s0
	s_cbranch_vccz .LBB25_38
.LBB25_48:                              ;   in Loop: Header=BB25_16 Depth=1
	s_and_not1_b32 vcc_lo, exec_lo, s23
	s_cbranch_vccnz .LBB25_50
; %bb.49:                               ;   in Loop: Header=BB25_16 Depth=1
	v_mul_f32_e32 v4, v1, v1
	s_delay_alu instid0(VALU_DEP_1) | instskip(NEXT) | instid1(VALU_DEP_1)
	v_fmac_f32_e32 v4, v3, v3
	v_div_scale_f32 v11, null, v4, v4, 1.0
	v_div_scale_f32 v14, vcc_lo, 1.0, v4, 1.0
	s_delay_alu instid0(VALU_DEP_2) | instskip(SKIP_2) | instid1(VALU_DEP_1)
	v_rcp_f32_e32 v12, v11
	s_waitcnt_depctr 0xfff
	v_fma_f32 v13, -v11, v12, 1.0
	v_fmac_f32_e32 v12, v13, v12
	s_delay_alu instid0(VALU_DEP_1) | instskip(NEXT) | instid1(VALU_DEP_1)
	v_mul_f32_e32 v13, v14, v12
	v_fma_f32 v15, -v11, v13, v14
	s_delay_alu instid0(VALU_DEP_1) | instskip(NEXT) | instid1(VALU_DEP_1)
	v_fmac_f32_e32 v13, v15, v12
	v_fma_f32 v11, -v11, v13, v14
	s_delay_alu instid0(VALU_DEP_1) | instskip(SKIP_2) | instid1(VALU_DEP_3)
	v_div_fmas_f32 v11, v11, v12, v13
	v_fma_f32 v12, 0, v1, v3
	v_fma_f32 v1, v3, 0, -v1
	v_div_fixup_f32 v4, v11, v4, 1.0
	s_delay_alu instid0(VALU_DEP_1) | instskip(NEXT) | instid1(VALU_DEP_3)
	v_mul_f32_e32 v11, v12, v4
	v_mul_f32_e32 v12, v1, v4
.LBB25_50:                              ;   in Loop: Header=BB25_16 Depth=1
	s_delay_alu instid0(VALU_DEP_1) | instskip(SKIP_2) | instid1(SALU_CYCLE_1)
	v_dual_mov_b32 v13, v11 :: v_dual_mov_b32 v4, v12
	v_dual_mov_b32 v15, v8 :: v_dual_mov_b32 v14, v7
	s_mov_b32 s28, 2
	s_cmp_gt_i32 s28, 3
	s_mov_b32 s0, -1
	s_cbranch_scc0 .LBB25_39
.LBB25_51:                              ;   in Loop: Header=BB25_16 Depth=1
	s_branch .LBB25_14
.LBB25_52:                              ;   in Loop: Header=BB25_16 Depth=1
                                        ; implicit-def: $sgpr25
	s_branch .LBB25_15
.LBB25_53:                              ;   in Loop: Header=BB25_16 Depth=1
	s_mov_b32 s28, 0
	s_branch .LBB25_55
	.p2align	6
.LBB25_54:                              ;   in Loop: Header=BB25_55 Depth=2
	global_load_b32 v4, v2, s[0:1] glc
	s_cmpk_lt_u32 s28, 0xf43
	s_cselect_b32 s29, -1, 0
	s_delay_alu instid0(SALU_CYCLE_1)
	s_cmp_lg_u32 s29, 0
	s_addc_u32 s28, s28, 0
	s_waitcnt vmcnt(0)
	v_cmp_ne_u32_e32 vcc_lo, 0, v4
	s_cbranch_vccnz .LBB25_45
.LBB25_55:                              ;   Parent Loop BB25_16 Depth=1
                                        ; =>  This Loop Header: Depth=2
                                        ;       Child Loop BB25_56 Depth 3
	s_cmp_eq_u32 s28, 0
	s_mov_b32 s29, s28
	s_cbranch_scc1 .LBB25_54
.LBB25_56:                              ;   Parent Loop BB25_16 Depth=1
                                        ;     Parent Loop BB25_55 Depth=2
                                        ; =>    This Inner Loop Header: Depth=3
	s_add_i32 s29, s29, -1
	s_sleep 1
	s_cmp_eq_u32 s29, 0
	s_cbranch_scc0 .LBB25_56
	s_branch .LBB25_54
.LBB25_57:
	v_dual_mov_b32 v4, 0 :: v_dual_mov_b32 v13, 1.0
	s_and_saveexec_b32 s0, s2
	s_cbranch_execnz .LBB25_59
	s_branch .LBB25_60
.LBB25_58:
	v_dual_mov_b32 v7, v14 :: v_dual_mov_b32 v8, v15
	s_and_saveexec_b32 s0, s2
	s_cbranch_execz .LBB25_60
.LBB25_59:
	s_delay_alu instid0(VALU_DEP_1) | instskip(NEXT) | instid1(VALU_DEP_2)
	v_mul_f32_e32 v3, v4, v8
	v_mul_f32_e64 v9, v4, -v7
	s_lshl_b64 s[2:3], s[14:15], 3
	s_cmp_eq_u32 s6, 0
	v_add_co_u32 v1, vcc_lo, v5, s2
	v_add_co_ci_u32_e32 v2, vcc_lo, s3, v6, vcc_lo
	v_fmac_f32_e32 v3, v7, v13
	s_cselect_b32 vcc_lo, -1, 0
	s_delay_alu instid0(VALU_DEP_1) | instskip(NEXT) | instid1(VALU_DEP_1)
	v_dual_fmac_f32 v9, v8, v13 :: v_dual_cndmask_b32 v4, v7, v3
	v_cndmask_b32_e32 v3, v8, v9, vcc_lo
	global_store_b64 v[1:2], v[3:4], off
.LBB25_60:
	s_or_b32 exec_lo, exec_lo, s0
	s_waitcnt_vscnt null, 0x0
	buffer_gl1_inv
	buffer_gl0_inv
	s_barrier
	buffer_gl0_inv
	s_mov_b32 s0, exec_lo
	v_cmpx_eq_u32_e32 0, v0
	s_cbranch_execz .LBB25_62
; %bb.61:
	s_add_i32 s0, s12, s7
	v_dual_mov_b32 v0, 0 :: v_dual_mov_b32 v1, 1
	s_ashr_i32 s1, s0, 31
	s_delay_alu instid0(SALU_CYCLE_1) | instskip(NEXT) | instid1(SALU_CYCLE_1)
	s_lshl_b64 s[0:1], s[0:1], 2
	s_add_u32 s0, s16, s0
	s_addc_u32 s1, s17, s1
	global_store_b32 v0, v1, s[0:1]
.LBB25_62:
	s_nop 0
	s_sendmsg sendmsg(MSG_DEALLOC_VGPRS)
	s_endpgm
	.section	.rodata,"a",@progbits
	.p2align	6, 0x0
	.amdhsa_kernel _ZN9rocsparseL5csrsmILj128ELj64ELb1Eii21rocsparse_complex_numIfEEEv20rocsparse_operation_T3_S4_NS_24const_host_device_scalarIT4_EEPKT2_PKS4_PKS6_PS6_lPiSC_PS4_21rocsparse_index_base_20rocsparse_fill_mode_20rocsparse_diag_type_b
		.amdhsa_group_segment_fixed_size 1536
		.amdhsa_private_segment_fixed_size 0
		.amdhsa_kernarg_size 104
		.amdhsa_user_sgpr_count 15
		.amdhsa_user_sgpr_dispatch_ptr 0
		.amdhsa_user_sgpr_queue_ptr 0
		.amdhsa_user_sgpr_kernarg_segment_ptr 1
		.amdhsa_user_sgpr_dispatch_id 0
		.amdhsa_user_sgpr_private_segment_size 0
		.amdhsa_wavefront_size32 1
		.amdhsa_uses_dynamic_stack 0
		.amdhsa_enable_private_segment 0
		.amdhsa_system_sgpr_workgroup_id_x 1
		.amdhsa_system_sgpr_workgroup_id_y 0
		.amdhsa_system_sgpr_workgroup_id_z 0
		.amdhsa_system_sgpr_workgroup_info 0
		.amdhsa_system_vgpr_workitem_id 0
		.amdhsa_next_free_vgpr 18
		.amdhsa_next_free_sgpr 30
		.amdhsa_reserve_vcc 1
		.amdhsa_float_round_mode_32 0
		.amdhsa_float_round_mode_16_64 0
		.amdhsa_float_denorm_mode_32 3
		.amdhsa_float_denorm_mode_16_64 3
		.amdhsa_dx10_clamp 1
		.amdhsa_ieee_mode 1
		.amdhsa_fp16_overflow 0
		.amdhsa_workgroup_processor_mode 1
		.amdhsa_memory_ordered 1
		.amdhsa_forward_progress 0
		.amdhsa_shared_vgpr_count 0
		.amdhsa_exception_fp_ieee_invalid_op 0
		.amdhsa_exception_fp_denorm_src 0
		.amdhsa_exception_fp_ieee_div_zero 0
		.amdhsa_exception_fp_ieee_overflow 0
		.amdhsa_exception_fp_ieee_underflow 0
		.amdhsa_exception_fp_ieee_inexact 0
		.amdhsa_exception_int_div_zero 0
	.end_amdhsa_kernel
	.section	.text._ZN9rocsparseL5csrsmILj128ELj64ELb1Eii21rocsparse_complex_numIfEEEv20rocsparse_operation_T3_S4_NS_24const_host_device_scalarIT4_EEPKT2_PKS4_PKS6_PS6_lPiSC_PS4_21rocsparse_index_base_20rocsparse_fill_mode_20rocsparse_diag_type_b,"axG",@progbits,_ZN9rocsparseL5csrsmILj128ELj64ELb1Eii21rocsparse_complex_numIfEEEv20rocsparse_operation_T3_S4_NS_24const_host_device_scalarIT4_EEPKT2_PKS4_PKS6_PS6_lPiSC_PS4_21rocsparse_index_base_20rocsparse_fill_mode_20rocsparse_diag_type_b,comdat
.Lfunc_end25:
	.size	_ZN9rocsparseL5csrsmILj128ELj64ELb1Eii21rocsparse_complex_numIfEEEv20rocsparse_operation_T3_S4_NS_24const_host_device_scalarIT4_EEPKT2_PKS4_PKS6_PS6_lPiSC_PS4_21rocsparse_index_base_20rocsparse_fill_mode_20rocsparse_diag_type_b, .Lfunc_end25-_ZN9rocsparseL5csrsmILj128ELj64ELb1Eii21rocsparse_complex_numIfEEEv20rocsparse_operation_T3_S4_NS_24const_host_device_scalarIT4_EEPKT2_PKS4_PKS6_PS6_lPiSC_PS4_21rocsparse_index_base_20rocsparse_fill_mode_20rocsparse_diag_type_b
                                        ; -- End function
	.section	.AMDGPU.csdata,"",@progbits
; Kernel info:
; codeLenInByte = 2116
; NumSgprs: 32
; NumVgprs: 18
; ScratchSize: 0
; MemoryBound: 0
; FloatMode: 240
; IeeeMode: 1
; LDSByteSize: 1536 bytes/workgroup (compile time only)
; SGPRBlocks: 3
; VGPRBlocks: 2
; NumSGPRsForWavesPerEU: 32
; NumVGPRsForWavesPerEU: 18
; Occupancy: 16
; WaveLimiterHint : 1
; COMPUTE_PGM_RSRC2:SCRATCH_EN: 0
; COMPUTE_PGM_RSRC2:USER_SGPR: 15
; COMPUTE_PGM_RSRC2:TRAP_HANDLER: 0
; COMPUTE_PGM_RSRC2:TGID_X_EN: 1
; COMPUTE_PGM_RSRC2:TGID_Y_EN: 0
; COMPUTE_PGM_RSRC2:TGID_Z_EN: 0
; COMPUTE_PGM_RSRC2:TIDIG_COMP_CNT: 0
	.section	.text._ZN9rocsparseL5csrsmILj128ELj64ELb0Eii21rocsparse_complex_numIfEEEv20rocsparse_operation_T3_S4_NS_24const_host_device_scalarIT4_EEPKT2_PKS4_PKS6_PS6_lPiSC_PS4_21rocsparse_index_base_20rocsparse_fill_mode_20rocsparse_diag_type_b,"axG",@progbits,_ZN9rocsparseL5csrsmILj128ELj64ELb0Eii21rocsparse_complex_numIfEEEv20rocsparse_operation_T3_S4_NS_24const_host_device_scalarIT4_EEPKT2_PKS4_PKS6_PS6_lPiSC_PS4_21rocsparse_index_base_20rocsparse_fill_mode_20rocsparse_diag_type_b,comdat
	.globl	_ZN9rocsparseL5csrsmILj128ELj64ELb0Eii21rocsparse_complex_numIfEEEv20rocsparse_operation_T3_S4_NS_24const_host_device_scalarIT4_EEPKT2_PKS4_PKS6_PS6_lPiSC_PS4_21rocsparse_index_base_20rocsparse_fill_mode_20rocsparse_diag_type_b ; -- Begin function _ZN9rocsparseL5csrsmILj128ELj64ELb0Eii21rocsparse_complex_numIfEEEv20rocsparse_operation_T3_S4_NS_24const_host_device_scalarIT4_EEPKT2_PKS4_PKS6_PS6_lPiSC_PS4_21rocsparse_index_base_20rocsparse_fill_mode_20rocsparse_diag_type_b
	.p2align	8
	.type	_ZN9rocsparseL5csrsmILj128ELj64ELb0Eii21rocsparse_complex_numIfEEEv20rocsparse_operation_T3_S4_NS_24const_host_device_scalarIT4_EEPKT2_PKS4_PKS6_PS6_lPiSC_PS4_21rocsparse_index_base_20rocsparse_fill_mode_20rocsparse_diag_type_b,@function
_ZN9rocsparseL5csrsmILj128ELj64ELb0Eii21rocsparse_complex_numIfEEEv20rocsparse_operation_T3_S4_NS_24const_host_device_scalarIT4_EEPKT2_PKS4_PKS6_PS6_lPiSC_PS4_21rocsparse_index_base_20rocsparse_fill_mode_20rocsparse_diag_type_b: ; @_ZN9rocsparseL5csrsmILj128ELj64ELb0Eii21rocsparse_complex_numIfEEEv20rocsparse_operation_T3_S4_NS_24const_host_device_scalarIT4_EEPKT2_PKS4_PKS6_PS6_lPiSC_PS4_21rocsparse_index_base_20rocsparse_fill_mode_20rocsparse_diag_type_b
; %bb.0:
	s_clause 0x2
	s_load_b128 s[4:7], s[0:1], 0x58
	s_load_b128 s[8:11], s[0:1], 0x10
	s_load_b64 s[2:3], s[0:1], 0x48
	s_waitcnt lgkmcnt(0)
	s_bitcmp1_b32 s7, 0
	s_mov_b32 s26, s8
	s_cselect_b32 s12, -1, 0
	s_delay_alu instid0(SALU_CYCLE_1)
	s_xor_b32 s7, s12, -1
	s_and_b32 vcc_lo, exec_lo, s12
	s_cbranch_vccnz .LBB26_2
; %bb.1:
	s_load_b32 s26, s[8:9], 0x0
.LBB26_2:
	s_load_b64 s[22:23], s[0:1], 0x30
	s_and_not1_b32 vcc_lo, exec_lo, s7
	s_cbranch_vccnz .LBB26_4
; %bb.3:
	s_load_b32 s9, s[8:9], 0x4
.LBB26_4:
	s_clause 0x1
	s_load_b128 s[16:19], s[0:1], 0x0
	s_load_b64 s[20:21], s[0:1], 0x38
	s_waitcnt lgkmcnt(0)
	v_cvt_f32_u32_e32 v1, s17
	s_sub_i32 s8, 0, s17
	s_delay_alu instid0(VALU_DEP_1) | instskip(SKIP_2) | instid1(VALU_DEP_1)
	v_rcp_iflag_f32_e32 v1, v1
	s_waitcnt_depctr 0xfff
	v_mul_f32_e32 v1, 0x4f7ffffe, v1
	v_cvt_u32_f32_e32 v1, v1
	s_delay_alu instid0(VALU_DEP_1) | instskip(NEXT) | instid1(VALU_DEP_1)
	v_readfirstlane_b32 s7, v1
	s_mul_i32 s8, s8, s7
	s_delay_alu instid0(SALU_CYCLE_1) | instskip(NEXT) | instid1(SALU_CYCLE_1)
	s_mul_hi_u32 s8, s7, s8
	s_add_i32 s7, s7, s8
	s_delay_alu instid0(SALU_CYCLE_1) | instskip(NEXT) | instid1(SALU_CYCLE_1)
	s_mul_hi_u32 s7, s15, s7
	s_mul_i32 s8, s7, s17
	s_add_i32 s12, s7, 1
	s_sub_i32 s8, s15, s8
	s_delay_alu instid0(SALU_CYCLE_1)
	s_sub_i32 s13, s8, s17
	s_cmp_ge_u32 s8, s17
	s_cselect_b32 s7, s12, s7
	s_cselect_b32 s8, s13, s8
	s_add_i32 s12, s7, 1
	s_cmp_ge_u32 s8, s17
	s_cselect_b32 s8, s12, s7
	s_delay_alu instid0(SALU_CYCLE_1) | instskip(SKIP_2) | instid1(SALU_CYCLE_1)
	s_mul_i32 s7, s8, s17
	v_lshl_or_b32 v1, s8, 7, v0
	s_sub_i32 s12, s15, s7
	s_ashr_i32 s13, s12, 31
	s_delay_alu instid0(VALU_DEP_1) | instskip(SKIP_1) | instid1(SALU_CYCLE_1)
	v_ashrrev_i32_e32 v2, 31, v1
	s_lshl_b64 s[12:13], s[12:13], 2
	s_add_u32 s2, s2, s12
	s_addc_u32 s3, s3, s13
	s_load_b32 s12, s[2:3], 0x0
	s_waitcnt lgkmcnt(0)
	s_ashr_i32 s13, s12, 31
	s_mul_i32 s14, s12, s20
	s_lshl_b64 s[2:3], s[12:13], 2
	v_add_co_u32 v3, vcc_lo, s14, v1
	s_add_u32 s2, s10, s2
	s_addc_u32 s3, s11, s3
	s_load_b64 s[24:25], s[2:3], 0x0
	s_mul_i32 s2, s12, s21
	s_mul_hi_u32 s3, s12, s20
	s_delay_alu instid0(SALU_CYCLE_1) | instskip(SKIP_1) | instid1(SALU_CYCLE_1)
	s_add_i32 s2, s3, s2
	s_mul_i32 s3, s13, s20
	s_add_i32 s15, s2, s3
	v_cmp_gt_i32_e64 s2, s18, v1
	v_add_co_ci_u32_e32 v4, vcc_lo, s15, v2, vcc_lo
	s_cmpk_lg_i32 s16, 0x71
	s_cbranch_scc0 .LBB26_8
; %bb.5:
	v_dual_mov_b32 v7, 0 :: v_dual_mov_b32 v8, 0
	s_mov_b32 s3, 0
	s_and_saveexec_b32 s8, s2
	s_cbranch_execz .LBB26_7
; %bb.6:
	v_lshlrev_b64 v[5:6], 3, v[3:4]
	s_delay_alu instid0(VALU_DEP_1) | instskip(NEXT) | instid1(VALU_DEP_2)
	v_add_co_u32 v5, vcc_lo, s22, v5
	v_add_co_ci_u32_e32 v6, vcc_lo, s23, v6, vcc_lo
	global_load_b64 v[5:6], v[5:6], off
	s_waitcnt vmcnt(0)
	v_mul_f32_e64 v8, v6, -s9
	s_delay_alu instid0(VALU_DEP_1) | instskip(NEXT) | instid1(VALU_DEP_1)
	v_dual_mul_f32 v7, s26, v6 :: v_dual_fmac_f32 v8, s26, v5
	v_fmac_f32_e32 v7, s9, v5
.LBB26_7:
	s_or_b32 exec_lo, exec_lo, s8
	s_load_b64 s[16:17], s[0:1], 0x40
	s_and_not1_b32 vcc_lo, exec_lo, s3
	s_cbranch_vccz .LBB26_9
	s_branch .LBB26_12
.LBB26_8:
                                        ; implicit-def: $vgpr7
                                        ; implicit-def: $vgpr8
	s_load_b64 s[16:17], s[0:1], 0x40
.LBB26_9:
	v_dual_mov_b32 v7, 0 :: v_dual_mov_b32 v8, 0
	s_and_saveexec_b32 s3, s2
	s_cbranch_execz .LBB26_11
; %bb.10:
	v_lshlrev_b64 v[3:4], 3, v[3:4]
	s_delay_alu instid0(VALU_DEP_1) | instskip(NEXT) | instid1(VALU_DEP_2)
	v_add_co_u32 v3, vcc_lo, s22, v3
	v_add_co_ci_u32_e32 v4, vcc_lo, s23, v4, vcc_lo
	global_load_b64 v[3:4], v[3:4], off
	s_waitcnt vmcnt(0)
	v_mul_f32_e64 v7, s26, -v4
	s_delay_alu instid0(VALU_DEP_1) | instskip(NEXT) | instid1(VALU_DEP_1)
	v_dual_mul_f32 v8, s9, v4 :: v_dual_fmac_f32 v7, s9, v3
	v_fmac_f32_e32 v8, s26, v3
.LBB26_11:
	s_or_b32 exec_lo, exec_lo, s3
.LBB26_12:
	v_lshlrev_b64 v[1:2], 3, v[1:2]
	v_cmp_eq_u32_e64 s3, 0, v0
	s_waitcnt lgkmcnt(0)
	s_cmp_ge_i32 s24, s25
	s_delay_alu instid0(VALU_DEP_2) | instskip(NEXT) | instid1(VALU_DEP_3)
	v_add_co_u32 v5, vcc_lo, s22, v1
	v_add_co_ci_u32_e32 v6, vcc_lo, s23, v2, vcc_lo
	s_cbranch_scc1 .LBB26_54
; %bb.13:
	s_clause 0x1
	s_load_b64 s[18:19], s[0:1], 0x50
	s_load_b128 s[8:11], s[0:1], 0x20
	s_sub_i32 s13, s24, s4
	s_sub_i32 s22, s25, s4
	v_lshl_or_b32 v9, v0, 2, 0x400
	v_dual_mov_b32 v11, 1.0 :: v_dual_lshlrev_b32 v10, 3, v0
	v_mov_b32_e32 v2, 0
	v_mov_b32_e32 v12, 0
	s_cmp_eq_u32 s6, 0
	s_mov_b32 s25, s13
	s_cselect_b32 s23, -1, 0
	s_add_i32 s24, s12, s4
	s_branch .LBB26_16
.LBB26_14:                              ;   in Loop: Header=BB26_16 Depth=1
	s_add_i32 s25, s25, 1
	s_delay_alu instid0(SALU_CYCLE_1)
	s_cmp_ge_i32 s25, s22
	s_cselect_b32 s0, -1, 0
.LBB26_15:                              ;   in Loop: Header=BB26_16 Depth=1
	v_dual_mov_b32 v7, v14 :: v_dual_mov_b32 v8, v15
	v_dual_mov_b32 v12, v4 :: v_dual_mov_b32 v11, v13
	s_and_not1_b32 vcc_lo, exec_lo, s0
	s_cbranch_vccz .LBB26_55
.LBB26_16:                              ; =>This Loop Header: Depth=1
                                        ;     Child Loop BB26_45 Depth 2
	s_sub_i32 s0, s25, s13
	s_delay_alu instid0(SALU_CYCLE_1) | instskip(NEXT) | instid1(SALU_CYCLE_1)
	s_and_b32 s0, s0, 0x7f
	s_cmp_lg_u32 s0, 0
	s_cbranch_scc1 .LBB26_20
; %bb.17:                               ;   in Loop: Header=BB26_16 Depth=1
	s_sub_i32 s1, s22, s25
	v_dual_mov_b32 v1, -1 :: v_dual_mov_b32 v4, 0
	v_cmp_gt_u32_e32 vcc_lo, s1, v0
	v_mov_b32_e32 v3, -1.0
	s_and_saveexec_b32 s1, vcc_lo
	s_cbranch_execz .LBB26_19
; %bb.18:                               ;   in Loop: Header=BB26_16 Depth=1
	v_add_nc_u32_e32 v1, s25, v0
	s_delay_alu instid0(VALU_DEP_1) | instskip(SKIP_2) | instid1(VALU_DEP_2)
	v_lshlrev_b64 v[3:4], 2, v[1:2]
	v_lshlrev_b64 v[13:14], 3, v[1:2]
	s_waitcnt lgkmcnt(0)
	v_add_co_u32 v3, vcc_lo, s8, v3
	s_delay_alu instid0(VALU_DEP_3)
	v_add_co_ci_u32_e32 v4, vcc_lo, s9, v4, vcc_lo
	global_load_b32 v1, v[3:4], off
	v_add_co_u32 v3, vcc_lo, s10, v13
	v_add_co_ci_u32_e32 v4, vcc_lo, s11, v14, vcc_lo
	global_load_b64 v[3:4], v[3:4], off
	s_waitcnt vmcnt(1)
	v_subrev_nc_u32_e32 v1, s4, v1
.LBB26_19:                              ;   in Loop: Header=BB26_16 Depth=1
	s_or_b32 exec_lo, exec_lo, s1
	ds_store_b32 v9, v1
	s_waitcnt vmcnt(0)
	ds_store_b64 v10, v[3:4]
.LBB26_20:                              ;   in Loop: Header=BB26_16 Depth=1
	s_lshl_b32 s1, s0, 3
	s_lshl_b32 s0, s0, 2
	v_mov_b32_e32 v1, s1
	v_mov_b32_e32 v13, s0
	s_waitcnt lgkmcnt(0)
	s_waitcnt_vscnt null, 0x0
	s_barrier
	buffer_gl0_inv
	ds_load_b64 v[3:4], v1
	ds_load_b32 v1, v13 offset:1024
	s_waitcnt lgkmcnt(1)
	v_cmp_eq_f32_e32 vcc_lo, 0, v3
	v_cmp_eq_f32_e64 s0, 0, v4
	s_waitcnt lgkmcnt(0)
	v_readfirstlane_b32 s26, v1
	v_cmp_ne_u32_e64 s1, s12, v1
	s_delay_alu instid0(VALU_DEP_3) | instskip(NEXT) | instid1(VALU_DEP_2)
	s_and_b32 s0, vcc_lo, s0
	s_cmp_eq_u32 s26, s12
	s_cselect_b32 s28, -1, 0
	s_delay_alu instid0(SALU_CYCLE_1) | instskip(NEXT) | instid1(SALU_CYCLE_1)
	s_and_b32 s0, s0, s28
	s_and_b32 s0, s23, s0
	s_delay_alu instid0(SALU_CYCLE_1) | instskip(SKIP_2) | instid1(SALU_CYCLE_1)
	v_cndmask_b32_e64 v1, v4, 0, s0
	v_cndmask_b32_e64 v3, v3, 1.0, s0
	s_and_b32 s27, s3, s0
	s_and_saveexec_b32 s0, s27
	s_cbranch_execz .LBB26_24
; %bb.21:                               ;   in Loop: Header=BB26_16 Depth=1
	v_mbcnt_lo_u32_b32 v1, exec_lo, 0
	s_mov_b32 s27, exec_lo
	s_delay_alu instid0(VALU_DEP_1)
	v_cmpx_eq_u32_e32 0, v1
	s_cbranch_execz .LBB26_23
; %bb.22:                               ;   in Loop: Header=BB26_16 Depth=1
	v_mov_b32_e32 v1, s24
	global_atomic_min_i32 v2, v1, s[18:19]
.LBB26_23:                              ;   in Loop: Header=BB26_16 Depth=1
	s_or_b32 exec_lo, exec_lo, s27
	v_mov_b32_e32 v1, 0
	v_mov_b32_e32 v3, 1.0
.LBB26_24:                              ;   in Loop: Header=BB26_16 Depth=1
	s_or_b32 exec_lo, exec_lo, s0
	s_cmp_lt_i32 s5, 1
	s_mov_b32 s0, 0
	s_cbranch_scc1 .LBB26_30
; %bb.25:                               ;   in Loop: Header=BB26_16 Depth=1
	s_cmp_eq_u32 s5, 1
	s_cbranch_scc0 .LBB26_31
; %bb.26:                               ;   in Loop: Header=BB26_16 Depth=1
	v_dual_mov_b32 v4, v12 :: v_dual_mov_b32 v13, v11
	s_cmp_ge_i32 s26, s12
	s_mov_b32 s27, 0
	s_cbranch_scc0 .LBB26_33
; %bb.27:                               ;   in Loop: Header=BB26_16 Depth=1
	s_and_b32 vcc_lo, exec_lo, s28
	s_cbranch_vccz .LBB26_32
; %bb.28:                               ;   in Loop: Header=BB26_16 Depth=1
	v_dual_mov_b32 v4, v12 :: v_dual_mov_b32 v13, v11
	s_and_not1_b32 vcc_lo, exec_lo, s23
	s_cbranch_vccnz .LBB26_33
; %bb.29:                               ;   in Loop: Header=BB26_16 Depth=1
	v_mul_f32_e32 v4, v1, v1
	s_delay_alu instid0(VALU_DEP_1) | instskip(NEXT) | instid1(VALU_DEP_1)
	v_fmac_f32_e32 v4, v3, v3
	v_div_scale_f32 v13, null, v4, v4, 1.0
	v_div_scale_f32 v16, vcc_lo, 1.0, v4, 1.0
	s_delay_alu instid0(VALU_DEP_2) | instskip(SKIP_2) | instid1(VALU_DEP_1)
	v_rcp_f32_e32 v14, v13
	s_waitcnt_depctr 0xfff
	v_fma_f32 v15, -v13, v14, 1.0
	v_fmac_f32_e32 v14, v15, v14
	s_delay_alu instid0(VALU_DEP_1) | instskip(NEXT) | instid1(VALU_DEP_1)
	v_mul_f32_e32 v15, v16, v14
	v_fma_f32 v17, -v13, v15, v16
	s_delay_alu instid0(VALU_DEP_1) | instskip(NEXT) | instid1(VALU_DEP_1)
	v_fmac_f32_e32 v15, v17, v14
	v_fma_f32 v13, -v13, v15, v16
	s_delay_alu instid0(VALU_DEP_1) | instskip(SKIP_2) | instid1(VALU_DEP_3)
	v_div_fmas_f32 v13, v13, v14, v15
	v_fma_f32 v14, 0, v1, v3
	v_fma_f32 v15, v3, 0, -v1
	v_div_fixup_f32 v4, v13, v4, 1.0
	s_delay_alu instid0(VALU_DEP_1) | instskip(NEXT) | instid1(VALU_DEP_3)
	v_mul_f32_e32 v13, v14, v4
	v_mul_f32_e32 v4, v15, v4
	s_branch .LBB26_33
.LBB26_30:                              ;   in Loop: Header=BB26_16 Depth=1
	s_mov_b32 s27, 0
                                        ; implicit-def: $sgpr28
                                        ; implicit-def: $vgpr14
                                        ; implicit-def: $vgpr15
                                        ; implicit-def: $vgpr4
                                        ; implicit-def: $vgpr13
	s_cbranch_execnz .LBB26_34
	s_branch .LBB26_36
.LBB26_31:                              ;   in Loop: Header=BB26_16 Depth=1
	s_mov_b32 s27, -1
                                        ; implicit-def: $sgpr28
                                        ; implicit-def: $vgpr14
                                        ; implicit-def: $vgpr15
                                        ; implicit-def: $vgpr4
                                        ; implicit-def: $vgpr13
	s_branch .LBB26_36
.LBB26_32:                              ;   in Loop: Header=BB26_16 Depth=1
	s_mov_b32 s27, -1
                                        ; implicit-def: $vgpr4
                                        ; implicit-def: $vgpr13
.LBB26_33:                              ;   in Loop: Header=BB26_16 Depth=1
	v_dual_mov_b32 v14, v7 :: v_dual_mov_b32 v15, v8
	s_mov_b32 s28, 4
	s_branch .LBB26_36
.LBB26_34:                              ;   in Loop: Header=BB26_16 Depth=1
	s_cmp_eq_u32 s5, 0
	s_cbranch_scc1 .LBB26_40
; %bb.35:                               ;   in Loop: Header=BB26_16 Depth=1
	s_mov_b32 s27, -1
                                        ; implicit-def: $sgpr28
                                        ; implicit-def: $vgpr14
                                        ; implicit-def: $vgpr15
                                        ; implicit-def: $vgpr4
                                        ; implicit-def: $vgpr13
.LBB26_36:                              ;   in Loop: Header=BB26_16 Depth=1
	s_delay_alu instid0(SALU_CYCLE_1)
	s_and_b32 vcc_lo, exec_lo, s27
	s_cbranch_vccnz .LBB26_43
.LBB26_37:                              ;   in Loop: Header=BB26_16 Depth=1
	s_and_b32 vcc_lo, exec_lo, s0
	s_cbranch_vccnz .LBB26_49
.LBB26_38:                              ;   in Loop: Header=BB26_16 Depth=1
	s_cmp_gt_i32 s28, 3
	s_mov_b32 s0, -1
	s_cbranch_scc1 .LBB26_52
.LBB26_39:                              ;   in Loop: Header=BB26_16 Depth=1
	s_cmp_eq_u32 s28, 0
	s_cselect_b32 s1, -1, 0
	s_delay_alu instid0(SALU_CYCLE_1)
	s_and_not1_b32 vcc_lo, exec_lo, s1
	s_cbranch_vccz .LBB26_14
	s_branch .LBB26_53
.LBB26_40:                              ;   in Loop: Header=BB26_16 Depth=1
	s_cmp_le_i32 s26, s12
	s_mov_b32 s27, 0
	s_cbranch_scc0 .LBB26_42
; %bb.41:                               ;   in Loop: Header=BB26_16 Depth=1
	s_mov_b32 s0, -1
	s_mov_b32 s27, s1
.LBB26_42:                              ;   in Loop: Header=BB26_16 Depth=1
	v_dual_mov_b32 v14, v7 :: v_dual_mov_b32 v15, v8
	v_dual_mov_b32 v4, v12 :: v_dual_mov_b32 v13, v11
	s_mov_b32 s28, 2
	s_and_b32 vcc_lo, exec_lo, s27
	s_cbranch_vccz .LBB26_37
.LBB26_43:                              ;   in Loop: Header=BB26_16 Depth=1
	s_and_saveexec_b32 s27, s3
	s_cbranch_execz .LBB26_46
; %bb.44:                               ;   in Loop: Header=BB26_16 Depth=1
	s_add_i32 s0, s26, s7
	s_delay_alu instid0(SALU_CYCLE_1) | instskip(NEXT) | instid1(SALU_CYCLE_1)
	s_ashr_i32 s1, s0, 31
	s_lshl_b64 s[0:1], s[0:1], 2
	s_delay_alu instid0(SALU_CYCLE_1)
	s_add_u32 s0, s16, s0
	s_addc_u32 s1, s17, s1
	global_load_b32 v4, v2, s[0:1] glc
	s_waitcnt vmcnt(0)
	v_cmp_ne_u32_e32 vcc_lo, 0, v4
	s_cbranch_vccnz .LBB26_46
.LBB26_45:                              ;   Parent Loop BB26_16 Depth=1
                                        ; =>  This Inner Loop Header: Depth=2
	global_load_b32 v4, v2, s[0:1] glc
	s_waitcnt vmcnt(0)
	v_cmp_eq_u32_e32 vcc_lo, 0, v4
	s_cbranch_vccnz .LBB26_45
.LBB26_46:                              ;   in Loop: Header=BB26_16 Depth=1
	s_or_b32 exec_lo, exec_lo, s27
	v_dual_mov_b32 v14, 0 :: v_dual_mov_b32 v15, 0
	s_mov_b32 s0, 0
	s_waitcnt_vscnt null, 0x0
	s_barrier
	buffer_gl0_inv
	buffer_gl1_inv
	buffer_gl0_inv
	s_and_saveexec_b32 s1, s2
	s_cbranch_execz .LBB26_48
; %bb.47:                               ;   in Loop: Header=BB26_16 Depth=1
	s_mul_i32 s27, s26, s21
	s_mul_hi_u32 s28, s26, s20
	s_ashr_i32 s29, s26, 31
	s_add_i32 s27, s28, s27
	s_mul_i32 s29, s29, s20
	s_mul_i32 s26, s26, s20
	s_add_i32 s27, s27, s29
	s_delay_alu instid0(SALU_CYCLE_1) | instskip(NEXT) | instid1(SALU_CYCLE_1)
	s_lshl_b64 s[26:27], s[26:27], 3
	v_add_co_u32 v13, vcc_lo, v5, s26
	v_add_co_ci_u32_e32 v14, vcc_lo, s27, v6, vcc_lo
	global_load_b64 v[13:14], v[13:14], off
	s_waitcnt vmcnt(0)
	v_fma_f32 v15, -v3, v13, v8
	v_fma_f32 v4, -v1, v13, v7
	s_delay_alu instid0(VALU_DEP_2) | instskip(NEXT) | instid1(VALU_DEP_2)
	v_fmac_f32_e32 v15, v1, v14
	v_fma_f32 v14, -v3, v14, v4
.LBB26_48:                              ;   in Loop: Header=BB26_16 Depth=1
	s_or_b32 exec_lo, exec_lo, s1
	v_dual_mov_b32 v4, v12 :: v_dual_mov_b32 v13, v11
	s_mov_b32 s28, 0
	s_and_b32 vcc_lo, exec_lo, s0
	s_cbranch_vccz .LBB26_38
.LBB26_49:                              ;   in Loop: Header=BB26_16 Depth=1
	s_and_not1_b32 vcc_lo, exec_lo, s23
	s_cbranch_vccnz .LBB26_51
; %bb.50:                               ;   in Loop: Header=BB26_16 Depth=1
	v_mul_f32_e32 v4, v1, v1
	s_delay_alu instid0(VALU_DEP_1) | instskip(NEXT) | instid1(VALU_DEP_1)
	v_fmac_f32_e32 v4, v3, v3
	v_div_scale_f32 v11, null, v4, v4, 1.0
	v_div_scale_f32 v14, vcc_lo, 1.0, v4, 1.0
	s_delay_alu instid0(VALU_DEP_2) | instskip(SKIP_2) | instid1(VALU_DEP_1)
	v_rcp_f32_e32 v12, v11
	s_waitcnt_depctr 0xfff
	v_fma_f32 v13, -v11, v12, 1.0
	v_fmac_f32_e32 v12, v13, v12
	s_delay_alu instid0(VALU_DEP_1) | instskip(NEXT) | instid1(VALU_DEP_1)
	v_mul_f32_e32 v13, v14, v12
	v_fma_f32 v15, -v11, v13, v14
	s_delay_alu instid0(VALU_DEP_1) | instskip(NEXT) | instid1(VALU_DEP_1)
	v_fmac_f32_e32 v13, v15, v12
	v_fma_f32 v11, -v11, v13, v14
	s_delay_alu instid0(VALU_DEP_1) | instskip(SKIP_2) | instid1(VALU_DEP_3)
	v_div_fmas_f32 v11, v11, v12, v13
	v_fma_f32 v12, 0, v1, v3
	v_fma_f32 v1, v3, 0, -v1
	v_div_fixup_f32 v4, v11, v4, 1.0
	s_delay_alu instid0(VALU_DEP_1) | instskip(NEXT) | instid1(VALU_DEP_3)
	v_mul_f32_e32 v11, v12, v4
	v_mul_f32_e32 v12, v1, v4
.LBB26_51:                              ;   in Loop: Header=BB26_16 Depth=1
	s_delay_alu instid0(VALU_DEP_1) | instskip(SKIP_2) | instid1(SALU_CYCLE_1)
	v_dual_mov_b32 v13, v11 :: v_dual_mov_b32 v4, v12
	v_dual_mov_b32 v15, v8 :: v_dual_mov_b32 v14, v7
	s_mov_b32 s28, 2
	s_cmp_gt_i32 s28, 3
	s_mov_b32 s0, -1
	s_cbranch_scc0 .LBB26_39
.LBB26_52:                              ;   in Loop: Header=BB26_16 Depth=1
	s_branch .LBB26_14
.LBB26_53:                              ;   in Loop: Header=BB26_16 Depth=1
                                        ; implicit-def: $sgpr25
	s_branch .LBB26_15
.LBB26_54:
	v_dual_mov_b32 v4, 0 :: v_dual_mov_b32 v13, 1.0
	s_and_saveexec_b32 s0, s2
	s_cbranch_execnz .LBB26_56
	s_branch .LBB26_57
.LBB26_55:
	v_dual_mov_b32 v7, v14 :: v_dual_mov_b32 v8, v15
	s_and_saveexec_b32 s0, s2
	s_cbranch_execz .LBB26_57
.LBB26_56:
	s_delay_alu instid0(VALU_DEP_1) | instskip(NEXT) | instid1(VALU_DEP_2)
	v_mul_f32_e32 v3, v4, v8
	v_mul_f32_e64 v9, v4, -v7
	s_lshl_b64 s[2:3], s[14:15], 3
	s_cmp_eq_u32 s6, 0
	v_add_co_u32 v1, vcc_lo, v5, s2
	v_add_co_ci_u32_e32 v2, vcc_lo, s3, v6, vcc_lo
	v_fmac_f32_e32 v3, v7, v13
	s_cselect_b32 vcc_lo, -1, 0
	s_delay_alu instid0(VALU_DEP_1) | instskip(NEXT) | instid1(VALU_DEP_1)
	v_dual_fmac_f32 v9, v8, v13 :: v_dual_cndmask_b32 v4, v7, v3
	v_cndmask_b32_e32 v3, v8, v9, vcc_lo
	global_store_b64 v[1:2], v[3:4], off
.LBB26_57:
	s_or_b32 exec_lo, exec_lo, s0
	s_waitcnt_vscnt null, 0x0
	buffer_gl1_inv
	buffer_gl0_inv
	s_barrier
	buffer_gl0_inv
	s_mov_b32 s0, exec_lo
	v_cmpx_eq_u32_e32 0, v0
	s_cbranch_execz .LBB26_59
; %bb.58:
	s_add_i32 s0, s12, s7
	v_dual_mov_b32 v0, 0 :: v_dual_mov_b32 v1, 1
	s_ashr_i32 s1, s0, 31
	s_delay_alu instid0(SALU_CYCLE_1) | instskip(NEXT) | instid1(SALU_CYCLE_1)
	s_lshl_b64 s[0:1], s[0:1], 2
	s_add_u32 s0, s16, s0
	s_addc_u32 s1, s17, s1
	global_store_b32 v0, v1, s[0:1]
.LBB26_59:
	s_nop 0
	s_sendmsg sendmsg(MSG_DEALLOC_VGPRS)
	s_endpgm
	.section	.rodata,"a",@progbits
	.p2align	6, 0x0
	.amdhsa_kernel _ZN9rocsparseL5csrsmILj128ELj64ELb0Eii21rocsparse_complex_numIfEEEv20rocsparse_operation_T3_S4_NS_24const_host_device_scalarIT4_EEPKT2_PKS4_PKS6_PS6_lPiSC_PS4_21rocsparse_index_base_20rocsparse_fill_mode_20rocsparse_diag_type_b
		.amdhsa_group_segment_fixed_size 1536
		.amdhsa_private_segment_fixed_size 0
		.amdhsa_kernarg_size 104
		.amdhsa_user_sgpr_count 15
		.amdhsa_user_sgpr_dispatch_ptr 0
		.amdhsa_user_sgpr_queue_ptr 0
		.amdhsa_user_sgpr_kernarg_segment_ptr 1
		.amdhsa_user_sgpr_dispatch_id 0
		.amdhsa_user_sgpr_private_segment_size 0
		.amdhsa_wavefront_size32 1
		.amdhsa_uses_dynamic_stack 0
		.amdhsa_enable_private_segment 0
		.amdhsa_system_sgpr_workgroup_id_x 1
		.amdhsa_system_sgpr_workgroup_id_y 0
		.amdhsa_system_sgpr_workgroup_id_z 0
		.amdhsa_system_sgpr_workgroup_info 0
		.amdhsa_system_vgpr_workitem_id 0
		.amdhsa_next_free_vgpr 18
		.amdhsa_next_free_sgpr 30
		.amdhsa_reserve_vcc 1
		.amdhsa_float_round_mode_32 0
		.amdhsa_float_round_mode_16_64 0
		.amdhsa_float_denorm_mode_32 3
		.amdhsa_float_denorm_mode_16_64 3
		.amdhsa_dx10_clamp 1
		.amdhsa_ieee_mode 1
		.amdhsa_fp16_overflow 0
		.amdhsa_workgroup_processor_mode 1
		.amdhsa_memory_ordered 1
		.amdhsa_forward_progress 0
		.amdhsa_shared_vgpr_count 0
		.amdhsa_exception_fp_ieee_invalid_op 0
		.amdhsa_exception_fp_denorm_src 0
		.amdhsa_exception_fp_ieee_div_zero 0
		.amdhsa_exception_fp_ieee_overflow 0
		.amdhsa_exception_fp_ieee_underflow 0
		.amdhsa_exception_fp_ieee_inexact 0
		.amdhsa_exception_int_div_zero 0
	.end_amdhsa_kernel
	.section	.text._ZN9rocsparseL5csrsmILj128ELj64ELb0Eii21rocsparse_complex_numIfEEEv20rocsparse_operation_T3_S4_NS_24const_host_device_scalarIT4_EEPKT2_PKS4_PKS6_PS6_lPiSC_PS4_21rocsparse_index_base_20rocsparse_fill_mode_20rocsparse_diag_type_b,"axG",@progbits,_ZN9rocsparseL5csrsmILj128ELj64ELb0Eii21rocsparse_complex_numIfEEEv20rocsparse_operation_T3_S4_NS_24const_host_device_scalarIT4_EEPKT2_PKS4_PKS6_PS6_lPiSC_PS4_21rocsparse_index_base_20rocsparse_fill_mode_20rocsparse_diag_type_b,comdat
.Lfunc_end26:
	.size	_ZN9rocsparseL5csrsmILj128ELj64ELb0Eii21rocsparse_complex_numIfEEEv20rocsparse_operation_T3_S4_NS_24const_host_device_scalarIT4_EEPKT2_PKS4_PKS6_PS6_lPiSC_PS4_21rocsparse_index_base_20rocsparse_fill_mode_20rocsparse_diag_type_b, .Lfunc_end26-_ZN9rocsparseL5csrsmILj128ELj64ELb0Eii21rocsparse_complex_numIfEEEv20rocsparse_operation_T3_S4_NS_24const_host_device_scalarIT4_EEPKT2_PKS4_PKS6_PS6_lPiSC_PS4_21rocsparse_index_base_20rocsparse_fill_mode_20rocsparse_diag_type_b
                                        ; -- End function
	.section	.AMDGPU.csdata,"",@progbits
; Kernel info:
; codeLenInByte = 2056
; NumSgprs: 32
; NumVgprs: 18
; ScratchSize: 0
; MemoryBound: 0
; FloatMode: 240
; IeeeMode: 1
; LDSByteSize: 1536 bytes/workgroup (compile time only)
; SGPRBlocks: 3
; VGPRBlocks: 2
; NumSGPRsForWavesPerEU: 32
; NumVGPRsForWavesPerEU: 18
; Occupancy: 16
; WaveLimiterHint : 1
; COMPUTE_PGM_RSRC2:SCRATCH_EN: 0
; COMPUTE_PGM_RSRC2:USER_SGPR: 15
; COMPUTE_PGM_RSRC2:TRAP_HANDLER: 0
; COMPUTE_PGM_RSRC2:TGID_X_EN: 1
; COMPUTE_PGM_RSRC2:TGID_Y_EN: 0
; COMPUTE_PGM_RSRC2:TGID_Z_EN: 0
; COMPUTE_PGM_RSRC2:TIDIG_COMP_CNT: 0
	.section	.text._ZN9rocsparseL5csrsmILj256ELj64ELb1Eii21rocsparse_complex_numIfEEEv20rocsparse_operation_T3_S4_NS_24const_host_device_scalarIT4_EEPKT2_PKS4_PKS6_PS6_lPiSC_PS4_21rocsparse_index_base_20rocsparse_fill_mode_20rocsparse_diag_type_b,"axG",@progbits,_ZN9rocsparseL5csrsmILj256ELj64ELb1Eii21rocsparse_complex_numIfEEEv20rocsparse_operation_T3_S4_NS_24const_host_device_scalarIT4_EEPKT2_PKS4_PKS6_PS6_lPiSC_PS4_21rocsparse_index_base_20rocsparse_fill_mode_20rocsparse_diag_type_b,comdat
	.globl	_ZN9rocsparseL5csrsmILj256ELj64ELb1Eii21rocsparse_complex_numIfEEEv20rocsparse_operation_T3_S4_NS_24const_host_device_scalarIT4_EEPKT2_PKS4_PKS6_PS6_lPiSC_PS4_21rocsparse_index_base_20rocsparse_fill_mode_20rocsparse_diag_type_b ; -- Begin function _ZN9rocsparseL5csrsmILj256ELj64ELb1Eii21rocsparse_complex_numIfEEEv20rocsparse_operation_T3_S4_NS_24const_host_device_scalarIT4_EEPKT2_PKS4_PKS6_PS6_lPiSC_PS4_21rocsparse_index_base_20rocsparse_fill_mode_20rocsparse_diag_type_b
	.p2align	8
	.type	_ZN9rocsparseL5csrsmILj256ELj64ELb1Eii21rocsparse_complex_numIfEEEv20rocsparse_operation_T3_S4_NS_24const_host_device_scalarIT4_EEPKT2_PKS4_PKS6_PS6_lPiSC_PS4_21rocsparse_index_base_20rocsparse_fill_mode_20rocsparse_diag_type_b,@function
_ZN9rocsparseL5csrsmILj256ELj64ELb1Eii21rocsparse_complex_numIfEEEv20rocsparse_operation_T3_S4_NS_24const_host_device_scalarIT4_EEPKT2_PKS4_PKS6_PS6_lPiSC_PS4_21rocsparse_index_base_20rocsparse_fill_mode_20rocsparse_diag_type_b: ; @_ZN9rocsparseL5csrsmILj256ELj64ELb1Eii21rocsparse_complex_numIfEEEv20rocsparse_operation_T3_S4_NS_24const_host_device_scalarIT4_EEPKT2_PKS4_PKS6_PS6_lPiSC_PS4_21rocsparse_index_base_20rocsparse_fill_mode_20rocsparse_diag_type_b
; %bb.0:
	s_clause 0x2
	s_load_b128 s[4:7], s[0:1], 0x58
	s_load_b128 s[8:11], s[0:1], 0x10
	s_load_b64 s[2:3], s[0:1], 0x48
	s_waitcnt lgkmcnt(0)
	s_bitcmp1_b32 s7, 0
	s_mov_b32 s26, s8
	s_cselect_b32 s12, -1, 0
	s_delay_alu instid0(SALU_CYCLE_1)
	s_xor_b32 s7, s12, -1
	s_and_b32 vcc_lo, exec_lo, s12
	s_cbranch_vccnz .LBB27_2
; %bb.1:
	s_load_b32 s26, s[8:9], 0x0
.LBB27_2:
	s_load_b64 s[22:23], s[0:1], 0x30
	s_and_not1_b32 vcc_lo, exec_lo, s7
	s_cbranch_vccnz .LBB27_4
; %bb.3:
	s_load_b32 s9, s[8:9], 0x4
.LBB27_4:
	s_clause 0x1
	s_load_b128 s[16:19], s[0:1], 0x0
	s_load_b64 s[20:21], s[0:1], 0x38
	s_waitcnt lgkmcnt(0)
	v_cvt_f32_u32_e32 v1, s17
	s_sub_i32 s8, 0, s17
	s_delay_alu instid0(VALU_DEP_1) | instskip(SKIP_2) | instid1(VALU_DEP_1)
	v_rcp_iflag_f32_e32 v1, v1
	s_waitcnt_depctr 0xfff
	v_mul_f32_e32 v1, 0x4f7ffffe, v1
	v_cvt_u32_f32_e32 v1, v1
	s_delay_alu instid0(VALU_DEP_1) | instskip(NEXT) | instid1(VALU_DEP_1)
	v_readfirstlane_b32 s7, v1
	s_mul_i32 s8, s8, s7
	s_delay_alu instid0(SALU_CYCLE_1) | instskip(NEXT) | instid1(SALU_CYCLE_1)
	s_mul_hi_u32 s8, s7, s8
	s_add_i32 s7, s7, s8
	s_delay_alu instid0(SALU_CYCLE_1) | instskip(NEXT) | instid1(SALU_CYCLE_1)
	s_mul_hi_u32 s7, s15, s7
	s_mul_i32 s8, s7, s17
	s_add_i32 s12, s7, 1
	s_sub_i32 s8, s15, s8
	s_delay_alu instid0(SALU_CYCLE_1)
	s_sub_i32 s13, s8, s17
	s_cmp_ge_u32 s8, s17
	s_cselect_b32 s7, s12, s7
	s_cselect_b32 s8, s13, s8
	s_add_i32 s12, s7, 1
	s_cmp_ge_u32 s8, s17
	s_cselect_b32 s8, s12, s7
	s_delay_alu instid0(SALU_CYCLE_1) | instskip(SKIP_2) | instid1(SALU_CYCLE_1)
	s_mul_i32 s7, s8, s17
	v_lshl_or_b32 v1, s8, 8, v0
	s_sub_i32 s12, s15, s7
	s_ashr_i32 s13, s12, 31
	s_delay_alu instid0(VALU_DEP_1) | instskip(SKIP_1) | instid1(SALU_CYCLE_1)
	v_ashrrev_i32_e32 v2, 31, v1
	s_lshl_b64 s[12:13], s[12:13], 2
	s_add_u32 s2, s2, s12
	s_addc_u32 s3, s3, s13
	s_load_b32 s12, s[2:3], 0x0
	s_waitcnt lgkmcnt(0)
	s_ashr_i32 s13, s12, 31
	s_mul_i32 s14, s12, s20
	s_lshl_b64 s[2:3], s[12:13], 2
	v_add_co_u32 v3, vcc_lo, s14, v1
	s_add_u32 s2, s10, s2
	s_addc_u32 s3, s11, s3
	s_load_b64 s[24:25], s[2:3], 0x0
	s_mul_i32 s2, s12, s21
	s_mul_hi_u32 s3, s12, s20
	s_delay_alu instid0(SALU_CYCLE_1) | instskip(SKIP_1) | instid1(SALU_CYCLE_1)
	s_add_i32 s2, s3, s2
	s_mul_i32 s3, s13, s20
	s_add_i32 s15, s2, s3
	v_cmp_gt_i32_e64 s2, s18, v1
	v_add_co_ci_u32_e32 v4, vcc_lo, s15, v2, vcc_lo
	s_cmpk_lg_i32 s16, 0x71
	s_cbranch_scc0 .LBB27_8
; %bb.5:
	v_dual_mov_b32 v7, 0 :: v_dual_mov_b32 v8, 0
	s_mov_b32 s3, 0
	s_and_saveexec_b32 s8, s2
	s_cbranch_execz .LBB27_7
; %bb.6:
	v_lshlrev_b64 v[5:6], 3, v[3:4]
	s_delay_alu instid0(VALU_DEP_1) | instskip(NEXT) | instid1(VALU_DEP_2)
	v_add_co_u32 v5, vcc_lo, s22, v5
	v_add_co_ci_u32_e32 v6, vcc_lo, s23, v6, vcc_lo
	global_load_b64 v[5:6], v[5:6], off
	s_waitcnt vmcnt(0)
	v_mul_f32_e64 v8, v6, -s9
	s_delay_alu instid0(VALU_DEP_1) | instskip(NEXT) | instid1(VALU_DEP_1)
	v_dual_mul_f32 v7, s26, v6 :: v_dual_fmac_f32 v8, s26, v5
	v_fmac_f32_e32 v7, s9, v5
.LBB27_7:
	s_or_b32 exec_lo, exec_lo, s8
	s_load_b64 s[16:17], s[0:1], 0x40
	s_and_not1_b32 vcc_lo, exec_lo, s3
	s_cbranch_vccz .LBB27_9
	s_branch .LBB27_12
.LBB27_8:
                                        ; implicit-def: $vgpr7
                                        ; implicit-def: $vgpr8
	s_load_b64 s[16:17], s[0:1], 0x40
.LBB27_9:
	v_dual_mov_b32 v7, 0 :: v_dual_mov_b32 v8, 0
	s_and_saveexec_b32 s3, s2
	s_cbranch_execz .LBB27_11
; %bb.10:
	v_lshlrev_b64 v[3:4], 3, v[3:4]
	s_delay_alu instid0(VALU_DEP_1) | instskip(NEXT) | instid1(VALU_DEP_2)
	v_add_co_u32 v3, vcc_lo, s22, v3
	v_add_co_ci_u32_e32 v4, vcc_lo, s23, v4, vcc_lo
	global_load_b64 v[3:4], v[3:4], off
	s_waitcnt vmcnt(0)
	v_mul_f32_e64 v7, s26, -v4
	s_delay_alu instid0(VALU_DEP_1) | instskip(NEXT) | instid1(VALU_DEP_1)
	v_dual_mul_f32 v8, s9, v4 :: v_dual_fmac_f32 v7, s9, v3
	v_fmac_f32_e32 v8, s26, v3
.LBB27_11:
	s_or_b32 exec_lo, exec_lo, s3
.LBB27_12:
	v_lshlrev_b64 v[1:2], 3, v[1:2]
	v_cmp_eq_u32_e64 s3, 0, v0
	s_waitcnt lgkmcnt(0)
	s_cmp_ge_i32 s24, s25
	s_delay_alu instid0(VALU_DEP_2) | instskip(NEXT) | instid1(VALU_DEP_3)
	v_add_co_u32 v5, vcc_lo, s22, v1
	v_add_co_ci_u32_e32 v6, vcc_lo, s23, v2, vcc_lo
	s_cbranch_scc1 .LBB27_57
; %bb.13:
	s_clause 0x1
	s_load_b64 s[18:19], s[0:1], 0x50
	s_load_b128 s[8:11], s[0:1], 0x20
	s_sub_i32 s13, s24, s4
	s_sub_i32 s22, s25, s4
	v_lshl_or_b32 v9, v0, 2, 0x800
	v_dual_mov_b32 v11, 1.0 :: v_dual_lshlrev_b32 v10, 3, v0
	v_mov_b32_e32 v2, 0
	v_mov_b32_e32 v12, 0
	s_cmp_eq_u32 s6, 0
	s_mov_b32 s25, s13
	s_cselect_b32 s23, -1, 0
	s_add_i32 s24, s12, s4
	s_branch .LBB27_16
.LBB27_14:                              ;   in Loop: Header=BB27_16 Depth=1
	s_add_i32 s25, s25, 1
	s_delay_alu instid0(SALU_CYCLE_1)
	s_cmp_ge_i32 s25, s22
	s_cselect_b32 s0, -1, 0
.LBB27_15:                              ;   in Loop: Header=BB27_16 Depth=1
	v_dual_mov_b32 v7, v14 :: v_dual_mov_b32 v8, v15
	v_dual_mov_b32 v12, v4 :: v_dual_mov_b32 v11, v13
	s_and_not1_b32 vcc_lo, exec_lo, s0
	s_cbranch_vccz .LBB27_58
.LBB27_16:                              ; =>This Loop Header: Depth=1
                                        ;     Child Loop BB27_55 Depth 2
                                        ;       Child Loop BB27_56 Depth 3
	s_sub_i32 s0, s25, s13
	s_delay_alu instid0(SALU_CYCLE_1) | instskip(NEXT) | instid1(SALU_CYCLE_1)
	s_and_b32 s0, s0, 0xff
	s_cmp_lg_u32 s0, 0
	s_cbranch_scc1 .LBB27_20
; %bb.17:                               ;   in Loop: Header=BB27_16 Depth=1
	s_sub_i32 s1, s22, s25
	v_dual_mov_b32 v1, -1 :: v_dual_mov_b32 v4, 0
	v_cmp_gt_u32_e32 vcc_lo, s1, v0
	v_mov_b32_e32 v3, -1.0
	s_and_saveexec_b32 s1, vcc_lo
	s_cbranch_execz .LBB27_19
; %bb.18:                               ;   in Loop: Header=BB27_16 Depth=1
	v_add_nc_u32_e32 v1, s25, v0
	s_delay_alu instid0(VALU_DEP_1) | instskip(SKIP_2) | instid1(VALU_DEP_2)
	v_lshlrev_b64 v[3:4], 2, v[1:2]
	v_lshlrev_b64 v[13:14], 3, v[1:2]
	s_waitcnt lgkmcnt(0)
	v_add_co_u32 v3, vcc_lo, s8, v3
	s_delay_alu instid0(VALU_DEP_3)
	v_add_co_ci_u32_e32 v4, vcc_lo, s9, v4, vcc_lo
	global_load_b32 v1, v[3:4], off
	v_add_co_u32 v3, vcc_lo, s10, v13
	v_add_co_ci_u32_e32 v4, vcc_lo, s11, v14, vcc_lo
	global_load_b64 v[3:4], v[3:4], off
	s_waitcnt vmcnt(1)
	v_subrev_nc_u32_e32 v1, s4, v1
.LBB27_19:                              ;   in Loop: Header=BB27_16 Depth=1
	s_or_b32 exec_lo, exec_lo, s1
	ds_store_b32 v9, v1
	s_waitcnt vmcnt(0)
	ds_store_b64 v10, v[3:4]
.LBB27_20:                              ;   in Loop: Header=BB27_16 Depth=1
	s_lshl_b32 s1, s0, 3
	s_lshl_b32 s0, s0, 2
	v_mov_b32_e32 v1, s1
	v_mov_b32_e32 v13, s0
	s_waitcnt lgkmcnt(0)
	s_waitcnt_vscnt null, 0x0
	s_barrier
	buffer_gl0_inv
	ds_load_b64 v[3:4], v1
	ds_load_b32 v1, v13 offset:2048
	s_waitcnt lgkmcnt(1)
	v_cmp_eq_f32_e32 vcc_lo, 0, v3
	v_cmp_eq_f32_e64 s0, 0, v4
	s_waitcnt lgkmcnt(0)
	v_readfirstlane_b32 s26, v1
	v_cmp_ne_u32_e64 s1, s12, v1
	s_delay_alu instid0(VALU_DEP_3) | instskip(NEXT) | instid1(VALU_DEP_2)
	s_and_b32 s0, vcc_lo, s0
	s_cmp_eq_u32 s26, s12
	s_cselect_b32 s28, -1, 0
	s_delay_alu instid0(SALU_CYCLE_1) | instskip(NEXT) | instid1(SALU_CYCLE_1)
	s_and_b32 s0, s0, s28
	s_and_b32 s0, s23, s0
	s_delay_alu instid0(SALU_CYCLE_1) | instskip(SKIP_2) | instid1(SALU_CYCLE_1)
	v_cndmask_b32_e64 v1, v4, 0, s0
	v_cndmask_b32_e64 v3, v3, 1.0, s0
	s_and_b32 s27, s3, s0
	s_and_saveexec_b32 s0, s27
	s_cbranch_execz .LBB27_24
; %bb.21:                               ;   in Loop: Header=BB27_16 Depth=1
	v_mbcnt_lo_u32_b32 v1, exec_lo, 0
	s_mov_b32 s27, exec_lo
	s_delay_alu instid0(VALU_DEP_1)
	v_cmpx_eq_u32_e32 0, v1
	s_cbranch_execz .LBB27_23
; %bb.22:                               ;   in Loop: Header=BB27_16 Depth=1
	v_mov_b32_e32 v1, s24
	global_atomic_min_i32 v2, v1, s[18:19]
.LBB27_23:                              ;   in Loop: Header=BB27_16 Depth=1
	s_or_b32 exec_lo, exec_lo, s27
	v_mov_b32_e32 v1, 0
	v_mov_b32_e32 v3, 1.0
.LBB27_24:                              ;   in Loop: Header=BB27_16 Depth=1
	s_or_b32 exec_lo, exec_lo, s0
	s_cmp_lt_i32 s5, 1
	s_mov_b32 s0, 0
	s_cbranch_scc1 .LBB27_30
; %bb.25:                               ;   in Loop: Header=BB27_16 Depth=1
	s_cmp_eq_u32 s5, 1
	s_cbranch_scc0 .LBB27_31
; %bb.26:                               ;   in Loop: Header=BB27_16 Depth=1
	v_dual_mov_b32 v4, v12 :: v_dual_mov_b32 v13, v11
	s_cmp_ge_i32 s26, s12
	s_mov_b32 s27, 0
	s_cbranch_scc0 .LBB27_33
; %bb.27:                               ;   in Loop: Header=BB27_16 Depth=1
	s_and_b32 vcc_lo, exec_lo, s28
	s_cbranch_vccz .LBB27_32
; %bb.28:                               ;   in Loop: Header=BB27_16 Depth=1
	v_dual_mov_b32 v4, v12 :: v_dual_mov_b32 v13, v11
	s_and_not1_b32 vcc_lo, exec_lo, s23
	s_cbranch_vccnz .LBB27_33
; %bb.29:                               ;   in Loop: Header=BB27_16 Depth=1
	v_mul_f32_e32 v4, v1, v1
	s_delay_alu instid0(VALU_DEP_1) | instskip(NEXT) | instid1(VALU_DEP_1)
	v_fmac_f32_e32 v4, v3, v3
	v_div_scale_f32 v13, null, v4, v4, 1.0
	v_div_scale_f32 v16, vcc_lo, 1.0, v4, 1.0
	s_delay_alu instid0(VALU_DEP_2) | instskip(SKIP_2) | instid1(VALU_DEP_1)
	v_rcp_f32_e32 v14, v13
	s_waitcnt_depctr 0xfff
	v_fma_f32 v15, -v13, v14, 1.0
	v_fmac_f32_e32 v14, v15, v14
	s_delay_alu instid0(VALU_DEP_1) | instskip(NEXT) | instid1(VALU_DEP_1)
	v_mul_f32_e32 v15, v16, v14
	v_fma_f32 v17, -v13, v15, v16
	s_delay_alu instid0(VALU_DEP_1) | instskip(NEXT) | instid1(VALU_DEP_1)
	v_fmac_f32_e32 v15, v17, v14
	v_fma_f32 v13, -v13, v15, v16
	s_delay_alu instid0(VALU_DEP_1) | instskip(SKIP_2) | instid1(VALU_DEP_3)
	v_div_fmas_f32 v13, v13, v14, v15
	v_fma_f32 v14, 0, v1, v3
	v_fma_f32 v15, v3, 0, -v1
	v_div_fixup_f32 v4, v13, v4, 1.0
	s_delay_alu instid0(VALU_DEP_1) | instskip(NEXT) | instid1(VALU_DEP_3)
	v_mul_f32_e32 v13, v14, v4
	v_mul_f32_e32 v4, v15, v4
	s_branch .LBB27_33
.LBB27_30:                              ;   in Loop: Header=BB27_16 Depth=1
	s_mov_b32 s27, 0
                                        ; implicit-def: $sgpr28
                                        ; implicit-def: $vgpr14
                                        ; implicit-def: $vgpr15
                                        ; implicit-def: $vgpr4
                                        ; implicit-def: $vgpr13
	s_cbranch_execnz .LBB27_34
	s_branch .LBB27_36
.LBB27_31:                              ;   in Loop: Header=BB27_16 Depth=1
	s_mov_b32 s27, -1
                                        ; implicit-def: $sgpr28
                                        ; implicit-def: $vgpr14
                                        ; implicit-def: $vgpr15
                                        ; implicit-def: $vgpr4
                                        ; implicit-def: $vgpr13
	s_branch .LBB27_36
.LBB27_32:                              ;   in Loop: Header=BB27_16 Depth=1
	s_mov_b32 s27, -1
                                        ; implicit-def: $vgpr4
                                        ; implicit-def: $vgpr13
.LBB27_33:                              ;   in Loop: Header=BB27_16 Depth=1
	v_dual_mov_b32 v14, v7 :: v_dual_mov_b32 v15, v8
	s_mov_b32 s28, 4
	s_branch .LBB27_36
.LBB27_34:                              ;   in Loop: Header=BB27_16 Depth=1
	s_cmp_eq_u32 s5, 0
	s_cbranch_scc1 .LBB27_40
; %bb.35:                               ;   in Loop: Header=BB27_16 Depth=1
	s_mov_b32 s27, -1
                                        ; implicit-def: $sgpr28
                                        ; implicit-def: $vgpr14
                                        ; implicit-def: $vgpr15
                                        ; implicit-def: $vgpr4
                                        ; implicit-def: $vgpr13
.LBB27_36:                              ;   in Loop: Header=BB27_16 Depth=1
	s_delay_alu instid0(SALU_CYCLE_1)
	s_and_b32 vcc_lo, exec_lo, s27
	s_cbranch_vccnz .LBB27_43
.LBB27_37:                              ;   in Loop: Header=BB27_16 Depth=1
	s_and_b32 vcc_lo, exec_lo, s0
	s_cbranch_vccnz .LBB27_48
.LBB27_38:                              ;   in Loop: Header=BB27_16 Depth=1
	s_cmp_gt_i32 s28, 3
	s_mov_b32 s0, -1
	s_cbranch_scc1 .LBB27_51
.LBB27_39:                              ;   in Loop: Header=BB27_16 Depth=1
	s_cmp_eq_u32 s28, 0
	s_cselect_b32 s1, -1, 0
	s_delay_alu instid0(SALU_CYCLE_1)
	s_and_not1_b32 vcc_lo, exec_lo, s1
	s_cbranch_vccz .LBB27_14
	s_branch .LBB27_52
.LBB27_40:                              ;   in Loop: Header=BB27_16 Depth=1
	s_cmp_le_i32 s26, s12
	s_mov_b32 s27, 0
	s_cbranch_scc0 .LBB27_42
; %bb.41:                               ;   in Loop: Header=BB27_16 Depth=1
	s_mov_b32 s0, -1
	s_mov_b32 s27, s1
.LBB27_42:                              ;   in Loop: Header=BB27_16 Depth=1
	v_dual_mov_b32 v14, v7 :: v_dual_mov_b32 v15, v8
	v_dual_mov_b32 v4, v12 :: v_dual_mov_b32 v13, v11
	s_mov_b32 s28, 2
	s_and_b32 vcc_lo, exec_lo, s27
	s_cbranch_vccz .LBB27_37
.LBB27_43:                              ;   in Loop: Header=BB27_16 Depth=1
	s_and_saveexec_b32 s27, s3
	s_cbranch_execz .LBB27_45
; %bb.44:                               ;   in Loop: Header=BB27_16 Depth=1
	s_add_i32 s0, s26, s7
	s_delay_alu instid0(SALU_CYCLE_1) | instskip(NEXT) | instid1(SALU_CYCLE_1)
	s_ashr_i32 s1, s0, 31
	s_lshl_b64 s[0:1], s[0:1], 2
	s_delay_alu instid0(SALU_CYCLE_1)
	s_add_u32 s0, s16, s0
	s_addc_u32 s1, s17, s1
	global_load_b32 v4, v2, s[0:1] glc
	s_waitcnt vmcnt(0)
	v_cmp_ne_u32_e32 vcc_lo, 0, v4
	s_cbranch_vccz .LBB27_53
.LBB27_45:                              ;   in Loop: Header=BB27_16 Depth=1
	s_or_b32 exec_lo, exec_lo, s27
	v_dual_mov_b32 v14, 0 :: v_dual_mov_b32 v15, 0
	s_mov_b32 s0, 0
	s_waitcnt_vscnt null, 0x0
	s_barrier
	buffer_gl0_inv
	buffer_gl1_inv
	buffer_gl0_inv
	s_and_saveexec_b32 s1, s2
	s_cbranch_execz .LBB27_47
; %bb.46:                               ;   in Loop: Header=BB27_16 Depth=1
	s_mul_i32 s27, s26, s21
	s_mul_hi_u32 s28, s26, s20
	s_ashr_i32 s29, s26, 31
	s_add_i32 s27, s28, s27
	s_mul_i32 s29, s29, s20
	s_mul_i32 s26, s26, s20
	s_add_i32 s27, s27, s29
	s_delay_alu instid0(SALU_CYCLE_1) | instskip(NEXT) | instid1(SALU_CYCLE_1)
	s_lshl_b64 s[26:27], s[26:27], 3
	v_add_co_u32 v13, vcc_lo, v5, s26
	v_add_co_ci_u32_e32 v14, vcc_lo, s27, v6, vcc_lo
	global_load_b64 v[13:14], v[13:14], off
	s_waitcnt vmcnt(0)
	v_fma_f32 v15, -v3, v13, v8
	v_fma_f32 v4, -v1, v13, v7
	s_delay_alu instid0(VALU_DEP_2) | instskip(NEXT) | instid1(VALU_DEP_2)
	v_fmac_f32_e32 v15, v1, v14
	v_fma_f32 v14, -v3, v14, v4
.LBB27_47:                              ;   in Loop: Header=BB27_16 Depth=1
	s_or_b32 exec_lo, exec_lo, s1
	v_dual_mov_b32 v4, v12 :: v_dual_mov_b32 v13, v11
	s_mov_b32 s28, 0
	s_and_b32 vcc_lo, exec_lo, s0
	s_cbranch_vccz .LBB27_38
.LBB27_48:                              ;   in Loop: Header=BB27_16 Depth=1
	s_and_not1_b32 vcc_lo, exec_lo, s23
	s_cbranch_vccnz .LBB27_50
; %bb.49:                               ;   in Loop: Header=BB27_16 Depth=1
	v_mul_f32_e32 v4, v1, v1
	s_delay_alu instid0(VALU_DEP_1) | instskip(NEXT) | instid1(VALU_DEP_1)
	v_fmac_f32_e32 v4, v3, v3
	v_div_scale_f32 v11, null, v4, v4, 1.0
	v_div_scale_f32 v14, vcc_lo, 1.0, v4, 1.0
	s_delay_alu instid0(VALU_DEP_2) | instskip(SKIP_2) | instid1(VALU_DEP_1)
	v_rcp_f32_e32 v12, v11
	s_waitcnt_depctr 0xfff
	v_fma_f32 v13, -v11, v12, 1.0
	v_fmac_f32_e32 v12, v13, v12
	s_delay_alu instid0(VALU_DEP_1) | instskip(NEXT) | instid1(VALU_DEP_1)
	v_mul_f32_e32 v13, v14, v12
	v_fma_f32 v15, -v11, v13, v14
	s_delay_alu instid0(VALU_DEP_1) | instskip(NEXT) | instid1(VALU_DEP_1)
	v_fmac_f32_e32 v13, v15, v12
	v_fma_f32 v11, -v11, v13, v14
	s_delay_alu instid0(VALU_DEP_1) | instskip(SKIP_2) | instid1(VALU_DEP_3)
	v_div_fmas_f32 v11, v11, v12, v13
	v_fma_f32 v12, 0, v1, v3
	v_fma_f32 v1, v3, 0, -v1
	v_div_fixup_f32 v4, v11, v4, 1.0
	s_delay_alu instid0(VALU_DEP_1) | instskip(NEXT) | instid1(VALU_DEP_3)
	v_mul_f32_e32 v11, v12, v4
	v_mul_f32_e32 v12, v1, v4
.LBB27_50:                              ;   in Loop: Header=BB27_16 Depth=1
	s_delay_alu instid0(VALU_DEP_1) | instskip(SKIP_2) | instid1(SALU_CYCLE_1)
	v_dual_mov_b32 v13, v11 :: v_dual_mov_b32 v4, v12
	v_dual_mov_b32 v15, v8 :: v_dual_mov_b32 v14, v7
	s_mov_b32 s28, 2
	s_cmp_gt_i32 s28, 3
	s_mov_b32 s0, -1
	s_cbranch_scc0 .LBB27_39
.LBB27_51:                              ;   in Loop: Header=BB27_16 Depth=1
	s_branch .LBB27_14
.LBB27_52:                              ;   in Loop: Header=BB27_16 Depth=1
                                        ; implicit-def: $sgpr25
	s_branch .LBB27_15
.LBB27_53:                              ;   in Loop: Header=BB27_16 Depth=1
	s_mov_b32 s28, 0
	s_branch .LBB27_55
	.p2align	6
.LBB27_54:                              ;   in Loop: Header=BB27_55 Depth=2
	global_load_b32 v4, v2, s[0:1] glc
	s_cmpk_lt_u32 s28, 0xf43
	s_cselect_b32 s29, -1, 0
	s_delay_alu instid0(SALU_CYCLE_1)
	s_cmp_lg_u32 s29, 0
	s_addc_u32 s28, s28, 0
	s_waitcnt vmcnt(0)
	v_cmp_ne_u32_e32 vcc_lo, 0, v4
	s_cbranch_vccnz .LBB27_45
.LBB27_55:                              ;   Parent Loop BB27_16 Depth=1
                                        ; =>  This Loop Header: Depth=2
                                        ;       Child Loop BB27_56 Depth 3
	s_cmp_eq_u32 s28, 0
	s_mov_b32 s29, s28
	s_cbranch_scc1 .LBB27_54
.LBB27_56:                              ;   Parent Loop BB27_16 Depth=1
                                        ;     Parent Loop BB27_55 Depth=2
                                        ; =>    This Inner Loop Header: Depth=3
	s_add_i32 s29, s29, -1
	s_sleep 1
	s_cmp_eq_u32 s29, 0
	s_cbranch_scc0 .LBB27_56
	s_branch .LBB27_54
.LBB27_57:
	v_dual_mov_b32 v4, 0 :: v_dual_mov_b32 v13, 1.0
	s_and_saveexec_b32 s0, s2
	s_cbranch_execnz .LBB27_59
	s_branch .LBB27_60
.LBB27_58:
	v_dual_mov_b32 v7, v14 :: v_dual_mov_b32 v8, v15
	s_and_saveexec_b32 s0, s2
	s_cbranch_execz .LBB27_60
.LBB27_59:
	s_delay_alu instid0(VALU_DEP_1) | instskip(NEXT) | instid1(VALU_DEP_2)
	v_mul_f32_e32 v3, v4, v8
	v_mul_f32_e64 v9, v4, -v7
	s_lshl_b64 s[2:3], s[14:15], 3
	s_cmp_eq_u32 s6, 0
	v_add_co_u32 v1, vcc_lo, v5, s2
	v_add_co_ci_u32_e32 v2, vcc_lo, s3, v6, vcc_lo
	v_fmac_f32_e32 v3, v7, v13
	s_cselect_b32 vcc_lo, -1, 0
	s_delay_alu instid0(VALU_DEP_1) | instskip(NEXT) | instid1(VALU_DEP_1)
	v_dual_fmac_f32 v9, v8, v13 :: v_dual_cndmask_b32 v4, v7, v3
	v_cndmask_b32_e32 v3, v8, v9, vcc_lo
	global_store_b64 v[1:2], v[3:4], off
.LBB27_60:
	s_or_b32 exec_lo, exec_lo, s0
	s_waitcnt_vscnt null, 0x0
	buffer_gl1_inv
	buffer_gl0_inv
	s_barrier
	buffer_gl0_inv
	s_mov_b32 s0, exec_lo
	v_cmpx_eq_u32_e32 0, v0
	s_cbranch_execz .LBB27_62
; %bb.61:
	s_add_i32 s0, s12, s7
	v_dual_mov_b32 v0, 0 :: v_dual_mov_b32 v1, 1
	s_ashr_i32 s1, s0, 31
	s_delay_alu instid0(SALU_CYCLE_1) | instskip(NEXT) | instid1(SALU_CYCLE_1)
	s_lshl_b64 s[0:1], s[0:1], 2
	s_add_u32 s0, s16, s0
	s_addc_u32 s1, s17, s1
	global_store_b32 v0, v1, s[0:1]
.LBB27_62:
	s_nop 0
	s_sendmsg sendmsg(MSG_DEALLOC_VGPRS)
	s_endpgm
	.section	.rodata,"a",@progbits
	.p2align	6, 0x0
	.amdhsa_kernel _ZN9rocsparseL5csrsmILj256ELj64ELb1Eii21rocsparse_complex_numIfEEEv20rocsparse_operation_T3_S4_NS_24const_host_device_scalarIT4_EEPKT2_PKS4_PKS6_PS6_lPiSC_PS4_21rocsparse_index_base_20rocsparse_fill_mode_20rocsparse_diag_type_b
		.amdhsa_group_segment_fixed_size 3072
		.amdhsa_private_segment_fixed_size 0
		.amdhsa_kernarg_size 104
		.amdhsa_user_sgpr_count 15
		.amdhsa_user_sgpr_dispatch_ptr 0
		.amdhsa_user_sgpr_queue_ptr 0
		.amdhsa_user_sgpr_kernarg_segment_ptr 1
		.amdhsa_user_sgpr_dispatch_id 0
		.amdhsa_user_sgpr_private_segment_size 0
		.amdhsa_wavefront_size32 1
		.amdhsa_uses_dynamic_stack 0
		.amdhsa_enable_private_segment 0
		.amdhsa_system_sgpr_workgroup_id_x 1
		.amdhsa_system_sgpr_workgroup_id_y 0
		.amdhsa_system_sgpr_workgroup_id_z 0
		.amdhsa_system_sgpr_workgroup_info 0
		.amdhsa_system_vgpr_workitem_id 0
		.amdhsa_next_free_vgpr 18
		.amdhsa_next_free_sgpr 30
		.amdhsa_reserve_vcc 1
		.amdhsa_float_round_mode_32 0
		.amdhsa_float_round_mode_16_64 0
		.amdhsa_float_denorm_mode_32 3
		.amdhsa_float_denorm_mode_16_64 3
		.amdhsa_dx10_clamp 1
		.amdhsa_ieee_mode 1
		.amdhsa_fp16_overflow 0
		.amdhsa_workgroup_processor_mode 1
		.amdhsa_memory_ordered 1
		.amdhsa_forward_progress 0
		.amdhsa_shared_vgpr_count 0
		.amdhsa_exception_fp_ieee_invalid_op 0
		.amdhsa_exception_fp_denorm_src 0
		.amdhsa_exception_fp_ieee_div_zero 0
		.amdhsa_exception_fp_ieee_overflow 0
		.amdhsa_exception_fp_ieee_underflow 0
		.amdhsa_exception_fp_ieee_inexact 0
		.amdhsa_exception_int_div_zero 0
	.end_amdhsa_kernel
	.section	.text._ZN9rocsparseL5csrsmILj256ELj64ELb1Eii21rocsparse_complex_numIfEEEv20rocsparse_operation_T3_S4_NS_24const_host_device_scalarIT4_EEPKT2_PKS4_PKS6_PS6_lPiSC_PS4_21rocsparse_index_base_20rocsparse_fill_mode_20rocsparse_diag_type_b,"axG",@progbits,_ZN9rocsparseL5csrsmILj256ELj64ELb1Eii21rocsparse_complex_numIfEEEv20rocsparse_operation_T3_S4_NS_24const_host_device_scalarIT4_EEPKT2_PKS4_PKS6_PS6_lPiSC_PS4_21rocsparse_index_base_20rocsparse_fill_mode_20rocsparse_diag_type_b,comdat
.Lfunc_end27:
	.size	_ZN9rocsparseL5csrsmILj256ELj64ELb1Eii21rocsparse_complex_numIfEEEv20rocsparse_operation_T3_S4_NS_24const_host_device_scalarIT4_EEPKT2_PKS4_PKS6_PS6_lPiSC_PS4_21rocsparse_index_base_20rocsparse_fill_mode_20rocsparse_diag_type_b, .Lfunc_end27-_ZN9rocsparseL5csrsmILj256ELj64ELb1Eii21rocsparse_complex_numIfEEEv20rocsparse_operation_T3_S4_NS_24const_host_device_scalarIT4_EEPKT2_PKS4_PKS6_PS6_lPiSC_PS4_21rocsparse_index_base_20rocsparse_fill_mode_20rocsparse_diag_type_b
                                        ; -- End function
	.section	.AMDGPU.csdata,"",@progbits
; Kernel info:
; codeLenInByte = 2116
; NumSgprs: 32
; NumVgprs: 18
; ScratchSize: 0
; MemoryBound: 0
; FloatMode: 240
; IeeeMode: 1
; LDSByteSize: 3072 bytes/workgroup (compile time only)
; SGPRBlocks: 3
; VGPRBlocks: 2
; NumSGPRsForWavesPerEU: 32
; NumVGPRsForWavesPerEU: 18
; Occupancy: 16
; WaveLimiterHint : 1
; COMPUTE_PGM_RSRC2:SCRATCH_EN: 0
; COMPUTE_PGM_RSRC2:USER_SGPR: 15
; COMPUTE_PGM_RSRC2:TRAP_HANDLER: 0
; COMPUTE_PGM_RSRC2:TGID_X_EN: 1
; COMPUTE_PGM_RSRC2:TGID_Y_EN: 0
; COMPUTE_PGM_RSRC2:TGID_Z_EN: 0
; COMPUTE_PGM_RSRC2:TIDIG_COMP_CNT: 0
	.section	.text._ZN9rocsparseL5csrsmILj256ELj64ELb0Eii21rocsparse_complex_numIfEEEv20rocsparse_operation_T3_S4_NS_24const_host_device_scalarIT4_EEPKT2_PKS4_PKS6_PS6_lPiSC_PS4_21rocsparse_index_base_20rocsparse_fill_mode_20rocsparse_diag_type_b,"axG",@progbits,_ZN9rocsparseL5csrsmILj256ELj64ELb0Eii21rocsparse_complex_numIfEEEv20rocsparse_operation_T3_S4_NS_24const_host_device_scalarIT4_EEPKT2_PKS4_PKS6_PS6_lPiSC_PS4_21rocsparse_index_base_20rocsparse_fill_mode_20rocsparse_diag_type_b,comdat
	.globl	_ZN9rocsparseL5csrsmILj256ELj64ELb0Eii21rocsparse_complex_numIfEEEv20rocsparse_operation_T3_S4_NS_24const_host_device_scalarIT4_EEPKT2_PKS4_PKS6_PS6_lPiSC_PS4_21rocsparse_index_base_20rocsparse_fill_mode_20rocsparse_diag_type_b ; -- Begin function _ZN9rocsparseL5csrsmILj256ELj64ELb0Eii21rocsparse_complex_numIfEEEv20rocsparse_operation_T3_S4_NS_24const_host_device_scalarIT4_EEPKT2_PKS4_PKS6_PS6_lPiSC_PS4_21rocsparse_index_base_20rocsparse_fill_mode_20rocsparse_diag_type_b
	.p2align	8
	.type	_ZN9rocsparseL5csrsmILj256ELj64ELb0Eii21rocsparse_complex_numIfEEEv20rocsparse_operation_T3_S4_NS_24const_host_device_scalarIT4_EEPKT2_PKS4_PKS6_PS6_lPiSC_PS4_21rocsparse_index_base_20rocsparse_fill_mode_20rocsparse_diag_type_b,@function
_ZN9rocsparseL5csrsmILj256ELj64ELb0Eii21rocsparse_complex_numIfEEEv20rocsparse_operation_T3_S4_NS_24const_host_device_scalarIT4_EEPKT2_PKS4_PKS6_PS6_lPiSC_PS4_21rocsparse_index_base_20rocsparse_fill_mode_20rocsparse_diag_type_b: ; @_ZN9rocsparseL5csrsmILj256ELj64ELb0Eii21rocsparse_complex_numIfEEEv20rocsparse_operation_T3_S4_NS_24const_host_device_scalarIT4_EEPKT2_PKS4_PKS6_PS6_lPiSC_PS4_21rocsparse_index_base_20rocsparse_fill_mode_20rocsparse_diag_type_b
; %bb.0:
	s_clause 0x2
	s_load_b128 s[4:7], s[0:1], 0x58
	s_load_b128 s[8:11], s[0:1], 0x10
	s_load_b64 s[2:3], s[0:1], 0x48
	s_waitcnt lgkmcnt(0)
	s_bitcmp1_b32 s7, 0
	s_mov_b32 s26, s8
	s_cselect_b32 s12, -1, 0
	s_delay_alu instid0(SALU_CYCLE_1)
	s_xor_b32 s7, s12, -1
	s_and_b32 vcc_lo, exec_lo, s12
	s_cbranch_vccnz .LBB28_2
; %bb.1:
	s_load_b32 s26, s[8:9], 0x0
.LBB28_2:
	s_load_b64 s[22:23], s[0:1], 0x30
	s_and_not1_b32 vcc_lo, exec_lo, s7
	s_cbranch_vccnz .LBB28_4
; %bb.3:
	s_load_b32 s9, s[8:9], 0x4
.LBB28_4:
	s_clause 0x1
	s_load_b128 s[16:19], s[0:1], 0x0
	s_load_b64 s[20:21], s[0:1], 0x38
	s_waitcnt lgkmcnt(0)
	v_cvt_f32_u32_e32 v1, s17
	s_sub_i32 s8, 0, s17
	s_delay_alu instid0(VALU_DEP_1) | instskip(SKIP_2) | instid1(VALU_DEP_1)
	v_rcp_iflag_f32_e32 v1, v1
	s_waitcnt_depctr 0xfff
	v_mul_f32_e32 v1, 0x4f7ffffe, v1
	v_cvt_u32_f32_e32 v1, v1
	s_delay_alu instid0(VALU_DEP_1) | instskip(NEXT) | instid1(VALU_DEP_1)
	v_readfirstlane_b32 s7, v1
	s_mul_i32 s8, s8, s7
	s_delay_alu instid0(SALU_CYCLE_1) | instskip(NEXT) | instid1(SALU_CYCLE_1)
	s_mul_hi_u32 s8, s7, s8
	s_add_i32 s7, s7, s8
	s_delay_alu instid0(SALU_CYCLE_1) | instskip(NEXT) | instid1(SALU_CYCLE_1)
	s_mul_hi_u32 s7, s15, s7
	s_mul_i32 s8, s7, s17
	s_add_i32 s12, s7, 1
	s_sub_i32 s8, s15, s8
	s_delay_alu instid0(SALU_CYCLE_1)
	s_sub_i32 s13, s8, s17
	s_cmp_ge_u32 s8, s17
	s_cselect_b32 s7, s12, s7
	s_cselect_b32 s8, s13, s8
	s_add_i32 s12, s7, 1
	s_cmp_ge_u32 s8, s17
	s_cselect_b32 s8, s12, s7
	s_delay_alu instid0(SALU_CYCLE_1) | instskip(SKIP_2) | instid1(SALU_CYCLE_1)
	s_mul_i32 s7, s8, s17
	v_lshl_or_b32 v1, s8, 8, v0
	s_sub_i32 s12, s15, s7
	s_ashr_i32 s13, s12, 31
	s_delay_alu instid0(VALU_DEP_1) | instskip(SKIP_1) | instid1(SALU_CYCLE_1)
	v_ashrrev_i32_e32 v2, 31, v1
	s_lshl_b64 s[12:13], s[12:13], 2
	s_add_u32 s2, s2, s12
	s_addc_u32 s3, s3, s13
	s_load_b32 s12, s[2:3], 0x0
	s_waitcnt lgkmcnt(0)
	s_ashr_i32 s13, s12, 31
	s_mul_i32 s14, s12, s20
	s_lshl_b64 s[2:3], s[12:13], 2
	v_add_co_u32 v3, vcc_lo, s14, v1
	s_add_u32 s2, s10, s2
	s_addc_u32 s3, s11, s3
	s_load_b64 s[24:25], s[2:3], 0x0
	s_mul_i32 s2, s12, s21
	s_mul_hi_u32 s3, s12, s20
	s_delay_alu instid0(SALU_CYCLE_1) | instskip(SKIP_1) | instid1(SALU_CYCLE_1)
	s_add_i32 s2, s3, s2
	s_mul_i32 s3, s13, s20
	s_add_i32 s15, s2, s3
	v_cmp_gt_i32_e64 s2, s18, v1
	v_add_co_ci_u32_e32 v4, vcc_lo, s15, v2, vcc_lo
	s_cmpk_lg_i32 s16, 0x71
	s_cbranch_scc0 .LBB28_8
; %bb.5:
	v_dual_mov_b32 v7, 0 :: v_dual_mov_b32 v8, 0
	s_mov_b32 s3, 0
	s_and_saveexec_b32 s8, s2
	s_cbranch_execz .LBB28_7
; %bb.6:
	v_lshlrev_b64 v[5:6], 3, v[3:4]
	s_delay_alu instid0(VALU_DEP_1) | instskip(NEXT) | instid1(VALU_DEP_2)
	v_add_co_u32 v5, vcc_lo, s22, v5
	v_add_co_ci_u32_e32 v6, vcc_lo, s23, v6, vcc_lo
	global_load_b64 v[5:6], v[5:6], off
	s_waitcnt vmcnt(0)
	v_mul_f32_e64 v8, v6, -s9
	s_delay_alu instid0(VALU_DEP_1) | instskip(NEXT) | instid1(VALU_DEP_1)
	v_dual_mul_f32 v7, s26, v6 :: v_dual_fmac_f32 v8, s26, v5
	v_fmac_f32_e32 v7, s9, v5
.LBB28_7:
	s_or_b32 exec_lo, exec_lo, s8
	s_load_b64 s[16:17], s[0:1], 0x40
	s_and_not1_b32 vcc_lo, exec_lo, s3
	s_cbranch_vccz .LBB28_9
	s_branch .LBB28_12
.LBB28_8:
                                        ; implicit-def: $vgpr7
                                        ; implicit-def: $vgpr8
	s_load_b64 s[16:17], s[0:1], 0x40
.LBB28_9:
	v_dual_mov_b32 v7, 0 :: v_dual_mov_b32 v8, 0
	s_and_saveexec_b32 s3, s2
	s_cbranch_execz .LBB28_11
; %bb.10:
	v_lshlrev_b64 v[3:4], 3, v[3:4]
	s_delay_alu instid0(VALU_DEP_1) | instskip(NEXT) | instid1(VALU_DEP_2)
	v_add_co_u32 v3, vcc_lo, s22, v3
	v_add_co_ci_u32_e32 v4, vcc_lo, s23, v4, vcc_lo
	global_load_b64 v[3:4], v[3:4], off
	s_waitcnt vmcnt(0)
	v_mul_f32_e64 v7, s26, -v4
	s_delay_alu instid0(VALU_DEP_1) | instskip(NEXT) | instid1(VALU_DEP_1)
	v_dual_mul_f32 v8, s9, v4 :: v_dual_fmac_f32 v7, s9, v3
	v_fmac_f32_e32 v8, s26, v3
.LBB28_11:
	s_or_b32 exec_lo, exec_lo, s3
.LBB28_12:
	v_lshlrev_b64 v[1:2], 3, v[1:2]
	v_cmp_eq_u32_e64 s3, 0, v0
	s_waitcnt lgkmcnt(0)
	s_cmp_ge_i32 s24, s25
	s_delay_alu instid0(VALU_DEP_2) | instskip(NEXT) | instid1(VALU_DEP_3)
	v_add_co_u32 v5, vcc_lo, s22, v1
	v_add_co_ci_u32_e32 v6, vcc_lo, s23, v2, vcc_lo
	s_cbranch_scc1 .LBB28_54
; %bb.13:
	s_clause 0x1
	s_load_b64 s[18:19], s[0:1], 0x50
	s_load_b128 s[8:11], s[0:1], 0x20
	s_sub_i32 s13, s24, s4
	s_sub_i32 s22, s25, s4
	v_lshl_or_b32 v9, v0, 2, 0x800
	v_dual_mov_b32 v11, 1.0 :: v_dual_lshlrev_b32 v10, 3, v0
	v_mov_b32_e32 v2, 0
	v_mov_b32_e32 v12, 0
	s_cmp_eq_u32 s6, 0
	s_mov_b32 s25, s13
	s_cselect_b32 s23, -1, 0
	s_add_i32 s24, s12, s4
	s_branch .LBB28_16
.LBB28_14:                              ;   in Loop: Header=BB28_16 Depth=1
	s_add_i32 s25, s25, 1
	s_delay_alu instid0(SALU_CYCLE_1)
	s_cmp_ge_i32 s25, s22
	s_cselect_b32 s0, -1, 0
.LBB28_15:                              ;   in Loop: Header=BB28_16 Depth=1
	v_dual_mov_b32 v7, v14 :: v_dual_mov_b32 v8, v15
	v_dual_mov_b32 v12, v4 :: v_dual_mov_b32 v11, v13
	s_and_not1_b32 vcc_lo, exec_lo, s0
	s_cbranch_vccz .LBB28_55
.LBB28_16:                              ; =>This Loop Header: Depth=1
                                        ;     Child Loop BB28_45 Depth 2
	s_sub_i32 s0, s25, s13
	s_delay_alu instid0(SALU_CYCLE_1) | instskip(NEXT) | instid1(SALU_CYCLE_1)
	s_and_b32 s0, s0, 0xff
	s_cmp_lg_u32 s0, 0
	s_cbranch_scc1 .LBB28_20
; %bb.17:                               ;   in Loop: Header=BB28_16 Depth=1
	s_sub_i32 s1, s22, s25
	v_dual_mov_b32 v1, -1 :: v_dual_mov_b32 v4, 0
	v_cmp_gt_u32_e32 vcc_lo, s1, v0
	v_mov_b32_e32 v3, -1.0
	s_and_saveexec_b32 s1, vcc_lo
	s_cbranch_execz .LBB28_19
; %bb.18:                               ;   in Loop: Header=BB28_16 Depth=1
	v_add_nc_u32_e32 v1, s25, v0
	s_delay_alu instid0(VALU_DEP_1) | instskip(SKIP_2) | instid1(VALU_DEP_2)
	v_lshlrev_b64 v[3:4], 2, v[1:2]
	v_lshlrev_b64 v[13:14], 3, v[1:2]
	s_waitcnt lgkmcnt(0)
	v_add_co_u32 v3, vcc_lo, s8, v3
	s_delay_alu instid0(VALU_DEP_3)
	v_add_co_ci_u32_e32 v4, vcc_lo, s9, v4, vcc_lo
	global_load_b32 v1, v[3:4], off
	v_add_co_u32 v3, vcc_lo, s10, v13
	v_add_co_ci_u32_e32 v4, vcc_lo, s11, v14, vcc_lo
	global_load_b64 v[3:4], v[3:4], off
	s_waitcnt vmcnt(1)
	v_subrev_nc_u32_e32 v1, s4, v1
.LBB28_19:                              ;   in Loop: Header=BB28_16 Depth=1
	s_or_b32 exec_lo, exec_lo, s1
	ds_store_b32 v9, v1
	s_waitcnt vmcnt(0)
	ds_store_b64 v10, v[3:4]
.LBB28_20:                              ;   in Loop: Header=BB28_16 Depth=1
	s_lshl_b32 s1, s0, 3
	s_lshl_b32 s0, s0, 2
	v_mov_b32_e32 v1, s1
	v_mov_b32_e32 v13, s0
	s_waitcnt lgkmcnt(0)
	s_waitcnt_vscnt null, 0x0
	s_barrier
	buffer_gl0_inv
	ds_load_b64 v[3:4], v1
	ds_load_b32 v1, v13 offset:2048
	s_waitcnt lgkmcnt(1)
	v_cmp_eq_f32_e32 vcc_lo, 0, v3
	v_cmp_eq_f32_e64 s0, 0, v4
	s_waitcnt lgkmcnt(0)
	v_readfirstlane_b32 s26, v1
	v_cmp_ne_u32_e64 s1, s12, v1
	s_delay_alu instid0(VALU_DEP_3) | instskip(NEXT) | instid1(VALU_DEP_2)
	s_and_b32 s0, vcc_lo, s0
	s_cmp_eq_u32 s26, s12
	s_cselect_b32 s28, -1, 0
	s_delay_alu instid0(SALU_CYCLE_1) | instskip(NEXT) | instid1(SALU_CYCLE_1)
	s_and_b32 s0, s0, s28
	s_and_b32 s0, s23, s0
	s_delay_alu instid0(SALU_CYCLE_1) | instskip(SKIP_2) | instid1(SALU_CYCLE_1)
	v_cndmask_b32_e64 v1, v4, 0, s0
	v_cndmask_b32_e64 v3, v3, 1.0, s0
	s_and_b32 s27, s3, s0
	s_and_saveexec_b32 s0, s27
	s_cbranch_execz .LBB28_24
; %bb.21:                               ;   in Loop: Header=BB28_16 Depth=1
	v_mbcnt_lo_u32_b32 v1, exec_lo, 0
	s_mov_b32 s27, exec_lo
	s_delay_alu instid0(VALU_DEP_1)
	v_cmpx_eq_u32_e32 0, v1
	s_cbranch_execz .LBB28_23
; %bb.22:                               ;   in Loop: Header=BB28_16 Depth=1
	v_mov_b32_e32 v1, s24
	global_atomic_min_i32 v2, v1, s[18:19]
.LBB28_23:                              ;   in Loop: Header=BB28_16 Depth=1
	s_or_b32 exec_lo, exec_lo, s27
	v_mov_b32_e32 v1, 0
	v_mov_b32_e32 v3, 1.0
.LBB28_24:                              ;   in Loop: Header=BB28_16 Depth=1
	s_or_b32 exec_lo, exec_lo, s0
	s_cmp_lt_i32 s5, 1
	s_mov_b32 s0, 0
	s_cbranch_scc1 .LBB28_30
; %bb.25:                               ;   in Loop: Header=BB28_16 Depth=1
	s_cmp_eq_u32 s5, 1
	s_cbranch_scc0 .LBB28_31
; %bb.26:                               ;   in Loop: Header=BB28_16 Depth=1
	v_dual_mov_b32 v4, v12 :: v_dual_mov_b32 v13, v11
	s_cmp_ge_i32 s26, s12
	s_mov_b32 s27, 0
	s_cbranch_scc0 .LBB28_33
; %bb.27:                               ;   in Loop: Header=BB28_16 Depth=1
	s_and_b32 vcc_lo, exec_lo, s28
	s_cbranch_vccz .LBB28_32
; %bb.28:                               ;   in Loop: Header=BB28_16 Depth=1
	v_dual_mov_b32 v4, v12 :: v_dual_mov_b32 v13, v11
	s_and_not1_b32 vcc_lo, exec_lo, s23
	s_cbranch_vccnz .LBB28_33
; %bb.29:                               ;   in Loop: Header=BB28_16 Depth=1
	v_mul_f32_e32 v4, v1, v1
	s_delay_alu instid0(VALU_DEP_1) | instskip(NEXT) | instid1(VALU_DEP_1)
	v_fmac_f32_e32 v4, v3, v3
	v_div_scale_f32 v13, null, v4, v4, 1.0
	v_div_scale_f32 v16, vcc_lo, 1.0, v4, 1.0
	s_delay_alu instid0(VALU_DEP_2) | instskip(SKIP_2) | instid1(VALU_DEP_1)
	v_rcp_f32_e32 v14, v13
	s_waitcnt_depctr 0xfff
	v_fma_f32 v15, -v13, v14, 1.0
	v_fmac_f32_e32 v14, v15, v14
	s_delay_alu instid0(VALU_DEP_1) | instskip(NEXT) | instid1(VALU_DEP_1)
	v_mul_f32_e32 v15, v16, v14
	v_fma_f32 v17, -v13, v15, v16
	s_delay_alu instid0(VALU_DEP_1) | instskip(NEXT) | instid1(VALU_DEP_1)
	v_fmac_f32_e32 v15, v17, v14
	v_fma_f32 v13, -v13, v15, v16
	s_delay_alu instid0(VALU_DEP_1) | instskip(SKIP_2) | instid1(VALU_DEP_3)
	v_div_fmas_f32 v13, v13, v14, v15
	v_fma_f32 v14, 0, v1, v3
	v_fma_f32 v15, v3, 0, -v1
	v_div_fixup_f32 v4, v13, v4, 1.0
	s_delay_alu instid0(VALU_DEP_1) | instskip(NEXT) | instid1(VALU_DEP_3)
	v_mul_f32_e32 v13, v14, v4
	v_mul_f32_e32 v4, v15, v4
	s_branch .LBB28_33
.LBB28_30:                              ;   in Loop: Header=BB28_16 Depth=1
	s_mov_b32 s27, 0
                                        ; implicit-def: $sgpr28
                                        ; implicit-def: $vgpr14
                                        ; implicit-def: $vgpr15
                                        ; implicit-def: $vgpr4
                                        ; implicit-def: $vgpr13
	s_cbranch_execnz .LBB28_34
	s_branch .LBB28_36
.LBB28_31:                              ;   in Loop: Header=BB28_16 Depth=1
	s_mov_b32 s27, -1
                                        ; implicit-def: $sgpr28
                                        ; implicit-def: $vgpr14
                                        ; implicit-def: $vgpr15
                                        ; implicit-def: $vgpr4
                                        ; implicit-def: $vgpr13
	s_branch .LBB28_36
.LBB28_32:                              ;   in Loop: Header=BB28_16 Depth=1
	s_mov_b32 s27, -1
                                        ; implicit-def: $vgpr4
                                        ; implicit-def: $vgpr13
.LBB28_33:                              ;   in Loop: Header=BB28_16 Depth=1
	v_dual_mov_b32 v14, v7 :: v_dual_mov_b32 v15, v8
	s_mov_b32 s28, 4
	s_branch .LBB28_36
.LBB28_34:                              ;   in Loop: Header=BB28_16 Depth=1
	s_cmp_eq_u32 s5, 0
	s_cbranch_scc1 .LBB28_40
; %bb.35:                               ;   in Loop: Header=BB28_16 Depth=1
	s_mov_b32 s27, -1
                                        ; implicit-def: $sgpr28
                                        ; implicit-def: $vgpr14
                                        ; implicit-def: $vgpr15
                                        ; implicit-def: $vgpr4
                                        ; implicit-def: $vgpr13
.LBB28_36:                              ;   in Loop: Header=BB28_16 Depth=1
	s_delay_alu instid0(SALU_CYCLE_1)
	s_and_b32 vcc_lo, exec_lo, s27
	s_cbranch_vccnz .LBB28_43
.LBB28_37:                              ;   in Loop: Header=BB28_16 Depth=1
	s_and_b32 vcc_lo, exec_lo, s0
	s_cbranch_vccnz .LBB28_49
.LBB28_38:                              ;   in Loop: Header=BB28_16 Depth=1
	s_cmp_gt_i32 s28, 3
	s_mov_b32 s0, -1
	s_cbranch_scc1 .LBB28_52
.LBB28_39:                              ;   in Loop: Header=BB28_16 Depth=1
	s_cmp_eq_u32 s28, 0
	s_cselect_b32 s1, -1, 0
	s_delay_alu instid0(SALU_CYCLE_1)
	s_and_not1_b32 vcc_lo, exec_lo, s1
	s_cbranch_vccz .LBB28_14
	s_branch .LBB28_53
.LBB28_40:                              ;   in Loop: Header=BB28_16 Depth=1
	s_cmp_le_i32 s26, s12
	s_mov_b32 s27, 0
	s_cbranch_scc0 .LBB28_42
; %bb.41:                               ;   in Loop: Header=BB28_16 Depth=1
	s_mov_b32 s0, -1
	s_mov_b32 s27, s1
.LBB28_42:                              ;   in Loop: Header=BB28_16 Depth=1
	v_dual_mov_b32 v14, v7 :: v_dual_mov_b32 v15, v8
	v_dual_mov_b32 v4, v12 :: v_dual_mov_b32 v13, v11
	s_mov_b32 s28, 2
	s_and_b32 vcc_lo, exec_lo, s27
	s_cbranch_vccz .LBB28_37
.LBB28_43:                              ;   in Loop: Header=BB28_16 Depth=1
	s_and_saveexec_b32 s27, s3
	s_cbranch_execz .LBB28_46
; %bb.44:                               ;   in Loop: Header=BB28_16 Depth=1
	s_add_i32 s0, s26, s7
	s_delay_alu instid0(SALU_CYCLE_1) | instskip(NEXT) | instid1(SALU_CYCLE_1)
	s_ashr_i32 s1, s0, 31
	s_lshl_b64 s[0:1], s[0:1], 2
	s_delay_alu instid0(SALU_CYCLE_1)
	s_add_u32 s0, s16, s0
	s_addc_u32 s1, s17, s1
	global_load_b32 v4, v2, s[0:1] glc
	s_waitcnt vmcnt(0)
	v_cmp_ne_u32_e32 vcc_lo, 0, v4
	s_cbranch_vccnz .LBB28_46
.LBB28_45:                              ;   Parent Loop BB28_16 Depth=1
                                        ; =>  This Inner Loop Header: Depth=2
	global_load_b32 v4, v2, s[0:1] glc
	s_waitcnt vmcnt(0)
	v_cmp_eq_u32_e32 vcc_lo, 0, v4
	s_cbranch_vccnz .LBB28_45
.LBB28_46:                              ;   in Loop: Header=BB28_16 Depth=1
	s_or_b32 exec_lo, exec_lo, s27
	v_dual_mov_b32 v14, 0 :: v_dual_mov_b32 v15, 0
	s_mov_b32 s0, 0
	s_waitcnt_vscnt null, 0x0
	s_barrier
	buffer_gl0_inv
	buffer_gl1_inv
	buffer_gl0_inv
	s_and_saveexec_b32 s1, s2
	s_cbranch_execz .LBB28_48
; %bb.47:                               ;   in Loop: Header=BB28_16 Depth=1
	s_mul_i32 s27, s26, s21
	s_mul_hi_u32 s28, s26, s20
	s_ashr_i32 s29, s26, 31
	s_add_i32 s27, s28, s27
	s_mul_i32 s29, s29, s20
	s_mul_i32 s26, s26, s20
	s_add_i32 s27, s27, s29
	s_delay_alu instid0(SALU_CYCLE_1) | instskip(NEXT) | instid1(SALU_CYCLE_1)
	s_lshl_b64 s[26:27], s[26:27], 3
	v_add_co_u32 v13, vcc_lo, v5, s26
	v_add_co_ci_u32_e32 v14, vcc_lo, s27, v6, vcc_lo
	global_load_b64 v[13:14], v[13:14], off
	s_waitcnt vmcnt(0)
	v_fma_f32 v15, -v3, v13, v8
	v_fma_f32 v4, -v1, v13, v7
	s_delay_alu instid0(VALU_DEP_2) | instskip(NEXT) | instid1(VALU_DEP_2)
	v_fmac_f32_e32 v15, v1, v14
	v_fma_f32 v14, -v3, v14, v4
.LBB28_48:                              ;   in Loop: Header=BB28_16 Depth=1
	s_or_b32 exec_lo, exec_lo, s1
	v_dual_mov_b32 v4, v12 :: v_dual_mov_b32 v13, v11
	s_mov_b32 s28, 0
	s_and_b32 vcc_lo, exec_lo, s0
	s_cbranch_vccz .LBB28_38
.LBB28_49:                              ;   in Loop: Header=BB28_16 Depth=1
	s_and_not1_b32 vcc_lo, exec_lo, s23
	s_cbranch_vccnz .LBB28_51
; %bb.50:                               ;   in Loop: Header=BB28_16 Depth=1
	v_mul_f32_e32 v4, v1, v1
	s_delay_alu instid0(VALU_DEP_1) | instskip(NEXT) | instid1(VALU_DEP_1)
	v_fmac_f32_e32 v4, v3, v3
	v_div_scale_f32 v11, null, v4, v4, 1.0
	v_div_scale_f32 v14, vcc_lo, 1.0, v4, 1.0
	s_delay_alu instid0(VALU_DEP_2) | instskip(SKIP_2) | instid1(VALU_DEP_1)
	v_rcp_f32_e32 v12, v11
	s_waitcnt_depctr 0xfff
	v_fma_f32 v13, -v11, v12, 1.0
	v_fmac_f32_e32 v12, v13, v12
	s_delay_alu instid0(VALU_DEP_1) | instskip(NEXT) | instid1(VALU_DEP_1)
	v_mul_f32_e32 v13, v14, v12
	v_fma_f32 v15, -v11, v13, v14
	s_delay_alu instid0(VALU_DEP_1) | instskip(NEXT) | instid1(VALU_DEP_1)
	v_fmac_f32_e32 v13, v15, v12
	v_fma_f32 v11, -v11, v13, v14
	s_delay_alu instid0(VALU_DEP_1) | instskip(SKIP_2) | instid1(VALU_DEP_3)
	v_div_fmas_f32 v11, v11, v12, v13
	v_fma_f32 v12, 0, v1, v3
	v_fma_f32 v1, v3, 0, -v1
	v_div_fixup_f32 v4, v11, v4, 1.0
	s_delay_alu instid0(VALU_DEP_1) | instskip(NEXT) | instid1(VALU_DEP_3)
	v_mul_f32_e32 v11, v12, v4
	v_mul_f32_e32 v12, v1, v4
.LBB28_51:                              ;   in Loop: Header=BB28_16 Depth=1
	s_delay_alu instid0(VALU_DEP_1) | instskip(SKIP_2) | instid1(SALU_CYCLE_1)
	v_dual_mov_b32 v13, v11 :: v_dual_mov_b32 v4, v12
	v_dual_mov_b32 v15, v8 :: v_dual_mov_b32 v14, v7
	s_mov_b32 s28, 2
	s_cmp_gt_i32 s28, 3
	s_mov_b32 s0, -1
	s_cbranch_scc0 .LBB28_39
.LBB28_52:                              ;   in Loop: Header=BB28_16 Depth=1
	s_branch .LBB28_14
.LBB28_53:                              ;   in Loop: Header=BB28_16 Depth=1
                                        ; implicit-def: $sgpr25
	s_branch .LBB28_15
.LBB28_54:
	v_dual_mov_b32 v4, 0 :: v_dual_mov_b32 v13, 1.0
	s_and_saveexec_b32 s0, s2
	s_cbranch_execnz .LBB28_56
	s_branch .LBB28_57
.LBB28_55:
	v_dual_mov_b32 v7, v14 :: v_dual_mov_b32 v8, v15
	s_and_saveexec_b32 s0, s2
	s_cbranch_execz .LBB28_57
.LBB28_56:
	s_delay_alu instid0(VALU_DEP_1) | instskip(NEXT) | instid1(VALU_DEP_2)
	v_mul_f32_e32 v3, v4, v8
	v_mul_f32_e64 v9, v4, -v7
	s_lshl_b64 s[2:3], s[14:15], 3
	s_cmp_eq_u32 s6, 0
	v_add_co_u32 v1, vcc_lo, v5, s2
	v_add_co_ci_u32_e32 v2, vcc_lo, s3, v6, vcc_lo
	v_fmac_f32_e32 v3, v7, v13
	s_cselect_b32 vcc_lo, -1, 0
	s_delay_alu instid0(VALU_DEP_1) | instskip(NEXT) | instid1(VALU_DEP_1)
	v_dual_fmac_f32 v9, v8, v13 :: v_dual_cndmask_b32 v4, v7, v3
	v_cndmask_b32_e32 v3, v8, v9, vcc_lo
	global_store_b64 v[1:2], v[3:4], off
.LBB28_57:
	s_or_b32 exec_lo, exec_lo, s0
	s_waitcnt_vscnt null, 0x0
	buffer_gl1_inv
	buffer_gl0_inv
	s_barrier
	buffer_gl0_inv
	s_mov_b32 s0, exec_lo
	v_cmpx_eq_u32_e32 0, v0
	s_cbranch_execz .LBB28_59
; %bb.58:
	s_add_i32 s0, s12, s7
	v_dual_mov_b32 v0, 0 :: v_dual_mov_b32 v1, 1
	s_ashr_i32 s1, s0, 31
	s_delay_alu instid0(SALU_CYCLE_1) | instskip(NEXT) | instid1(SALU_CYCLE_1)
	s_lshl_b64 s[0:1], s[0:1], 2
	s_add_u32 s0, s16, s0
	s_addc_u32 s1, s17, s1
	global_store_b32 v0, v1, s[0:1]
.LBB28_59:
	s_nop 0
	s_sendmsg sendmsg(MSG_DEALLOC_VGPRS)
	s_endpgm
	.section	.rodata,"a",@progbits
	.p2align	6, 0x0
	.amdhsa_kernel _ZN9rocsparseL5csrsmILj256ELj64ELb0Eii21rocsparse_complex_numIfEEEv20rocsparse_operation_T3_S4_NS_24const_host_device_scalarIT4_EEPKT2_PKS4_PKS6_PS6_lPiSC_PS4_21rocsparse_index_base_20rocsparse_fill_mode_20rocsparse_diag_type_b
		.amdhsa_group_segment_fixed_size 3072
		.amdhsa_private_segment_fixed_size 0
		.amdhsa_kernarg_size 104
		.amdhsa_user_sgpr_count 15
		.amdhsa_user_sgpr_dispatch_ptr 0
		.amdhsa_user_sgpr_queue_ptr 0
		.amdhsa_user_sgpr_kernarg_segment_ptr 1
		.amdhsa_user_sgpr_dispatch_id 0
		.amdhsa_user_sgpr_private_segment_size 0
		.amdhsa_wavefront_size32 1
		.amdhsa_uses_dynamic_stack 0
		.amdhsa_enable_private_segment 0
		.amdhsa_system_sgpr_workgroup_id_x 1
		.amdhsa_system_sgpr_workgroup_id_y 0
		.amdhsa_system_sgpr_workgroup_id_z 0
		.amdhsa_system_sgpr_workgroup_info 0
		.amdhsa_system_vgpr_workitem_id 0
		.amdhsa_next_free_vgpr 18
		.amdhsa_next_free_sgpr 30
		.amdhsa_reserve_vcc 1
		.amdhsa_float_round_mode_32 0
		.amdhsa_float_round_mode_16_64 0
		.amdhsa_float_denorm_mode_32 3
		.amdhsa_float_denorm_mode_16_64 3
		.amdhsa_dx10_clamp 1
		.amdhsa_ieee_mode 1
		.amdhsa_fp16_overflow 0
		.amdhsa_workgroup_processor_mode 1
		.amdhsa_memory_ordered 1
		.amdhsa_forward_progress 0
		.amdhsa_shared_vgpr_count 0
		.amdhsa_exception_fp_ieee_invalid_op 0
		.amdhsa_exception_fp_denorm_src 0
		.amdhsa_exception_fp_ieee_div_zero 0
		.amdhsa_exception_fp_ieee_overflow 0
		.amdhsa_exception_fp_ieee_underflow 0
		.amdhsa_exception_fp_ieee_inexact 0
		.amdhsa_exception_int_div_zero 0
	.end_amdhsa_kernel
	.section	.text._ZN9rocsparseL5csrsmILj256ELj64ELb0Eii21rocsparse_complex_numIfEEEv20rocsparse_operation_T3_S4_NS_24const_host_device_scalarIT4_EEPKT2_PKS4_PKS6_PS6_lPiSC_PS4_21rocsparse_index_base_20rocsparse_fill_mode_20rocsparse_diag_type_b,"axG",@progbits,_ZN9rocsparseL5csrsmILj256ELj64ELb0Eii21rocsparse_complex_numIfEEEv20rocsparse_operation_T3_S4_NS_24const_host_device_scalarIT4_EEPKT2_PKS4_PKS6_PS6_lPiSC_PS4_21rocsparse_index_base_20rocsparse_fill_mode_20rocsparse_diag_type_b,comdat
.Lfunc_end28:
	.size	_ZN9rocsparseL5csrsmILj256ELj64ELb0Eii21rocsparse_complex_numIfEEEv20rocsparse_operation_T3_S4_NS_24const_host_device_scalarIT4_EEPKT2_PKS4_PKS6_PS6_lPiSC_PS4_21rocsparse_index_base_20rocsparse_fill_mode_20rocsparse_diag_type_b, .Lfunc_end28-_ZN9rocsparseL5csrsmILj256ELj64ELb0Eii21rocsparse_complex_numIfEEEv20rocsparse_operation_T3_S4_NS_24const_host_device_scalarIT4_EEPKT2_PKS4_PKS6_PS6_lPiSC_PS4_21rocsparse_index_base_20rocsparse_fill_mode_20rocsparse_diag_type_b
                                        ; -- End function
	.section	.AMDGPU.csdata,"",@progbits
; Kernel info:
; codeLenInByte = 2056
; NumSgprs: 32
; NumVgprs: 18
; ScratchSize: 0
; MemoryBound: 0
; FloatMode: 240
; IeeeMode: 1
; LDSByteSize: 3072 bytes/workgroup (compile time only)
; SGPRBlocks: 3
; VGPRBlocks: 2
; NumSGPRsForWavesPerEU: 32
; NumVGPRsForWavesPerEU: 18
; Occupancy: 16
; WaveLimiterHint : 1
; COMPUTE_PGM_RSRC2:SCRATCH_EN: 0
; COMPUTE_PGM_RSRC2:USER_SGPR: 15
; COMPUTE_PGM_RSRC2:TRAP_HANDLER: 0
; COMPUTE_PGM_RSRC2:TGID_X_EN: 1
; COMPUTE_PGM_RSRC2:TGID_Y_EN: 0
; COMPUTE_PGM_RSRC2:TGID_Z_EN: 0
; COMPUTE_PGM_RSRC2:TIDIG_COMP_CNT: 0
	.section	.text._ZN9rocsparseL5csrsmILj512ELj64ELb1Eii21rocsparse_complex_numIfEEEv20rocsparse_operation_T3_S4_NS_24const_host_device_scalarIT4_EEPKT2_PKS4_PKS6_PS6_lPiSC_PS4_21rocsparse_index_base_20rocsparse_fill_mode_20rocsparse_diag_type_b,"axG",@progbits,_ZN9rocsparseL5csrsmILj512ELj64ELb1Eii21rocsparse_complex_numIfEEEv20rocsparse_operation_T3_S4_NS_24const_host_device_scalarIT4_EEPKT2_PKS4_PKS6_PS6_lPiSC_PS4_21rocsparse_index_base_20rocsparse_fill_mode_20rocsparse_diag_type_b,comdat
	.globl	_ZN9rocsparseL5csrsmILj512ELj64ELb1Eii21rocsparse_complex_numIfEEEv20rocsparse_operation_T3_S4_NS_24const_host_device_scalarIT4_EEPKT2_PKS4_PKS6_PS6_lPiSC_PS4_21rocsparse_index_base_20rocsparse_fill_mode_20rocsparse_diag_type_b ; -- Begin function _ZN9rocsparseL5csrsmILj512ELj64ELb1Eii21rocsparse_complex_numIfEEEv20rocsparse_operation_T3_S4_NS_24const_host_device_scalarIT4_EEPKT2_PKS4_PKS6_PS6_lPiSC_PS4_21rocsparse_index_base_20rocsparse_fill_mode_20rocsparse_diag_type_b
	.p2align	8
	.type	_ZN9rocsparseL5csrsmILj512ELj64ELb1Eii21rocsparse_complex_numIfEEEv20rocsparse_operation_T3_S4_NS_24const_host_device_scalarIT4_EEPKT2_PKS4_PKS6_PS6_lPiSC_PS4_21rocsparse_index_base_20rocsparse_fill_mode_20rocsparse_diag_type_b,@function
_ZN9rocsparseL5csrsmILj512ELj64ELb1Eii21rocsparse_complex_numIfEEEv20rocsparse_operation_T3_S4_NS_24const_host_device_scalarIT4_EEPKT2_PKS4_PKS6_PS6_lPiSC_PS4_21rocsparse_index_base_20rocsparse_fill_mode_20rocsparse_diag_type_b: ; @_ZN9rocsparseL5csrsmILj512ELj64ELb1Eii21rocsparse_complex_numIfEEEv20rocsparse_operation_T3_S4_NS_24const_host_device_scalarIT4_EEPKT2_PKS4_PKS6_PS6_lPiSC_PS4_21rocsparse_index_base_20rocsparse_fill_mode_20rocsparse_diag_type_b
; %bb.0:
	s_clause 0x2
	s_load_b128 s[4:7], s[0:1], 0x58
	s_load_b128 s[8:11], s[0:1], 0x10
	s_load_b64 s[2:3], s[0:1], 0x48
	s_waitcnt lgkmcnt(0)
	s_bitcmp1_b32 s7, 0
	s_mov_b32 s26, s8
	s_cselect_b32 s12, -1, 0
	s_delay_alu instid0(SALU_CYCLE_1)
	s_xor_b32 s7, s12, -1
	s_and_b32 vcc_lo, exec_lo, s12
	s_cbranch_vccnz .LBB29_2
; %bb.1:
	s_load_b32 s26, s[8:9], 0x0
.LBB29_2:
	s_load_b64 s[22:23], s[0:1], 0x30
	s_and_not1_b32 vcc_lo, exec_lo, s7
	s_cbranch_vccnz .LBB29_4
; %bb.3:
	s_load_b32 s9, s[8:9], 0x4
.LBB29_4:
	s_clause 0x1
	s_load_b128 s[16:19], s[0:1], 0x0
	s_load_b64 s[20:21], s[0:1], 0x38
	s_waitcnt lgkmcnt(0)
	v_cvt_f32_u32_e32 v1, s17
	s_sub_i32 s8, 0, s17
	s_delay_alu instid0(VALU_DEP_1) | instskip(SKIP_2) | instid1(VALU_DEP_1)
	v_rcp_iflag_f32_e32 v1, v1
	s_waitcnt_depctr 0xfff
	v_mul_f32_e32 v1, 0x4f7ffffe, v1
	v_cvt_u32_f32_e32 v1, v1
	s_delay_alu instid0(VALU_DEP_1) | instskip(NEXT) | instid1(VALU_DEP_1)
	v_readfirstlane_b32 s7, v1
	s_mul_i32 s8, s8, s7
	s_delay_alu instid0(SALU_CYCLE_1) | instskip(NEXT) | instid1(SALU_CYCLE_1)
	s_mul_hi_u32 s8, s7, s8
	s_add_i32 s7, s7, s8
	s_delay_alu instid0(SALU_CYCLE_1) | instskip(NEXT) | instid1(SALU_CYCLE_1)
	s_mul_hi_u32 s7, s15, s7
	s_mul_i32 s8, s7, s17
	s_add_i32 s12, s7, 1
	s_sub_i32 s8, s15, s8
	s_delay_alu instid0(SALU_CYCLE_1)
	s_sub_i32 s13, s8, s17
	s_cmp_ge_u32 s8, s17
	s_cselect_b32 s7, s12, s7
	s_cselect_b32 s8, s13, s8
	s_add_i32 s12, s7, 1
	s_cmp_ge_u32 s8, s17
	s_cselect_b32 s8, s12, s7
	s_delay_alu instid0(SALU_CYCLE_1) | instskip(SKIP_2) | instid1(SALU_CYCLE_1)
	s_mul_i32 s7, s8, s17
	v_lshl_or_b32 v1, s8, 9, v0
	s_sub_i32 s12, s15, s7
	s_ashr_i32 s13, s12, 31
	s_delay_alu instid0(VALU_DEP_1) | instskip(SKIP_1) | instid1(SALU_CYCLE_1)
	v_ashrrev_i32_e32 v2, 31, v1
	s_lshl_b64 s[12:13], s[12:13], 2
	s_add_u32 s2, s2, s12
	s_addc_u32 s3, s3, s13
	s_load_b32 s12, s[2:3], 0x0
	s_waitcnt lgkmcnt(0)
	s_ashr_i32 s13, s12, 31
	s_mul_i32 s14, s12, s20
	s_lshl_b64 s[2:3], s[12:13], 2
	v_add_co_u32 v3, vcc_lo, s14, v1
	s_add_u32 s2, s10, s2
	s_addc_u32 s3, s11, s3
	s_load_b64 s[24:25], s[2:3], 0x0
	s_mul_i32 s2, s12, s21
	s_mul_hi_u32 s3, s12, s20
	s_delay_alu instid0(SALU_CYCLE_1) | instskip(SKIP_1) | instid1(SALU_CYCLE_1)
	s_add_i32 s2, s3, s2
	s_mul_i32 s3, s13, s20
	s_add_i32 s15, s2, s3
	v_cmp_gt_i32_e64 s2, s18, v1
	v_add_co_ci_u32_e32 v4, vcc_lo, s15, v2, vcc_lo
	s_cmpk_lg_i32 s16, 0x71
	s_cbranch_scc0 .LBB29_8
; %bb.5:
	v_dual_mov_b32 v7, 0 :: v_dual_mov_b32 v8, 0
	s_mov_b32 s3, 0
	s_and_saveexec_b32 s8, s2
	s_cbranch_execz .LBB29_7
; %bb.6:
	v_lshlrev_b64 v[5:6], 3, v[3:4]
	s_delay_alu instid0(VALU_DEP_1) | instskip(NEXT) | instid1(VALU_DEP_2)
	v_add_co_u32 v5, vcc_lo, s22, v5
	v_add_co_ci_u32_e32 v6, vcc_lo, s23, v6, vcc_lo
	global_load_b64 v[5:6], v[5:6], off
	s_waitcnt vmcnt(0)
	v_mul_f32_e64 v8, v6, -s9
	s_delay_alu instid0(VALU_DEP_1) | instskip(NEXT) | instid1(VALU_DEP_1)
	v_dual_mul_f32 v7, s26, v6 :: v_dual_fmac_f32 v8, s26, v5
	v_fmac_f32_e32 v7, s9, v5
.LBB29_7:
	s_or_b32 exec_lo, exec_lo, s8
	s_load_b64 s[16:17], s[0:1], 0x40
	s_and_not1_b32 vcc_lo, exec_lo, s3
	s_cbranch_vccz .LBB29_9
	s_branch .LBB29_12
.LBB29_8:
                                        ; implicit-def: $vgpr7
                                        ; implicit-def: $vgpr8
	s_load_b64 s[16:17], s[0:1], 0x40
.LBB29_9:
	v_dual_mov_b32 v7, 0 :: v_dual_mov_b32 v8, 0
	s_and_saveexec_b32 s3, s2
	s_cbranch_execz .LBB29_11
; %bb.10:
	v_lshlrev_b64 v[3:4], 3, v[3:4]
	s_delay_alu instid0(VALU_DEP_1) | instskip(NEXT) | instid1(VALU_DEP_2)
	v_add_co_u32 v3, vcc_lo, s22, v3
	v_add_co_ci_u32_e32 v4, vcc_lo, s23, v4, vcc_lo
	global_load_b64 v[3:4], v[3:4], off
	s_waitcnt vmcnt(0)
	v_mul_f32_e64 v7, s26, -v4
	s_delay_alu instid0(VALU_DEP_1) | instskip(NEXT) | instid1(VALU_DEP_1)
	v_dual_mul_f32 v8, s9, v4 :: v_dual_fmac_f32 v7, s9, v3
	v_fmac_f32_e32 v8, s26, v3
.LBB29_11:
	s_or_b32 exec_lo, exec_lo, s3
.LBB29_12:
	v_lshlrev_b64 v[1:2], 3, v[1:2]
	v_cmp_eq_u32_e64 s3, 0, v0
	s_waitcnt lgkmcnt(0)
	s_cmp_ge_i32 s24, s25
	s_delay_alu instid0(VALU_DEP_2) | instskip(NEXT) | instid1(VALU_DEP_3)
	v_add_co_u32 v5, vcc_lo, s22, v1
	v_add_co_ci_u32_e32 v6, vcc_lo, s23, v2, vcc_lo
	s_cbranch_scc1 .LBB29_57
; %bb.13:
	s_clause 0x1
	s_load_b64 s[18:19], s[0:1], 0x50
	s_load_b128 s[8:11], s[0:1], 0x20
	s_sub_i32 s13, s24, s4
	s_sub_i32 s22, s25, s4
	v_lshl_or_b32 v9, v0, 2, 0x1000
	v_dual_mov_b32 v11, 1.0 :: v_dual_lshlrev_b32 v10, 3, v0
	v_mov_b32_e32 v2, 0
	v_mov_b32_e32 v12, 0
	s_cmp_eq_u32 s6, 0
	s_mov_b32 s25, s13
	s_cselect_b32 s23, -1, 0
	s_add_i32 s24, s12, s4
	s_branch .LBB29_16
.LBB29_14:                              ;   in Loop: Header=BB29_16 Depth=1
	s_add_i32 s25, s25, 1
	s_delay_alu instid0(SALU_CYCLE_1)
	s_cmp_ge_i32 s25, s22
	s_cselect_b32 s0, -1, 0
.LBB29_15:                              ;   in Loop: Header=BB29_16 Depth=1
	v_dual_mov_b32 v7, v14 :: v_dual_mov_b32 v8, v15
	v_dual_mov_b32 v12, v4 :: v_dual_mov_b32 v11, v13
	s_and_not1_b32 vcc_lo, exec_lo, s0
	s_cbranch_vccz .LBB29_58
.LBB29_16:                              ; =>This Loop Header: Depth=1
                                        ;     Child Loop BB29_55 Depth 2
                                        ;       Child Loop BB29_56 Depth 3
	s_sub_i32 s0, s25, s13
	s_delay_alu instid0(SALU_CYCLE_1) | instskip(NEXT) | instid1(SALU_CYCLE_1)
	s_and_b32 s0, s0, 0x1ff
	s_cmp_lg_u32 s0, 0
	s_cbranch_scc1 .LBB29_20
; %bb.17:                               ;   in Loop: Header=BB29_16 Depth=1
	s_sub_i32 s1, s22, s25
	v_dual_mov_b32 v1, -1 :: v_dual_mov_b32 v4, 0
	v_cmp_gt_u32_e32 vcc_lo, s1, v0
	v_mov_b32_e32 v3, -1.0
	s_and_saveexec_b32 s1, vcc_lo
	s_cbranch_execz .LBB29_19
; %bb.18:                               ;   in Loop: Header=BB29_16 Depth=1
	v_add_nc_u32_e32 v1, s25, v0
	s_delay_alu instid0(VALU_DEP_1) | instskip(SKIP_2) | instid1(VALU_DEP_2)
	v_lshlrev_b64 v[3:4], 2, v[1:2]
	v_lshlrev_b64 v[13:14], 3, v[1:2]
	s_waitcnt lgkmcnt(0)
	v_add_co_u32 v3, vcc_lo, s8, v3
	s_delay_alu instid0(VALU_DEP_3)
	v_add_co_ci_u32_e32 v4, vcc_lo, s9, v4, vcc_lo
	global_load_b32 v1, v[3:4], off
	v_add_co_u32 v3, vcc_lo, s10, v13
	v_add_co_ci_u32_e32 v4, vcc_lo, s11, v14, vcc_lo
	global_load_b64 v[3:4], v[3:4], off
	s_waitcnt vmcnt(1)
	v_subrev_nc_u32_e32 v1, s4, v1
.LBB29_19:                              ;   in Loop: Header=BB29_16 Depth=1
	s_or_b32 exec_lo, exec_lo, s1
	ds_store_b32 v9, v1
	s_waitcnt vmcnt(0)
	ds_store_b64 v10, v[3:4]
.LBB29_20:                              ;   in Loop: Header=BB29_16 Depth=1
	s_lshl_b32 s1, s0, 3
	s_lshl_b32 s0, s0, 2
	v_mov_b32_e32 v1, s1
	v_mov_b32_e32 v13, s0
	s_waitcnt lgkmcnt(0)
	s_waitcnt_vscnt null, 0x0
	s_barrier
	buffer_gl0_inv
	ds_load_b64 v[3:4], v1
	ds_load_b32 v1, v13 offset:4096
	s_waitcnt lgkmcnt(1)
	v_cmp_eq_f32_e32 vcc_lo, 0, v3
	v_cmp_eq_f32_e64 s0, 0, v4
	s_waitcnt lgkmcnt(0)
	v_readfirstlane_b32 s26, v1
	v_cmp_ne_u32_e64 s1, s12, v1
	s_delay_alu instid0(VALU_DEP_3) | instskip(NEXT) | instid1(VALU_DEP_2)
	s_and_b32 s0, vcc_lo, s0
	s_cmp_eq_u32 s26, s12
	s_cselect_b32 s28, -1, 0
	s_delay_alu instid0(SALU_CYCLE_1) | instskip(NEXT) | instid1(SALU_CYCLE_1)
	s_and_b32 s0, s0, s28
	s_and_b32 s0, s23, s0
	s_delay_alu instid0(SALU_CYCLE_1) | instskip(SKIP_2) | instid1(SALU_CYCLE_1)
	v_cndmask_b32_e64 v1, v4, 0, s0
	v_cndmask_b32_e64 v3, v3, 1.0, s0
	s_and_b32 s27, s3, s0
	s_and_saveexec_b32 s0, s27
	s_cbranch_execz .LBB29_24
; %bb.21:                               ;   in Loop: Header=BB29_16 Depth=1
	v_mbcnt_lo_u32_b32 v1, exec_lo, 0
	s_mov_b32 s27, exec_lo
	s_delay_alu instid0(VALU_DEP_1)
	v_cmpx_eq_u32_e32 0, v1
	s_cbranch_execz .LBB29_23
; %bb.22:                               ;   in Loop: Header=BB29_16 Depth=1
	v_mov_b32_e32 v1, s24
	global_atomic_min_i32 v2, v1, s[18:19]
.LBB29_23:                              ;   in Loop: Header=BB29_16 Depth=1
	s_or_b32 exec_lo, exec_lo, s27
	v_mov_b32_e32 v1, 0
	v_mov_b32_e32 v3, 1.0
.LBB29_24:                              ;   in Loop: Header=BB29_16 Depth=1
	s_or_b32 exec_lo, exec_lo, s0
	s_cmp_lt_i32 s5, 1
	s_mov_b32 s0, 0
	s_cbranch_scc1 .LBB29_30
; %bb.25:                               ;   in Loop: Header=BB29_16 Depth=1
	s_cmp_eq_u32 s5, 1
	s_cbranch_scc0 .LBB29_31
; %bb.26:                               ;   in Loop: Header=BB29_16 Depth=1
	v_dual_mov_b32 v4, v12 :: v_dual_mov_b32 v13, v11
	s_cmp_ge_i32 s26, s12
	s_mov_b32 s27, 0
	s_cbranch_scc0 .LBB29_33
; %bb.27:                               ;   in Loop: Header=BB29_16 Depth=1
	s_and_b32 vcc_lo, exec_lo, s28
	s_cbranch_vccz .LBB29_32
; %bb.28:                               ;   in Loop: Header=BB29_16 Depth=1
	v_dual_mov_b32 v4, v12 :: v_dual_mov_b32 v13, v11
	s_and_not1_b32 vcc_lo, exec_lo, s23
	s_cbranch_vccnz .LBB29_33
; %bb.29:                               ;   in Loop: Header=BB29_16 Depth=1
	v_mul_f32_e32 v4, v1, v1
	s_delay_alu instid0(VALU_DEP_1) | instskip(NEXT) | instid1(VALU_DEP_1)
	v_fmac_f32_e32 v4, v3, v3
	v_div_scale_f32 v13, null, v4, v4, 1.0
	v_div_scale_f32 v16, vcc_lo, 1.0, v4, 1.0
	s_delay_alu instid0(VALU_DEP_2) | instskip(SKIP_2) | instid1(VALU_DEP_1)
	v_rcp_f32_e32 v14, v13
	s_waitcnt_depctr 0xfff
	v_fma_f32 v15, -v13, v14, 1.0
	v_fmac_f32_e32 v14, v15, v14
	s_delay_alu instid0(VALU_DEP_1) | instskip(NEXT) | instid1(VALU_DEP_1)
	v_mul_f32_e32 v15, v16, v14
	v_fma_f32 v17, -v13, v15, v16
	s_delay_alu instid0(VALU_DEP_1) | instskip(NEXT) | instid1(VALU_DEP_1)
	v_fmac_f32_e32 v15, v17, v14
	v_fma_f32 v13, -v13, v15, v16
	s_delay_alu instid0(VALU_DEP_1) | instskip(SKIP_2) | instid1(VALU_DEP_3)
	v_div_fmas_f32 v13, v13, v14, v15
	v_fma_f32 v14, 0, v1, v3
	v_fma_f32 v15, v3, 0, -v1
	v_div_fixup_f32 v4, v13, v4, 1.0
	s_delay_alu instid0(VALU_DEP_1) | instskip(NEXT) | instid1(VALU_DEP_3)
	v_mul_f32_e32 v13, v14, v4
	v_mul_f32_e32 v4, v15, v4
	s_branch .LBB29_33
.LBB29_30:                              ;   in Loop: Header=BB29_16 Depth=1
	s_mov_b32 s27, 0
                                        ; implicit-def: $sgpr28
                                        ; implicit-def: $vgpr14
                                        ; implicit-def: $vgpr15
                                        ; implicit-def: $vgpr4
                                        ; implicit-def: $vgpr13
	s_cbranch_execnz .LBB29_34
	s_branch .LBB29_36
.LBB29_31:                              ;   in Loop: Header=BB29_16 Depth=1
	s_mov_b32 s27, -1
                                        ; implicit-def: $sgpr28
                                        ; implicit-def: $vgpr14
                                        ; implicit-def: $vgpr15
                                        ; implicit-def: $vgpr4
                                        ; implicit-def: $vgpr13
	s_branch .LBB29_36
.LBB29_32:                              ;   in Loop: Header=BB29_16 Depth=1
	s_mov_b32 s27, -1
                                        ; implicit-def: $vgpr4
                                        ; implicit-def: $vgpr13
.LBB29_33:                              ;   in Loop: Header=BB29_16 Depth=1
	v_dual_mov_b32 v14, v7 :: v_dual_mov_b32 v15, v8
	s_mov_b32 s28, 4
	s_branch .LBB29_36
.LBB29_34:                              ;   in Loop: Header=BB29_16 Depth=1
	s_cmp_eq_u32 s5, 0
	s_cbranch_scc1 .LBB29_40
; %bb.35:                               ;   in Loop: Header=BB29_16 Depth=1
	s_mov_b32 s27, -1
                                        ; implicit-def: $sgpr28
                                        ; implicit-def: $vgpr14
                                        ; implicit-def: $vgpr15
                                        ; implicit-def: $vgpr4
                                        ; implicit-def: $vgpr13
.LBB29_36:                              ;   in Loop: Header=BB29_16 Depth=1
	s_delay_alu instid0(SALU_CYCLE_1)
	s_and_b32 vcc_lo, exec_lo, s27
	s_cbranch_vccnz .LBB29_43
.LBB29_37:                              ;   in Loop: Header=BB29_16 Depth=1
	s_and_b32 vcc_lo, exec_lo, s0
	s_cbranch_vccnz .LBB29_48
.LBB29_38:                              ;   in Loop: Header=BB29_16 Depth=1
	s_cmp_gt_i32 s28, 3
	s_mov_b32 s0, -1
	s_cbranch_scc1 .LBB29_51
.LBB29_39:                              ;   in Loop: Header=BB29_16 Depth=1
	s_cmp_eq_u32 s28, 0
	s_cselect_b32 s1, -1, 0
	s_delay_alu instid0(SALU_CYCLE_1)
	s_and_not1_b32 vcc_lo, exec_lo, s1
	s_cbranch_vccz .LBB29_14
	s_branch .LBB29_52
.LBB29_40:                              ;   in Loop: Header=BB29_16 Depth=1
	s_cmp_le_i32 s26, s12
	s_mov_b32 s27, 0
	s_cbranch_scc0 .LBB29_42
; %bb.41:                               ;   in Loop: Header=BB29_16 Depth=1
	s_mov_b32 s0, -1
	s_mov_b32 s27, s1
.LBB29_42:                              ;   in Loop: Header=BB29_16 Depth=1
	v_dual_mov_b32 v14, v7 :: v_dual_mov_b32 v15, v8
	v_dual_mov_b32 v4, v12 :: v_dual_mov_b32 v13, v11
	s_mov_b32 s28, 2
	s_and_b32 vcc_lo, exec_lo, s27
	s_cbranch_vccz .LBB29_37
.LBB29_43:                              ;   in Loop: Header=BB29_16 Depth=1
	s_and_saveexec_b32 s27, s3
	s_cbranch_execz .LBB29_45
; %bb.44:                               ;   in Loop: Header=BB29_16 Depth=1
	s_add_i32 s0, s26, s7
	s_delay_alu instid0(SALU_CYCLE_1) | instskip(NEXT) | instid1(SALU_CYCLE_1)
	s_ashr_i32 s1, s0, 31
	s_lshl_b64 s[0:1], s[0:1], 2
	s_delay_alu instid0(SALU_CYCLE_1)
	s_add_u32 s0, s16, s0
	s_addc_u32 s1, s17, s1
	global_load_b32 v4, v2, s[0:1] glc
	s_waitcnt vmcnt(0)
	v_cmp_ne_u32_e32 vcc_lo, 0, v4
	s_cbranch_vccz .LBB29_53
.LBB29_45:                              ;   in Loop: Header=BB29_16 Depth=1
	s_or_b32 exec_lo, exec_lo, s27
	v_dual_mov_b32 v14, 0 :: v_dual_mov_b32 v15, 0
	s_mov_b32 s0, 0
	s_waitcnt_vscnt null, 0x0
	s_barrier
	buffer_gl0_inv
	buffer_gl1_inv
	buffer_gl0_inv
	s_and_saveexec_b32 s1, s2
	s_cbranch_execz .LBB29_47
; %bb.46:                               ;   in Loop: Header=BB29_16 Depth=1
	s_mul_i32 s27, s26, s21
	s_mul_hi_u32 s28, s26, s20
	s_ashr_i32 s29, s26, 31
	s_add_i32 s27, s28, s27
	s_mul_i32 s29, s29, s20
	s_mul_i32 s26, s26, s20
	s_add_i32 s27, s27, s29
	s_delay_alu instid0(SALU_CYCLE_1) | instskip(NEXT) | instid1(SALU_CYCLE_1)
	s_lshl_b64 s[26:27], s[26:27], 3
	v_add_co_u32 v13, vcc_lo, v5, s26
	v_add_co_ci_u32_e32 v14, vcc_lo, s27, v6, vcc_lo
	global_load_b64 v[13:14], v[13:14], off
	s_waitcnt vmcnt(0)
	v_fma_f32 v15, -v3, v13, v8
	v_fma_f32 v4, -v1, v13, v7
	s_delay_alu instid0(VALU_DEP_2) | instskip(NEXT) | instid1(VALU_DEP_2)
	v_fmac_f32_e32 v15, v1, v14
	v_fma_f32 v14, -v3, v14, v4
.LBB29_47:                              ;   in Loop: Header=BB29_16 Depth=1
	s_or_b32 exec_lo, exec_lo, s1
	v_dual_mov_b32 v4, v12 :: v_dual_mov_b32 v13, v11
	s_mov_b32 s28, 0
	s_and_b32 vcc_lo, exec_lo, s0
	s_cbranch_vccz .LBB29_38
.LBB29_48:                              ;   in Loop: Header=BB29_16 Depth=1
	s_and_not1_b32 vcc_lo, exec_lo, s23
	s_cbranch_vccnz .LBB29_50
; %bb.49:                               ;   in Loop: Header=BB29_16 Depth=1
	v_mul_f32_e32 v4, v1, v1
	s_delay_alu instid0(VALU_DEP_1) | instskip(NEXT) | instid1(VALU_DEP_1)
	v_fmac_f32_e32 v4, v3, v3
	v_div_scale_f32 v11, null, v4, v4, 1.0
	v_div_scale_f32 v14, vcc_lo, 1.0, v4, 1.0
	s_delay_alu instid0(VALU_DEP_2) | instskip(SKIP_2) | instid1(VALU_DEP_1)
	v_rcp_f32_e32 v12, v11
	s_waitcnt_depctr 0xfff
	v_fma_f32 v13, -v11, v12, 1.0
	v_fmac_f32_e32 v12, v13, v12
	s_delay_alu instid0(VALU_DEP_1) | instskip(NEXT) | instid1(VALU_DEP_1)
	v_mul_f32_e32 v13, v14, v12
	v_fma_f32 v15, -v11, v13, v14
	s_delay_alu instid0(VALU_DEP_1) | instskip(NEXT) | instid1(VALU_DEP_1)
	v_fmac_f32_e32 v13, v15, v12
	v_fma_f32 v11, -v11, v13, v14
	s_delay_alu instid0(VALU_DEP_1) | instskip(SKIP_2) | instid1(VALU_DEP_3)
	v_div_fmas_f32 v11, v11, v12, v13
	v_fma_f32 v12, 0, v1, v3
	v_fma_f32 v1, v3, 0, -v1
	v_div_fixup_f32 v4, v11, v4, 1.0
	s_delay_alu instid0(VALU_DEP_1) | instskip(NEXT) | instid1(VALU_DEP_3)
	v_mul_f32_e32 v11, v12, v4
	v_mul_f32_e32 v12, v1, v4
.LBB29_50:                              ;   in Loop: Header=BB29_16 Depth=1
	s_delay_alu instid0(VALU_DEP_1) | instskip(SKIP_2) | instid1(SALU_CYCLE_1)
	v_dual_mov_b32 v13, v11 :: v_dual_mov_b32 v4, v12
	v_dual_mov_b32 v15, v8 :: v_dual_mov_b32 v14, v7
	s_mov_b32 s28, 2
	s_cmp_gt_i32 s28, 3
	s_mov_b32 s0, -1
	s_cbranch_scc0 .LBB29_39
.LBB29_51:                              ;   in Loop: Header=BB29_16 Depth=1
	s_branch .LBB29_14
.LBB29_52:                              ;   in Loop: Header=BB29_16 Depth=1
                                        ; implicit-def: $sgpr25
	s_branch .LBB29_15
.LBB29_53:                              ;   in Loop: Header=BB29_16 Depth=1
	s_mov_b32 s28, 0
	s_branch .LBB29_55
	.p2align	6
.LBB29_54:                              ;   in Loop: Header=BB29_55 Depth=2
	global_load_b32 v4, v2, s[0:1] glc
	s_cmpk_lt_u32 s28, 0xf43
	s_cselect_b32 s29, -1, 0
	s_delay_alu instid0(SALU_CYCLE_1)
	s_cmp_lg_u32 s29, 0
	s_addc_u32 s28, s28, 0
	s_waitcnt vmcnt(0)
	v_cmp_ne_u32_e32 vcc_lo, 0, v4
	s_cbranch_vccnz .LBB29_45
.LBB29_55:                              ;   Parent Loop BB29_16 Depth=1
                                        ; =>  This Loop Header: Depth=2
                                        ;       Child Loop BB29_56 Depth 3
	s_cmp_eq_u32 s28, 0
	s_mov_b32 s29, s28
	s_cbranch_scc1 .LBB29_54
.LBB29_56:                              ;   Parent Loop BB29_16 Depth=1
                                        ;     Parent Loop BB29_55 Depth=2
                                        ; =>    This Inner Loop Header: Depth=3
	s_add_i32 s29, s29, -1
	s_sleep 1
	s_cmp_eq_u32 s29, 0
	s_cbranch_scc0 .LBB29_56
	s_branch .LBB29_54
.LBB29_57:
	v_dual_mov_b32 v4, 0 :: v_dual_mov_b32 v13, 1.0
	s_and_saveexec_b32 s0, s2
	s_cbranch_execnz .LBB29_59
	s_branch .LBB29_60
.LBB29_58:
	v_dual_mov_b32 v7, v14 :: v_dual_mov_b32 v8, v15
	s_and_saveexec_b32 s0, s2
	s_cbranch_execz .LBB29_60
.LBB29_59:
	s_delay_alu instid0(VALU_DEP_1) | instskip(NEXT) | instid1(VALU_DEP_2)
	v_mul_f32_e32 v3, v4, v8
	v_mul_f32_e64 v9, v4, -v7
	s_lshl_b64 s[2:3], s[14:15], 3
	s_cmp_eq_u32 s6, 0
	v_add_co_u32 v1, vcc_lo, v5, s2
	v_add_co_ci_u32_e32 v2, vcc_lo, s3, v6, vcc_lo
	v_fmac_f32_e32 v3, v7, v13
	s_cselect_b32 vcc_lo, -1, 0
	s_delay_alu instid0(VALU_DEP_1) | instskip(NEXT) | instid1(VALU_DEP_1)
	v_dual_fmac_f32 v9, v8, v13 :: v_dual_cndmask_b32 v4, v7, v3
	v_cndmask_b32_e32 v3, v8, v9, vcc_lo
	global_store_b64 v[1:2], v[3:4], off
.LBB29_60:
	s_or_b32 exec_lo, exec_lo, s0
	s_waitcnt_vscnt null, 0x0
	buffer_gl1_inv
	buffer_gl0_inv
	s_barrier
	buffer_gl0_inv
	s_mov_b32 s0, exec_lo
	v_cmpx_eq_u32_e32 0, v0
	s_cbranch_execz .LBB29_62
; %bb.61:
	s_add_i32 s0, s12, s7
	v_dual_mov_b32 v0, 0 :: v_dual_mov_b32 v1, 1
	s_ashr_i32 s1, s0, 31
	s_delay_alu instid0(SALU_CYCLE_1) | instskip(NEXT) | instid1(SALU_CYCLE_1)
	s_lshl_b64 s[0:1], s[0:1], 2
	s_add_u32 s0, s16, s0
	s_addc_u32 s1, s17, s1
	global_store_b32 v0, v1, s[0:1]
.LBB29_62:
	s_nop 0
	s_sendmsg sendmsg(MSG_DEALLOC_VGPRS)
	s_endpgm
	.section	.rodata,"a",@progbits
	.p2align	6, 0x0
	.amdhsa_kernel _ZN9rocsparseL5csrsmILj512ELj64ELb1Eii21rocsparse_complex_numIfEEEv20rocsparse_operation_T3_S4_NS_24const_host_device_scalarIT4_EEPKT2_PKS4_PKS6_PS6_lPiSC_PS4_21rocsparse_index_base_20rocsparse_fill_mode_20rocsparse_diag_type_b
		.amdhsa_group_segment_fixed_size 6144
		.amdhsa_private_segment_fixed_size 0
		.amdhsa_kernarg_size 104
		.amdhsa_user_sgpr_count 15
		.amdhsa_user_sgpr_dispatch_ptr 0
		.amdhsa_user_sgpr_queue_ptr 0
		.amdhsa_user_sgpr_kernarg_segment_ptr 1
		.amdhsa_user_sgpr_dispatch_id 0
		.amdhsa_user_sgpr_private_segment_size 0
		.amdhsa_wavefront_size32 1
		.amdhsa_uses_dynamic_stack 0
		.amdhsa_enable_private_segment 0
		.amdhsa_system_sgpr_workgroup_id_x 1
		.amdhsa_system_sgpr_workgroup_id_y 0
		.amdhsa_system_sgpr_workgroup_id_z 0
		.amdhsa_system_sgpr_workgroup_info 0
		.amdhsa_system_vgpr_workitem_id 0
		.amdhsa_next_free_vgpr 18
		.amdhsa_next_free_sgpr 30
		.amdhsa_reserve_vcc 1
		.amdhsa_float_round_mode_32 0
		.amdhsa_float_round_mode_16_64 0
		.amdhsa_float_denorm_mode_32 3
		.amdhsa_float_denorm_mode_16_64 3
		.amdhsa_dx10_clamp 1
		.amdhsa_ieee_mode 1
		.amdhsa_fp16_overflow 0
		.amdhsa_workgroup_processor_mode 1
		.amdhsa_memory_ordered 1
		.amdhsa_forward_progress 0
		.amdhsa_shared_vgpr_count 0
		.amdhsa_exception_fp_ieee_invalid_op 0
		.amdhsa_exception_fp_denorm_src 0
		.amdhsa_exception_fp_ieee_div_zero 0
		.amdhsa_exception_fp_ieee_overflow 0
		.amdhsa_exception_fp_ieee_underflow 0
		.amdhsa_exception_fp_ieee_inexact 0
		.amdhsa_exception_int_div_zero 0
	.end_amdhsa_kernel
	.section	.text._ZN9rocsparseL5csrsmILj512ELj64ELb1Eii21rocsparse_complex_numIfEEEv20rocsparse_operation_T3_S4_NS_24const_host_device_scalarIT4_EEPKT2_PKS4_PKS6_PS6_lPiSC_PS4_21rocsparse_index_base_20rocsparse_fill_mode_20rocsparse_diag_type_b,"axG",@progbits,_ZN9rocsparseL5csrsmILj512ELj64ELb1Eii21rocsparse_complex_numIfEEEv20rocsparse_operation_T3_S4_NS_24const_host_device_scalarIT4_EEPKT2_PKS4_PKS6_PS6_lPiSC_PS4_21rocsparse_index_base_20rocsparse_fill_mode_20rocsparse_diag_type_b,comdat
.Lfunc_end29:
	.size	_ZN9rocsparseL5csrsmILj512ELj64ELb1Eii21rocsparse_complex_numIfEEEv20rocsparse_operation_T3_S4_NS_24const_host_device_scalarIT4_EEPKT2_PKS4_PKS6_PS6_lPiSC_PS4_21rocsparse_index_base_20rocsparse_fill_mode_20rocsparse_diag_type_b, .Lfunc_end29-_ZN9rocsparseL5csrsmILj512ELj64ELb1Eii21rocsparse_complex_numIfEEEv20rocsparse_operation_T3_S4_NS_24const_host_device_scalarIT4_EEPKT2_PKS4_PKS6_PS6_lPiSC_PS4_21rocsparse_index_base_20rocsparse_fill_mode_20rocsparse_diag_type_b
                                        ; -- End function
	.section	.AMDGPU.csdata,"",@progbits
; Kernel info:
; codeLenInByte = 2116
; NumSgprs: 32
; NumVgprs: 18
; ScratchSize: 0
; MemoryBound: 0
; FloatMode: 240
; IeeeMode: 1
; LDSByteSize: 6144 bytes/workgroup (compile time only)
; SGPRBlocks: 3
; VGPRBlocks: 2
; NumSGPRsForWavesPerEU: 32
; NumVGPRsForWavesPerEU: 18
; Occupancy: 16
; WaveLimiterHint : 1
; COMPUTE_PGM_RSRC2:SCRATCH_EN: 0
; COMPUTE_PGM_RSRC2:USER_SGPR: 15
; COMPUTE_PGM_RSRC2:TRAP_HANDLER: 0
; COMPUTE_PGM_RSRC2:TGID_X_EN: 1
; COMPUTE_PGM_RSRC2:TGID_Y_EN: 0
; COMPUTE_PGM_RSRC2:TGID_Z_EN: 0
; COMPUTE_PGM_RSRC2:TIDIG_COMP_CNT: 0
	.section	.text._ZN9rocsparseL5csrsmILj512ELj64ELb0Eii21rocsparse_complex_numIfEEEv20rocsparse_operation_T3_S4_NS_24const_host_device_scalarIT4_EEPKT2_PKS4_PKS6_PS6_lPiSC_PS4_21rocsparse_index_base_20rocsparse_fill_mode_20rocsparse_diag_type_b,"axG",@progbits,_ZN9rocsparseL5csrsmILj512ELj64ELb0Eii21rocsparse_complex_numIfEEEv20rocsparse_operation_T3_S4_NS_24const_host_device_scalarIT4_EEPKT2_PKS4_PKS6_PS6_lPiSC_PS4_21rocsparse_index_base_20rocsparse_fill_mode_20rocsparse_diag_type_b,comdat
	.globl	_ZN9rocsparseL5csrsmILj512ELj64ELb0Eii21rocsparse_complex_numIfEEEv20rocsparse_operation_T3_S4_NS_24const_host_device_scalarIT4_EEPKT2_PKS4_PKS6_PS6_lPiSC_PS4_21rocsparse_index_base_20rocsparse_fill_mode_20rocsparse_diag_type_b ; -- Begin function _ZN9rocsparseL5csrsmILj512ELj64ELb0Eii21rocsparse_complex_numIfEEEv20rocsparse_operation_T3_S4_NS_24const_host_device_scalarIT4_EEPKT2_PKS4_PKS6_PS6_lPiSC_PS4_21rocsparse_index_base_20rocsparse_fill_mode_20rocsparse_diag_type_b
	.p2align	8
	.type	_ZN9rocsparseL5csrsmILj512ELj64ELb0Eii21rocsparse_complex_numIfEEEv20rocsparse_operation_T3_S4_NS_24const_host_device_scalarIT4_EEPKT2_PKS4_PKS6_PS6_lPiSC_PS4_21rocsparse_index_base_20rocsparse_fill_mode_20rocsparse_diag_type_b,@function
_ZN9rocsparseL5csrsmILj512ELj64ELb0Eii21rocsparse_complex_numIfEEEv20rocsparse_operation_T3_S4_NS_24const_host_device_scalarIT4_EEPKT2_PKS4_PKS6_PS6_lPiSC_PS4_21rocsparse_index_base_20rocsparse_fill_mode_20rocsparse_diag_type_b: ; @_ZN9rocsparseL5csrsmILj512ELj64ELb0Eii21rocsparse_complex_numIfEEEv20rocsparse_operation_T3_S4_NS_24const_host_device_scalarIT4_EEPKT2_PKS4_PKS6_PS6_lPiSC_PS4_21rocsparse_index_base_20rocsparse_fill_mode_20rocsparse_diag_type_b
; %bb.0:
	s_clause 0x2
	s_load_b128 s[4:7], s[0:1], 0x58
	s_load_b128 s[8:11], s[0:1], 0x10
	s_load_b64 s[2:3], s[0:1], 0x48
	s_waitcnt lgkmcnt(0)
	s_bitcmp1_b32 s7, 0
	s_mov_b32 s26, s8
	s_cselect_b32 s12, -1, 0
	s_delay_alu instid0(SALU_CYCLE_1)
	s_xor_b32 s7, s12, -1
	s_and_b32 vcc_lo, exec_lo, s12
	s_cbranch_vccnz .LBB30_2
; %bb.1:
	s_load_b32 s26, s[8:9], 0x0
.LBB30_2:
	s_load_b64 s[22:23], s[0:1], 0x30
	s_and_not1_b32 vcc_lo, exec_lo, s7
	s_cbranch_vccnz .LBB30_4
; %bb.3:
	s_load_b32 s9, s[8:9], 0x4
.LBB30_4:
	s_clause 0x1
	s_load_b128 s[16:19], s[0:1], 0x0
	s_load_b64 s[20:21], s[0:1], 0x38
	s_waitcnt lgkmcnt(0)
	v_cvt_f32_u32_e32 v1, s17
	s_sub_i32 s8, 0, s17
	s_delay_alu instid0(VALU_DEP_1) | instskip(SKIP_2) | instid1(VALU_DEP_1)
	v_rcp_iflag_f32_e32 v1, v1
	s_waitcnt_depctr 0xfff
	v_mul_f32_e32 v1, 0x4f7ffffe, v1
	v_cvt_u32_f32_e32 v1, v1
	s_delay_alu instid0(VALU_DEP_1) | instskip(NEXT) | instid1(VALU_DEP_1)
	v_readfirstlane_b32 s7, v1
	s_mul_i32 s8, s8, s7
	s_delay_alu instid0(SALU_CYCLE_1) | instskip(NEXT) | instid1(SALU_CYCLE_1)
	s_mul_hi_u32 s8, s7, s8
	s_add_i32 s7, s7, s8
	s_delay_alu instid0(SALU_CYCLE_1) | instskip(NEXT) | instid1(SALU_CYCLE_1)
	s_mul_hi_u32 s7, s15, s7
	s_mul_i32 s8, s7, s17
	s_add_i32 s12, s7, 1
	s_sub_i32 s8, s15, s8
	s_delay_alu instid0(SALU_CYCLE_1)
	s_sub_i32 s13, s8, s17
	s_cmp_ge_u32 s8, s17
	s_cselect_b32 s7, s12, s7
	s_cselect_b32 s8, s13, s8
	s_add_i32 s12, s7, 1
	s_cmp_ge_u32 s8, s17
	s_cselect_b32 s8, s12, s7
	s_delay_alu instid0(SALU_CYCLE_1) | instskip(SKIP_2) | instid1(SALU_CYCLE_1)
	s_mul_i32 s7, s8, s17
	v_lshl_or_b32 v1, s8, 9, v0
	s_sub_i32 s12, s15, s7
	s_ashr_i32 s13, s12, 31
	s_delay_alu instid0(VALU_DEP_1) | instskip(SKIP_1) | instid1(SALU_CYCLE_1)
	v_ashrrev_i32_e32 v2, 31, v1
	s_lshl_b64 s[12:13], s[12:13], 2
	s_add_u32 s2, s2, s12
	s_addc_u32 s3, s3, s13
	s_load_b32 s12, s[2:3], 0x0
	s_waitcnt lgkmcnt(0)
	s_ashr_i32 s13, s12, 31
	s_mul_i32 s14, s12, s20
	s_lshl_b64 s[2:3], s[12:13], 2
	v_add_co_u32 v3, vcc_lo, s14, v1
	s_add_u32 s2, s10, s2
	s_addc_u32 s3, s11, s3
	s_load_b64 s[24:25], s[2:3], 0x0
	s_mul_i32 s2, s12, s21
	s_mul_hi_u32 s3, s12, s20
	s_delay_alu instid0(SALU_CYCLE_1) | instskip(SKIP_1) | instid1(SALU_CYCLE_1)
	s_add_i32 s2, s3, s2
	s_mul_i32 s3, s13, s20
	s_add_i32 s15, s2, s3
	v_cmp_gt_i32_e64 s2, s18, v1
	v_add_co_ci_u32_e32 v4, vcc_lo, s15, v2, vcc_lo
	s_cmpk_lg_i32 s16, 0x71
	s_cbranch_scc0 .LBB30_8
; %bb.5:
	v_dual_mov_b32 v7, 0 :: v_dual_mov_b32 v8, 0
	s_mov_b32 s3, 0
	s_and_saveexec_b32 s8, s2
	s_cbranch_execz .LBB30_7
; %bb.6:
	v_lshlrev_b64 v[5:6], 3, v[3:4]
	s_delay_alu instid0(VALU_DEP_1) | instskip(NEXT) | instid1(VALU_DEP_2)
	v_add_co_u32 v5, vcc_lo, s22, v5
	v_add_co_ci_u32_e32 v6, vcc_lo, s23, v6, vcc_lo
	global_load_b64 v[5:6], v[5:6], off
	s_waitcnt vmcnt(0)
	v_mul_f32_e64 v8, v6, -s9
	s_delay_alu instid0(VALU_DEP_1) | instskip(NEXT) | instid1(VALU_DEP_1)
	v_dual_mul_f32 v7, s26, v6 :: v_dual_fmac_f32 v8, s26, v5
	v_fmac_f32_e32 v7, s9, v5
.LBB30_7:
	s_or_b32 exec_lo, exec_lo, s8
	s_load_b64 s[16:17], s[0:1], 0x40
	s_and_not1_b32 vcc_lo, exec_lo, s3
	s_cbranch_vccz .LBB30_9
	s_branch .LBB30_12
.LBB30_8:
                                        ; implicit-def: $vgpr7
                                        ; implicit-def: $vgpr8
	s_load_b64 s[16:17], s[0:1], 0x40
.LBB30_9:
	v_dual_mov_b32 v7, 0 :: v_dual_mov_b32 v8, 0
	s_and_saveexec_b32 s3, s2
	s_cbranch_execz .LBB30_11
; %bb.10:
	v_lshlrev_b64 v[3:4], 3, v[3:4]
	s_delay_alu instid0(VALU_DEP_1) | instskip(NEXT) | instid1(VALU_DEP_2)
	v_add_co_u32 v3, vcc_lo, s22, v3
	v_add_co_ci_u32_e32 v4, vcc_lo, s23, v4, vcc_lo
	global_load_b64 v[3:4], v[3:4], off
	s_waitcnt vmcnt(0)
	v_mul_f32_e64 v7, s26, -v4
	s_delay_alu instid0(VALU_DEP_1) | instskip(NEXT) | instid1(VALU_DEP_1)
	v_dual_mul_f32 v8, s9, v4 :: v_dual_fmac_f32 v7, s9, v3
	v_fmac_f32_e32 v8, s26, v3
.LBB30_11:
	s_or_b32 exec_lo, exec_lo, s3
.LBB30_12:
	v_lshlrev_b64 v[1:2], 3, v[1:2]
	v_cmp_eq_u32_e64 s3, 0, v0
	s_waitcnt lgkmcnt(0)
	s_cmp_ge_i32 s24, s25
	s_delay_alu instid0(VALU_DEP_2) | instskip(NEXT) | instid1(VALU_DEP_3)
	v_add_co_u32 v5, vcc_lo, s22, v1
	v_add_co_ci_u32_e32 v6, vcc_lo, s23, v2, vcc_lo
	s_cbranch_scc1 .LBB30_54
; %bb.13:
	s_clause 0x1
	s_load_b64 s[18:19], s[0:1], 0x50
	s_load_b128 s[8:11], s[0:1], 0x20
	s_sub_i32 s13, s24, s4
	s_sub_i32 s22, s25, s4
	v_lshl_or_b32 v9, v0, 2, 0x1000
	v_dual_mov_b32 v11, 1.0 :: v_dual_lshlrev_b32 v10, 3, v0
	v_mov_b32_e32 v2, 0
	v_mov_b32_e32 v12, 0
	s_cmp_eq_u32 s6, 0
	s_mov_b32 s25, s13
	s_cselect_b32 s23, -1, 0
	s_add_i32 s24, s12, s4
	s_branch .LBB30_16
.LBB30_14:                              ;   in Loop: Header=BB30_16 Depth=1
	s_add_i32 s25, s25, 1
	s_delay_alu instid0(SALU_CYCLE_1)
	s_cmp_ge_i32 s25, s22
	s_cselect_b32 s0, -1, 0
.LBB30_15:                              ;   in Loop: Header=BB30_16 Depth=1
	v_dual_mov_b32 v7, v14 :: v_dual_mov_b32 v8, v15
	v_dual_mov_b32 v12, v4 :: v_dual_mov_b32 v11, v13
	s_and_not1_b32 vcc_lo, exec_lo, s0
	s_cbranch_vccz .LBB30_55
.LBB30_16:                              ; =>This Loop Header: Depth=1
                                        ;     Child Loop BB30_45 Depth 2
	s_sub_i32 s0, s25, s13
	s_delay_alu instid0(SALU_CYCLE_1) | instskip(NEXT) | instid1(SALU_CYCLE_1)
	s_and_b32 s0, s0, 0x1ff
	s_cmp_lg_u32 s0, 0
	s_cbranch_scc1 .LBB30_20
; %bb.17:                               ;   in Loop: Header=BB30_16 Depth=1
	s_sub_i32 s1, s22, s25
	v_dual_mov_b32 v1, -1 :: v_dual_mov_b32 v4, 0
	v_cmp_gt_u32_e32 vcc_lo, s1, v0
	v_mov_b32_e32 v3, -1.0
	s_and_saveexec_b32 s1, vcc_lo
	s_cbranch_execz .LBB30_19
; %bb.18:                               ;   in Loop: Header=BB30_16 Depth=1
	v_add_nc_u32_e32 v1, s25, v0
	s_delay_alu instid0(VALU_DEP_1) | instskip(SKIP_2) | instid1(VALU_DEP_2)
	v_lshlrev_b64 v[3:4], 2, v[1:2]
	v_lshlrev_b64 v[13:14], 3, v[1:2]
	s_waitcnt lgkmcnt(0)
	v_add_co_u32 v3, vcc_lo, s8, v3
	s_delay_alu instid0(VALU_DEP_3)
	v_add_co_ci_u32_e32 v4, vcc_lo, s9, v4, vcc_lo
	global_load_b32 v1, v[3:4], off
	v_add_co_u32 v3, vcc_lo, s10, v13
	v_add_co_ci_u32_e32 v4, vcc_lo, s11, v14, vcc_lo
	global_load_b64 v[3:4], v[3:4], off
	s_waitcnt vmcnt(1)
	v_subrev_nc_u32_e32 v1, s4, v1
.LBB30_19:                              ;   in Loop: Header=BB30_16 Depth=1
	s_or_b32 exec_lo, exec_lo, s1
	ds_store_b32 v9, v1
	s_waitcnt vmcnt(0)
	ds_store_b64 v10, v[3:4]
.LBB30_20:                              ;   in Loop: Header=BB30_16 Depth=1
	s_lshl_b32 s1, s0, 3
	s_lshl_b32 s0, s0, 2
	v_mov_b32_e32 v1, s1
	v_mov_b32_e32 v13, s0
	s_waitcnt lgkmcnt(0)
	s_waitcnt_vscnt null, 0x0
	s_barrier
	buffer_gl0_inv
	ds_load_b64 v[3:4], v1
	ds_load_b32 v1, v13 offset:4096
	s_waitcnt lgkmcnt(1)
	v_cmp_eq_f32_e32 vcc_lo, 0, v3
	v_cmp_eq_f32_e64 s0, 0, v4
	s_waitcnt lgkmcnt(0)
	v_readfirstlane_b32 s26, v1
	v_cmp_ne_u32_e64 s1, s12, v1
	s_delay_alu instid0(VALU_DEP_3) | instskip(NEXT) | instid1(VALU_DEP_2)
	s_and_b32 s0, vcc_lo, s0
	s_cmp_eq_u32 s26, s12
	s_cselect_b32 s28, -1, 0
	s_delay_alu instid0(SALU_CYCLE_1) | instskip(NEXT) | instid1(SALU_CYCLE_1)
	s_and_b32 s0, s0, s28
	s_and_b32 s0, s23, s0
	s_delay_alu instid0(SALU_CYCLE_1) | instskip(SKIP_2) | instid1(SALU_CYCLE_1)
	v_cndmask_b32_e64 v1, v4, 0, s0
	v_cndmask_b32_e64 v3, v3, 1.0, s0
	s_and_b32 s27, s3, s0
	s_and_saveexec_b32 s0, s27
	s_cbranch_execz .LBB30_24
; %bb.21:                               ;   in Loop: Header=BB30_16 Depth=1
	v_mbcnt_lo_u32_b32 v1, exec_lo, 0
	s_mov_b32 s27, exec_lo
	s_delay_alu instid0(VALU_DEP_1)
	v_cmpx_eq_u32_e32 0, v1
	s_cbranch_execz .LBB30_23
; %bb.22:                               ;   in Loop: Header=BB30_16 Depth=1
	v_mov_b32_e32 v1, s24
	global_atomic_min_i32 v2, v1, s[18:19]
.LBB30_23:                              ;   in Loop: Header=BB30_16 Depth=1
	s_or_b32 exec_lo, exec_lo, s27
	v_mov_b32_e32 v1, 0
	v_mov_b32_e32 v3, 1.0
.LBB30_24:                              ;   in Loop: Header=BB30_16 Depth=1
	s_or_b32 exec_lo, exec_lo, s0
	s_cmp_lt_i32 s5, 1
	s_mov_b32 s0, 0
	s_cbranch_scc1 .LBB30_30
; %bb.25:                               ;   in Loop: Header=BB30_16 Depth=1
	s_cmp_eq_u32 s5, 1
	s_cbranch_scc0 .LBB30_31
; %bb.26:                               ;   in Loop: Header=BB30_16 Depth=1
	v_dual_mov_b32 v4, v12 :: v_dual_mov_b32 v13, v11
	s_cmp_ge_i32 s26, s12
	s_mov_b32 s27, 0
	s_cbranch_scc0 .LBB30_33
; %bb.27:                               ;   in Loop: Header=BB30_16 Depth=1
	s_and_b32 vcc_lo, exec_lo, s28
	s_cbranch_vccz .LBB30_32
; %bb.28:                               ;   in Loop: Header=BB30_16 Depth=1
	v_dual_mov_b32 v4, v12 :: v_dual_mov_b32 v13, v11
	s_and_not1_b32 vcc_lo, exec_lo, s23
	s_cbranch_vccnz .LBB30_33
; %bb.29:                               ;   in Loop: Header=BB30_16 Depth=1
	v_mul_f32_e32 v4, v1, v1
	s_delay_alu instid0(VALU_DEP_1) | instskip(NEXT) | instid1(VALU_DEP_1)
	v_fmac_f32_e32 v4, v3, v3
	v_div_scale_f32 v13, null, v4, v4, 1.0
	v_div_scale_f32 v16, vcc_lo, 1.0, v4, 1.0
	s_delay_alu instid0(VALU_DEP_2) | instskip(SKIP_2) | instid1(VALU_DEP_1)
	v_rcp_f32_e32 v14, v13
	s_waitcnt_depctr 0xfff
	v_fma_f32 v15, -v13, v14, 1.0
	v_fmac_f32_e32 v14, v15, v14
	s_delay_alu instid0(VALU_DEP_1) | instskip(NEXT) | instid1(VALU_DEP_1)
	v_mul_f32_e32 v15, v16, v14
	v_fma_f32 v17, -v13, v15, v16
	s_delay_alu instid0(VALU_DEP_1) | instskip(NEXT) | instid1(VALU_DEP_1)
	v_fmac_f32_e32 v15, v17, v14
	v_fma_f32 v13, -v13, v15, v16
	s_delay_alu instid0(VALU_DEP_1) | instskip(SKIP_2) | instid1(VALU_DEP_3)
	v_div_fmas_f32 v13, v13, v14, v15
	v_fma_f32 v14, 0, v1, v3
	v_fma_f32 v15, v3, 0, -v1
	v_div_fixup_f32 v4, v13, v4, 1.0
	s_delay_alu instid0(VALU_DEP_1) | instskip(NEXT) | instid1(VALU_DEP_3)
	v_mul_f32_e32 v13, v14, v4
	v_mul_f32_e32 v4, v15, v4
	s_branch .LBB30_33
.LBB30_30:                              ;   in Loop: Header=BB30_16 Depth=1
	s_mov_b32 s27, 0
                                        ; implicit-def: $sgpr28
                                        ; implicit-def: $vgpr14
                                        ; implicit-def: $vgpr15
                                        ; implicit-def: $vgpr4
                                        ; implicit-def: $vgpr13
	s_cbranch_execnz .LBB30_34
	s_branch .LBB30_36
.LBB30_31:                              ;   in Loop: Header=BB30_16 Depth=1
	s_mov_b32 s27, -1
                                        ; implicit-def: $sgpr28
                                        ; implicit-def: $vgpr14
                                        ; implicit-def: $vgpr15
                                        ; implicit-def: $vgpr4
                                        ; implicit-def: $vgpr13
	s_branch .LBB30_36
.LBB30_32:                              ;   in Loop: Header=BB30_16 Depth=1
	s_mov_b32 s27, -1
                                        ; implicit-def: $vgpr4
                                        ; implicit-def: $vgpr13
.LBB30_33:                              ;   in Loop: Header=BB30_16 Depth=1
	v_dual_mov_b32 v14, v7 :: v_dual_mov_b32 v15, v8
	s_mov_b32 s28, 4
	s_branch .LBB30_36
.LBB30_34:                              ;   in Loop: Header=BB30_16 Depth=1
	s_cmp_eq_u32 s5, 0
	s_cbranch_scc1 .LBB30_40
; %bb.35:                               ;   in Loop: Header=BB30_16 Depth=1
	s_mov_b32 s27, -1
                                        ; implicit-def: $sgpr28
                                        ; implicit-def: $vgpr14
                                        ; implicit-def: $vgpr15
                                        ; implicit-def: $vgpr4
                                        ; implicit-def: $vgpr13
.LBB30_36:                              ;   in Loop: Header=BB30_16 Depth=1
	s_delay_alu instid0(SALU_CYCLE_1)
	s_and_b32 vcc_lo, exec_lo, s27
	s_cbranch_vccnz .LBB30_43
.LBB30_37:                              ;   in Loop: Header=BB30_16 Depth=1
	s_and_b32 vcc_lo, exec_lo, s0
	s_cbranch_vccnz .LBB30_49
.LBB30_38:                              ;   in Loop: Header=BB30_16 Depth=1
	s_cmp_gt_i32 s28, 3
	s_mov_b32 s0, -1
	s_cbranch_scc1 .LBB30_52
.LBB30_39:                              ;   in Loop: Header=BB30_16 Depth=1
	s_cmp_eq_u32 s28, 0
	s_cselect_b32 s1, -1, 0
	s_delay_alu instid0(SALU_CYCLE_1)
	s_and_not1_b32 vcc_lo, exec_lo, s1
	s_cbranch_vccz .LBB30_14
	s_branch .LBB30_53
.LBB30_40:                              ;   in Loop: Header=BB30_16 Depth=1
	s_cmp_le_i32 s26, s12
	s_mov_b32 s27, 0
	s_cbranch_scc0 .LBB30_42
; %bb.41:                               ;   in Loop: Header=BB30_16 Depth=1
	s_mov_b32 s0, -1
	s_mov_b32 s27, s1
.LBB30_42:                              ;   in Loop: Header=BB30_16 Depth=1
	v_dual_mov_b32 v14, v7 :: v_dual_mov_b32 v15, v8
	v_dual_mov_b32 v4, v12 :: v_dual_mov_b32 v13, v11
	s_mov_b32 s28, 2
	s_and_b32 vcc_lo, exec_lo, s27
	s_cbranch_vccz .LBB30_37
.LBB30_43:                              ;   in Loop: Header=BB30_16 Depth=1
	s_and_saveexec_b32 s27, s3
	s_cbranch_execz .LBB30_46
; %bb.44:                               ;   in Loop: Header=BB30_16 Depth=1
	s_add_i32 s0, s26, s7
	s_delay_alu instid0(SALU_CYCLE_1) | instskip(NEXT) | instid1(SALU_CYCLE_1)
	s_ashr_i32 s1, s0, 31
	s_lshl_b64 s[0:1], s[0:1], 2
	s_delay_alu instid0(SALU_CYCLE_1)
	s_add_u32 s0, s16, s0
	s_addc_u32 s1, s17, s1
	global_load_b32 v4, v2, s[0:1] glc
	s_waitcnt vmcnt(0)
	v_cmp_ne_u32_e32 vcc_lo, 0, v4
	s_cbranch_vccnz .LBB30_46
.LBB30_45:                              ;   Parent Loop BB30_16 Depth=1
                                        ; =>  This Inner Loop Header: Depth=2
	global_load_b32 v4, v2, s[0:1] glc
	s_waitcnt vmcnt(0)
	v_cmp_eq_u32_e32 vcc_lo, 0, v4
	s_cbranch_vccnz .LBB30_45
.LBB30_46:                              ;   in Loop: Header=BB30_16 Depth=1
	s_or_b32 exec_lo, exec_lo, s27
	v_dual_mov_b32 v14, 0 :: v_dual_mov_b32 v15, 0
	s_mov_b32 s0, 0
	s_waitcnt_vscnt null, 0x0
	s_barrier
	buffer_gl0_inv
	buffer_gl1_inv
	buffer_gl0_inv
	s_and_saveexec_b32 s1, s2
	s_cbranch_execz .LBB30_48
; %bb.47:                               ;   in Loop: Header=BB30_16 Depth=1
	s_mul_i32 s27, s26, s21
	s_mul_hi_u32 s28, s26, s20
	s_ashr_i32 s29, s26, 31
	s_add_i32 s27, s28, s27
	s_mul_i32 s29, s29, s20
	s_mul_i32 s26, s26, s20
	s_add_i32 s27, s27, s29
	s_delay_alu instid0(SALU_CYCLE_1) | instskip(NEXT) | instid1(SALU_CYCLE_1)
	s_lshl_b64 s[26:27], s[26:27], 3
	v_add_co_u32 v13, vcc_lo, v5, s26
	v_add_co_ci_u32_e32 v14, vcc_lo, s27, v6, vcc_lo
	global_load_b64 v[13:14], v[13:14], off
	s_waitcnt vmcnt(0)
	v_fma_f32 v15, -v3, v13, v8
	v_fma_f32 v4, -v1, v13, v7
	s_delay_alu instid0(VALU_DEP_2) | instskip(NEXT) | instid1(VALU_DEP_2)
	v_fmac_f32_e32 v15, v1, v14
	v_fma_f32 v14, -v3, v14, v4
.LBB30_48:                              ;   in Loop: Header=BB30_16 Depth=1
	s_or_b32 exec_lo, exec_lo, s1
	v_dual_mov_b32 v4, v12 :: v_dual_mov_b32 v13, v11
	s_mov_b32 s28, 0
	s_and_b32 vcc_lo, exec_lo, s0
	s_cbranch_vccz .LBB30_38
.LBB30_49:                              ;   in Loop: Header=BB30_16 Depth=1
	s_and_not1_b32 vcc_lo, exec_lo, s23
	s_cbranch_vccnz .LBB30_51
; %bb.50:                               ;   in Loop: Header=BB30_16 Depth=1
	v_mul_f32_e32 v4, v1, v1
	s_delay_alu instid0(VALU_DEP_1) | instskip(NEXT) | instid1(VALU_DEP_1)
	v_fmac_f32_e32 v4, v3, v3
	v_div_scale_f32 v11, null, v4, v4, 1.0
	v_div_scale_f32 v14, vcc_lo, 1.0, v4, 1.0
	s_delay_alu instid0(VALU_DEP_2) | instskip(SKIP_2) | instid1(VALU_DEP_1)
	v_rcp_f32_e32 v12, v11
	s_waitcnt_depctr 0xfff
	v_fma_f32 v13, -v11, v12, 1.0
	v_fmac_f32_e32 v12, v13, v12
	s_delay_alu instid0(VALU_DEP_1) | instskip(NEXT) | instid1(VALU_DEP_1)
	v_mul_f32_e32 v13, v14, v12
	v_fma_f32 v15, -v11, v13, v14
	s_delay_alu instid0(VALU_DEP_1) | instskip(NEXT) | instid1(VALU_DEP_1)
	v_fmac_f32_e32 v13, v15, v12
	v_fma_f32 v11, -v11, v13, v14
	s_delay_alu instid0(VALU_DEP_1) | instskip(SKIP_2) | instid1(VALU_DEP_3)
	v_div_fmas_f32 v11, v11, v12, v13
	v_fma_f32 v12, 0, v1, v3
	v_fma_f32 v1, v3, 0, -v1
	v_div_fixup_f32 v4, v11, v4, 1.0
	s_delay_alu instid0(VALU_DEP_1) | instskip(NEXT) | instid1(VALU_DEP_3)
	v_mul_f32_e32 v11, v12, v4
	v_mul_f32_e32 v12, v1, v4
.LBB30_51:                              ;   in Loop: Header=BB30_16 Depth=1
	s_delay_alu instid0(VALU_DEP_1) | instskip(SKIP_2) | instid1(SALU_CYCLE_1)
	v_dual_mov_b32 v13, v11 :: v_dual_mov_b32 v4, v12
	v_dual_mov_b32 v15, v8 :: v_dual_mov_b32 v14, v7
	s_mov_b32 s28, 2
	s_cmp_gt_i32 s28, 3
	s_mov_b32 s0, -1
	s_cbranch_scc0 .LBB30_39
.LBB30_52:                              ;   in Loop: Header=BB30_16 Depth=1
	s_branch .LBB30_14
.LBB30_53:                              ;   in Loop: Header=BB30_16 Depth=1
                                        ; implicit-def: $sgpr25
	s_branch .LBB30_15
.LBB30_54:
	v_dual_mov_b32 v4, 0 :: v_dual_mov_b32 v13, 1.0
	s_and_saveexec_b32 s0, s2
	s_cbranch_execnz .LBB30_56
	s_branch .LBB30_57
.LBB30_55:
	v_dual_mov_b32 v7, v14 :: v_dual_mov_b32 v8, v15
	s_and_saveexec_b32 s0, s2
	s_cbranch_execz .LBB30_57
.LBB30_56:
	s_delay_alu instid0(VALU_DEP_1) | instskip(NEXT) | instid1(VALU_DEP_2)
	v_mul_f32_e32 v3, v4, v8
	v_mul_f32_e64 v9, v4, -v7
	s_lshl_b64 s[2:3], s[14:15], 3
	s_cmp_eq_u32 s6, 0
	v_add_co_u32 v1, vcc_lo, v5, s2
	v_add_co_ci_u32_e32 v2, vcc_lo, s3, v6, vcc_lo
	v_fmac_f32_e32 v3, v7, v13
	s_cselect_b32 vcc_lo, -1, 0
	s_delay_alu instid0(VALU_DEP_1) | instskip(NEXT) | instid1(VALU_DEP_1)
	v_dual_fmac_f32 v9, v8, v13 :: v_dual_cndmask_b32 v4, v7, v3
	v_cndmask_b32_e32 v3, v8, v9, vcc_lo
	global_store_b64 v[1:2], v[3:4], off
.LBB30_57:
	s_or_b32 exec_lo, exec_lo, s0
	s_waitcnt_vscnt null, 0x0
	buffer_gl1_inv
	buffer_gl0_inv
	s_barrier
	buffer_gl0_inv
	s_mov_b32 s0, exec_lo
	v_cmpx_eq_u32_e32 0, v0
	s_cbranch_execz .LBB30_59
; %bb.58:
	s_add_i32 s0, s12, s7
	v_dual_mov_b32 v0, 0 :: v_dual_mov_b32 v1, 1
	s_ashr_i32 s1, s0, 31
	s_delay_alu instid0(SALU_CYCLE_1) | instskip(NEXT) | instid1(SALU_CYCLE_1)
	s_lshl_b64 s[0:1], s[0:1], 2
	s_add_u32 s0, s16, s0
	s_addc_u32 s1, s17, s1
	global_store_b32 v0, v1, s[0:1]
.LBB30_59:
	s_nop 0
	s_sendmsg sendmsg(MSG_DEALLOC_VGPRS)
	s_endpgm
	.section	.rodata,"a",@progbits
	.p2align	6, 0x0
	.amdhsa_kernel _ZN9rocsparseL5csrsmILj512ELj64ELb0Eii21rocsparse_complex_numIfEEEv20rocsparse_operation_T3_S4_NS_24const_host_device_scalarIT4_EEPKT2_PKS4_PKS6_PS6_lPiSC_PS4_21rocsparse_index_base_20rocsparse_fill_mode_20rocsparse_diag_type_b
		.amdhsa_group_segment_fixed_size 6144
		.amdhsa_private_segment_fixed_size 0
		.amdhsa_kernarg_size 104
		.amdhsa_user_sgpr_count 15
		.amdhsa_user_sgpr_dispatch_ptr 0
		.amdhsa_user_sgpr_queue_ptr 0
		.amdhsa_user_sgpr_kernarg_segment_ptr 1
		.amdhsa_user_sgpr_dispatch_id 0
		.amdhsa_user_sgpr_private_segment_size 0
		.amdhsa_wavefront_size32 1
		.amdhsa_uses_dynamic_stack 0
		.amdhsa_enable_private_segment 0
		.amdhsa_system_sgpr_workgroup_id_x 1
		.amdhsa_system_sgpr_workgroup_id_y 0
		.amdhsa_system_sgpr_workgroup_id_z 0
		.amdhsa_system_sgpr_workgroup_info 0
		.amdhsa_system_vgpr_workitem_id 0
		.amdhsa_next_free_vgpr 18
		.amdhsa_next_free_sgpr 30
		.amdhsa_reserve_vcc 1
		.amdhsa_float_round_mode_32 0
		.amdhsa_float_round_mode_16_64 0
		.amdhsa_float_denorm_mode_32 3
		.amdhsa_float_denorm_mode_16_64 3
		.amdhsa_dx10_clamp 1
		.amdhsa_ieee_mode 1
		.amdhsa_fp16_overflow 0
		.amdhsa_workgroup_processor_mode 1
		.amdhsa_memory_ordered 1
		.amdhsa_forward_progress 0
		.amdhsa_shared_vgpr_count 0
		.amdhsa_exception_fp_ieee_invalid_op 0
		.amdhsa_exception_fp_denorm_src 0
		.amdhsa_exception_fp_ieee_div_zero 0
		.amdhsa_exception_fp_ieee_overflow 0
		.amdhsa_exception_fp_ieee_underflow 0
		.amdhsa_exception_fp_ieee_inexact 0
		.amdhsa_exception_int_div_zero 0
	.end_amdhsa_kernel
	.section	.text._ZN9rocsparseL5csrsmILj512ELj64ELb0Eii21rocsparse_complex_numIfEEEv20rocsparse_operation_T3_S4_NS_24const_host_device_scalarIT4_EEPKT2_PKS4_PKS6_PS6_lPiSC_PS4_21rocsparse_index_base_20rocsparse_fill_mode_20rocsparse_diag_type_b,"axG",@progbits,_ZN9rocsparseL5csrsmILj512ELj64ELb0Eii21rocsparse_complex_numIfEEEv20rocsparse_operation_T3_S4_NS_24const_host_device_scalarIT4_EEPKT2_PKS4_PKS6_PS6_lPiSC_PS4_21rocsparse_index_base_20rocsparse_fill_mode_20rocsparse_diag_type_b,comdat
.Lfunc_end30:
	.size	_ZN9rocsparseL5csrsmILj512ELj64ELb0Eii21rocsparse_complex_numIfEEEv20rocsparse_operation_T3_S4_NS_24const_host_device_scalarIT4_EEPKT2_PKS4_PKS6_PS6_lPiSC_PS4_21rocsparse_index_base_20rocsparse_fill_mode_20rocsparse_diag_type_b, .Lfunc_end30-_ZN9rocsparseL5csrsmILj512ELj64ELb0Eii21rocsparse_complex_numIfEEEv20rocsparse_operation_T3_S4_NS_24const_host_device_scalarIT4_EEPKT2_PKS4_PKS6_PS6_lPiSC_PS4_21rocsparse_index_base_20rocsparse_fill_mode_20rocsparse_diag_type_b
                                        ; -- End function
	.section	.AMDGPU.csdata,"",@progbits
; Kernel info:
; codeLenInByte = 2056
; NumSgprs: 32
; NumVgprs: 18
; ScratchSize: 0
; MemoryBound: 0
; FloatMode: 240
; IeeeMode: 1
; LDSByteSize: 6144 bytes/workgroup (compile time only)
; SGPRBlocks: 3
; VGPRBlocks: 2
; NumSGPRsForWavesPerEU: 32
; NumVGPRsForWavesPerEU: 18
; Occupancy: 16
; WaveLimiterHint : 1
; COMPUTE_PGM_RSRC2:SCRATCH_EN: 0
; COMPUTE_PGM_RSRC2:USER_SGPR: 15
; COMPUTE_PGM_RSRC2:TRAP_HANDLER: 0
; COMPUTE_PGM_RSRC2:TGID_X_EN: 1
; COMPUTE_PGM_RSRC2:TGID_Y_EN: 0
; COMPUTE_PGM_RSRC2:TGID_Z_EN: 0
; COMPUTE_PGM_RSRC2:TIDIG_COMP_CNT: 0
	.section	.text._ZN9rocsparseL5csrsmILj1024ELj64ELb1Eii21rocsparse_complex_numIfEEEv20rocsparse_operation_T3_S4_NS_24const_host_device_scalarIT4_EEPKT2_PKS4_PKS6_PS6_lPiSC_PS4_21rocsparse_index_base_20rocsparse_fill_mode_20rocsparse_diag_type_b,"axG",@progbits,_ZN9rocsparseL5csrsmILj1024ELj64ELb1Eii21rocsparse_complex_numIfEEEv20rocsparse_operation_T3_S4_NS_24const_host_device_scalarIT4_EEPKT2_PKS4_PKS6_PS6_lPiSC_PS4_21rocsparse_index_base_20rocsparse_fill_mode_20rocsparse_diag_type_b,comdat
	.globl	_ZN9rocsparseL5csrsmILj1024ELj64ELb1Eii21rocsparse_complex_numIfEEEv20rocsparse_operation_T3_S4_NS_24const_host_device_scalarIT4_EEPKT2_PKS4_PKS6_PS6_lPiSC_PS4_21rocsparse_index_base_20rocsparse_fill_mode_20rocsparse_diag_type_b ; -- Begin function _ZN9rocsparseL5csrsmILj1024ELj64ELb1Eii21rocsparse_complex_numIfEEEv20rocsparse_operation_T3_S4_NS_24const_host_device_scalarIT4_EEPKT2_PKS4_PKS6_PS6_lPiSC_PS4_21rocsparse_index_base_20rocsparse_fill_mode_20rocsparse_diag_type_b
	.p2align	8
	.type	_ZN9rocsparseL5csrsmILj1024ELj64ELb1Eii21rocsparse_complex_numIfEEEv20rocsparse_operation_T3_S4_NS_24const_host_device_scalarIT4_EEPKT2_PKS4_PKS6_PS6_lPiSC_PS4_21rocsparse_index_base_20rocsparse_fill_mode_20rocsparse_diag_type_b,@function
_ZN9rocsparseL5csrsmILj1024ELj64ELb1Eii21rocsparse_complex_numIfEEEv20rocsparse_operation_T3_S4_NS_24const_host_device_scalarIT4_EEPKT2_PKS4_PKS6_PS6_lPiSC_PS4_21rocsparse_index_base_20rocsparse_fill_mode_20rocsparse_diag_type_b: ; @_ZN9rocsparseL5csrsmILj1024ELj64ELb1Eii21rocsparse_complex_numIfEEEv20rocsparse_operation_T3_S4_NS_24const_host_device_scalarIT4_EEPKT2_PKS4_PKS6_PS6_lPiSC_PS4_21rocsparse_index_base_20rocsparse_fill_mode_20rocsparse_diag_type_b
; %bb.0:
	s_clause 0x2
	s_load_b128 s[4:7], s[0:1], 0x58
	s_load_b128 s[8:11], s[0:1], 0x10
	s_load_b64 s[2:3], s[0:1], 0x48
	s_waitcnt lgkmcnt(0)
	s_bitcmp1_b32 s7, 0
	s_mov_b32 s24, s8
	s_cselect_b32 s12, -1, 0
	s_delay_alu instid0(SALU_CYCLE_1)
	s_xor_b32 s7, s12, -1
	s_and_b32 vcc_lo, exec_lo, s12
	s_cbranch_vccnz .LBB31_2
; %bb.1:
	s_load_b32 s24, s[8:9], 0x0
.LBB31_2:
	s_load_b64 s[12:13], s[0:1], 0x30
	s_and_not1_b32 vcc_lo, exec_lo, s7
	s_cbranch_vccnz .LBB31_4
; %bb.3:
	s_load_b32 s9, s[8:9], 0x4
.LBB31_4:
	s_clause 0x1
	s_load_b128 s[16:19], s[0:1], 0x0
	s_load_b64 s[20:21], s[0:1], 0x38
	s_waitcnt lgkmcnt(0)
	v_cvt_f32_u32_e32 v1, s17
	s_sub_i32 s8, 0, s17
	s_delay_alu instid0(VALU_DEP_1) | instskip(SKIP_2) | instid1(VALU_DEP_1)
	v_rcp_iflag_f32_e32 v1, v1
	s_waitcnt_depctr 0xfff
	v_mul_f32_e32 v1, 0x4f7ffffe, v1
	v_cvt_u32_f32_e32 v1, v1
	s_delay_alu instid0(VALU_DEP_1) | instskip(NEXT) | instid1(VALU_DEP_1)
	v_readfirstlane_b32 s7, v1
	s_mul_i32 s8, s8, s7
	s_delay_alu instid0(SALU_CYCLE_1) | instskip(NEXT) | instid1(SALU_CYCLE_1)
	s_mul_hi_u32 s8, s7, s8
	s_add_i32 s7, s7, s8
	s_delay_alu instid0(SALU_CYCLE_1) | instskip(NEXT) | instid1(SALU_CYCLE_1)
	s_mul_hi_u32 s7, s15, s7
	s_mul_i32 s8, s7, s17
	s_add_i32 s14, s7, 1
	s_sub_i32 s8, s15, s8
	s_delay_alu instid0(SALU_CYCLE_1)
	s_sub_i32 s19, s8, s17
	s_cmp_ge_u32 s8, s17
	s_cselect_b32 s7, s14, s7
	s_cselect_b32 s8, s19, s8
	s_add_i32 s14, s7, 1
	s_cmp_ge_u32 s8, s17
	s_cselect_b32 s8, s14, s7
	s_delay_alu instid0(SALU_CYCLE_1) | instskip(SKIP_2) | instid1(SALU_CYCLE_1)
	s_mul_i32 s7, s8, s17
	v_lshl_or_b32 v3, s8, 10, v0
	s_sub_i32 s14, s15, s7
	s_ashr_i32 s15, s14, 31
	s_delay_alu instid0(VALU_DEP_1) | instskip(SKIP_1) | instid1(SALU_CYCLE_1)
	v_ashrrev_i32_e32 v4, 31, v3
	s_lshl_b64 s[14:15], s[14:15], 2
	s_add_u32 s2, s2, s14
	s_addc_u32 s3, s3, s15
	s_load_b32 s14, s[2:3], 0x0
	s_waitcnt lgkmcnt(0)
	s_ashr_i32 s15, s14, 31
	v_mad_u64_u32 v[1:2], null, s14, s20, v[3:4]
	s_lshl_b64 s[2:3], s[14:15], 2
	s_delay_alu instid0(SALU_CYCLE_1)
	s_add_u32 s2, s10, s2
	s_addc_u32 s3, s11, s3
	s_cmpk_lg_i32 s16, 0x71
	s_load_b64 s[22:23], s[2:3], 0x0
	s_mul_i32 s2, s15, s20
	s_mul_i32 s3, s14, s21
	s_delay_alu instid0(SALU_CYCLE_1)
	v_add3_u32 v2, s3, s2, v2
	v_cmp_gt_i32_e64 s2, s18, v3
	s_cbranch_scc0 .LBB31_53
; %bb.5:
	v_dual_mov_b32 v7, 0 :: v_dual_mov_b32 v8, 0
	s_mov_b32 s3, 0
	s_delay_alu instid0(VALU_DEP_2)
	s_and_saveexec_b32 s8, s2
	s_cbranch_execz .LBB31_7
; %bb.6:
	v_lshlrev_b64 v[5:6], 3, v[1:2]
	s_delay_alu instid0(VALU_DEP_1) | instskip(NEXT) | instid1(VALU_DEP_2)
	v_add_co_u32 v5, vcc_lo, s12, v5
	v_add_co_ci_u32_e32 v6, vcc_lo, s13, v6, vcc_lo
	global_load_b64 v[5:6], v[5:6], off
	s_waitcnt vmcnt(0)
	v_mul_f32_e64 v8, v6, -s9
	s_delay_alu instid0(VALU_DEP_1) | instskip(NEXT) | instid1(VALU_DEP_1)
	v_dual_mul_f32 v7, s24, v6 :: v_dual_fmac_f32 v8, s24, v5
	v_fmac_f32_e32 v7, s9, v5
.LBB31_7:
	s_or_b32 exec_lo, exec_lo, s8
	s_load_b64 s[16:17], s[0:1], 0x40
	s_and_not1_b32 vcc_lo, exec_lo, s3
	s_cbranch_vccz .LBB31_54
; %bb.8:
	v_cmp_eq_u32_e64 s3, 0, v0
	s_waitcnt lgkmcnt(0)
	s_cmp_ge_i32 s22, s23
	s_cbranch_scc1 .LBB31_57
.LBB31_9:
	s_clause 0x1
	s_load_b64 s[18:19], s[0:1], 0x50
	s_load_b128 s[8:11], s[0:1], 0x20
	v_lshlrev_b64 v[3:4], 3, v[3:4]
	s_sub_i32 s15, s22, s4
	s_sub_i32 s22, s23, s4
	v_lshl_or_b32 v11, v0, 2, 0x2000
	v_dual_mov_b32 v13, 1.0 :: v_dual_lshlrev_b32 v12, 3, v0
	s_delay_alu instid0(VALU_DEP_3)
	v_add_co_u32 v9, vcc_lo, s12, v3
	v_add_co_ci_u32_e32 v10, vcc_lo, s13, v4, vcc_lo
	v_mov_b32_e32 v4, 0
	v_mov_b32_e32 v14, 0
	s_cmp_eq_u32 s6, 0
	s_mov_b32 s25, s15
	s_cselect_b32 s23, -1, 0
	s_add_i32 s24, s14, s4
	s_branch .LBB31_12
.LBB31_10:                              ;   in Loop: Header=BB31_12 Depth=1
	s_add_i32 s25, s25, 1
	s_delay_alu instid0(SALU_CYCLE_1)
	s_cmp_ge_i32 s25, s22
	s_cselect_b32 s0, -1, 0
.LBB31_11:                              ;   in Loop: Header=BB31_12 Depth=1
	v_dual_mov_b32 v7, v16 :: v_dual_mov_b32 v8, v17
	v_dual_mov_b32 v14, v6 :: v_dual_mov_b32 v13, v15
	s_and_not1_b32 vcc_lo, exec_lo, s0
	s_cbranch_vccz .LBB31_58
.LBB31_12:                              ; =>This Loop Header: Depth=1
                                        ;     Child Loop BB31_51 Depth 2
                                        ;       Child Loop BB31_52 Depth 3
	s_sub_i32 s0, s25, s15
	s_delay_alu instid0(SALU_CYCLE_1) | instskip(NEXT) | instid1(SALU_CYCLE_1)
	s_and_b32 s0, s0, 0x3ff
	s_cmp_lg_u32 s0, 0
	s_cbranch_scc1 .LBB31_16
; %bb.13:                               ;   in Loop: Header=BB31_12 Depth=1
	s_sub_i32 s1, s22, s25
	v_dual_mov_b32 v3, -1 :: v_dual_mov_b32 v6, 0
	v_cmp_gt_u32_e32 vcc_lo, s1, v0
	v_mov_b32_e32 v5, -1.0
	s_and_saveexec_b32 s1, vcc_lo
	s_cbranch_execz .LBB31_15
; %bb.14:                               ;   in Loop: Header=BB31_12 Depth=1
	v_add_nc_u32_e32 v3, s25, v0
	s_delay_alu instid0(VALU_DEP_1) | instskip(SKIP_2) | instid1(VALU_DEP_2)
	v_lshlrev_b64 v[5:6], 2, v[3:4]
	v_lshlrev_b64 v[15:16], 3, v[3:4]
	s_waitcnt lgkmcnt(0)
	v_add_co_u32 v5, vcc_lo, s8, v5
	s_delay_alu instid0(VALU_DEP_3)
	v_add_co_ci_u32_e32 v6, vcc_lo, s9, v6, vcc_lo
	global_load_b32 v3, v[5:6], off
	v_add_co_u32 v5, vcc_lo, s10, v15
	v_add_co_ci_u32_e32 v6, vcc_lo, s11, v16, vcc_lo
	global_load_b64 v[5:6], v[5:6], off
	s_waitcnt vmcnt(1)
	v_subrev_nc_u32_e32 v3, s4, v3
.LBB31_15:                              ;   in Loop: Header=BB31_12 Depth=1
	s_or_b32 exec_lo, exec_lo, s1
	ds_store_b32 v11, v3
	s_waitcnt vmcnt(0)
	ds_store_b64 v12, v[5:6]
.LBB31_16:                              ;   in Loop: Header=BB31_12 Depth=1
	s_lshl_b32 s1, s0, 3
	s_lshl_b32 s0, s0, 2
	v_mov_b32_e32 v3, s1
	v_mov_b32_e32 v15, s0
	s_waitcnt lgkmcnt(0)
	s_waitcnt_vscnt null, 0x0
	s_barrier
	buffer_gl0_inv
	ds_load_b64 v[5:6], v3
	ds_load_b32 v3, v15 offset:8192
	s_waitcnt lgkmcnt(1)
	v_cmp_eq_f32_e32 vcc_lo, 0, v5
	v_cmp_eq_f32_e64 s0, 0, v6
	s_waitcnt lgkmcnt(0)
	v_readfirstlane_b32 s26, v3
	v_cmp_ne_u32_e64 s1, s14, v3
	s_delay_alu instid0(VALU_DEP_3) | instskip(NEXT) | instid1(VALU_DEP_2)
	s_and_b32 s0, vcc_lo, s0
	s_cmp_eq_u32 s26, s14
	s_cselect_b32 s28, -1, 0
	s_delay_alu instid0(SALU_CYCLE_1) | instskip(NEXT) | instid1(SALU_CYCLE_1)
	s_and_b32 s0, s0, s28
	s_and_b32 s0, s23, s0
	s_delay_alu instid0(SALU_CYCLE_1) | instskip(SKIP_2) | instid1(SALU_CYCLE_1)
	v_cndmask_b32_e64 v3, v6, 0, s0
	v_cndmask_b32_e64 v5, v5, 1.0, s0
	s_and_b32 s27, s3, s0
	s_and_saveexec_b32 s0, s27
	s_cbranch_execz .LBB31_20
; %bb.17:                               ;   in Loop: Header=BB31_12 Depth=1
	v_mbcnt_lo_u32_b32 v3, exec_lo, 0
	s_mov_b32 s27, exec_lo
	s_delay_alu instid0(VALU_DEP_1)
	v_cmpx_eq_u32_e32 0, v3
	s_cbranch_execz .LBB31_19
; %bb.18:                               ;   in Loop: Header=BB31_12 Depth=1
	v_mov_b32_e32 v3, s24
	global_atomic_min_i32 v4, v3, s[18:19]
.LBB31_19:                              ;   in Loop: Header=BB31_12 Depth=1
	s_or_b32 exec_lo, exec_lo, s27
	v_mov_b32_e32 v3, 0
	v_mov_b32_e32 v5, 1.0
.LBB31_20:                              ;   in Loop: Header=BB31_12 Depth=1
	s_or_b32 exec_lo, exec_lo, s0
	s_cmp_lt_i32 s5, 1
	s_mov_b32 s0, 0
	s_cbranch_scc1 .LBB31_26
; %bb.21:                               ;   in Loop: Header=BB31_12 Depth=1
	s_cmp_eq_u32 s5, 1
	s_cbranch_scc0 .LBB31_27
; %bb.22:                               ;   in Loop: Header=BB31_12 Depth=1
	v_dual_mov_b32 v6, v14 :: v_dual_mov_b32 v15, v13
	s_cmp_ge_i32 s26, s14
	s_mov_b32 s27, 0
	s_cbranch_scc0 .LBB31_29
; %bb.23:                               ;   in Loop: Header=BB31_12 Depth=1
	s_and_b32 vcc_lo, exec_lo, s28
	s_cbranch_vccz .LBB31_28
; %bb.24:                               ;   in Loop: Header=BB31_12 Depth=1
	v_dual_mov_b32 v6, v14 :: v_dual_mov_b32 v15, v13
	s_and_not1_b32 vcc_lo, exec_lo, s23
	s_cbranch_vccnz .LBB31_29
; %bb.25:                               ;   in Loop: Header=BB31_12 Depth=1
	v_mul_f32_e32 v6, v3, v3
	s_delay_alu instid0(VALU_DEP_1) | instskip(NEXT) | instid1(VALU_DEP_1)
	v_fmac_f32_e32 v6, v5, v5
	v_div_scale_f32 v15, null, v6, v6, 1.0
	v_div_scale_f32 v18, vcc_lo, 1.0, v6, 1.0
	s_delay_alu instid0(VALU_DEP_2) | instskip(SKIP_2) | instid1(VALU_DEP_1)
	v_rcp_f32_e32 v16, v15
	s_waitcnt_depctr 0xfff
	v_fma_f32 v17, -v15, v16, 1.0
	v_fmac_f32_e32 v16, v17, v16
	s_delay_alu instid0(VALU_DEP_1) | instskip(NEXT) | instid1(VALU_DEP_1)
	v_mul_f32_e32 v17, v18, v16
	v_fma_f32 v19, -v15, v17, v18
	s_delay_alu instid0(VALU_DEP_1) | instskip(NEXT) | instid1(VALU_DEP_1)
	v_fmac_f32_e32 v17, v19, v16
	v_fma_f32 v15, -v15, v17, v18
	s_delay_alu instid0(VALU_DEP_1) | instskip(SKIP_2) | instid1(VALU_DEP_3)
	v_div_fmas_f32 v15, v15, v16, v17
	v_fma_f32 v16, 0, v3, v5
	v_fma_f32 v17, v5, 0, -v3
	v_div_fixup_f32 v6, v15, v6, 1.0
	s_delay_alu instid0(VALU_DEP_1) | instskip(NEXT) | instid1(VALU_DEP_3)
	v_mul_f32_e32 v15, v16, v6
	v_mul_f32_e32 v6, v17, v6
	s_branch .LBB31_29
.LBB31_26:                              ;   in Loop: Header=BB31_12 Depth=1
	s_mov_b32 s27, 0
                                        ; implicit-def: $sgpr28
                                        ; implicit-def: $vgpr16
                                        ; implicit-def: $vgpr17
                                        ; implicit-def: $vgpr6
                                        ; implicit-def: $vgpr15
	s_cbranch_execnz .LBB31_30
	s_branch .LBB31_32
.LBB31_27:                              ;   in Loop: Header=BB31_12 Depth=1
	s_mov_b32 s27, -1
                                        ; implicit-def: $sgpr28
                                        ; implicit-def: $vgpr16
                                        ; implicit-def: $vgpr17
                                        ; implicit-def: $vgpr6
                                        ; implicit-def: $vgpr15
	s_branch .LBB31_32
.LBB31_28:                              ;   in Loop: Header=BB31_12 Depth=1
	s_mov_b32 s27, -1
                                        ; implicit-def: $vgpr6
                                        ; implicit-def: $vgpr15
.LBB31_29:                              ;   in Loop: Header=BB31_12 Depth=1
	v_dual_mov_b32 v16, v7 :: v_dual_mov_b32 v17, v8
	s_mov_b32 s28, 4
	s_branch .LBB31_32
.LBB31_30:                              ;   in Loop: Header=BB31_12 Depth=1
	s_cmp_eq_u32 s5, 0
	s_cbranch_scc1 .LBB31_36
; %bb.31:                               ;   in Loop: Header=BB31_12 Depth=1
	s_mov_b32 s27, -1
                                        ; implicit-def: $sgpr28
                                        ; implicit-def: $vgpr16
                                        ; implicit-def: $vgpr17
                                        ; implicit-def: $vgpr6
                                        ; implicit-def: $vgpr15
.LBB31_32:                              ;   in Loop: Header=BB31_12 Depth=1
	s_delay_alu instid0(SALU_CYCLE_1)
	s_and_b32 vcc_lo, exec_lo, s27
	s_cbranch_vccnz .LBB31_39
.LBB31_33:                              ;   in Loop: Header=BB31_12 Depth=1
	s_and_b32 vcc_lo, exec_lo, s0
	s_cbranch_vccnz .LBB31_44
.LBB31_34:                              ;   in Loop: Header=BB31_12 Depth=1
	s_cmp_gt_i32 s28, 3
	s_mov_b32 s0, -1
	s_cbranch_scc1 .LBB31_47
.LBB31_35:                              ;   in Loop: Header=BB31_12 Depth=1
	s_cmp_eq_u32 s28, 0
	s_cselect_b32 s1, -1, 0
	s_delay_alu instid0(SALU_CYCLE_1)
	s_and_not1_b32 vcc_lo, exec_lo, s1
	s_cbranch_vccz .LBB31_10
	s_branch .LBB31_48
.LBB31_36:                              ;   in Loop: Header=BB31_12 Depth=1
	s_cmp_le_i32 s26, s14
	s_mov_b32 s27, 0
	s_cbranch_scc0 .LBB31_38
; %bb.37:                               ;   in Loop: Header=BB31_12 Depth=1
	s_mov_b32 s0, -1
	s_mov_b32 s27, s1
.LBB31_38:                              ;   in Loop: Header=BB31_12 Depth=1
	v_dual_mov_b32 v16, v7 :: v_dual_mov_b32 v17, v8
	v_dual_mov_b32 v6, v14 :: v_dual_mov_b32 v15, v13
	s_mov_b32 s28, 2
	s_and_b32 vcc_lo, exec_lo, s27
	s_cbranch_vccz .LBB31_33
.LBB31_39:                              ;   in Loop: Header=BB31_12 Depth=1
	s_and_saveexec_b32 s27, s3
	s_cbranch_execz .LBB31_41
; %bb.40:                               ;   in Loop: Header=BB31_12 Depth=1
	s_add_i32 s0, s26, s7
	s_delay_alu instid0(SALU_CYCLE_1) | instskip(NEXT) | instid1(SALU_CYCLE_1)
	s_ashr_i32 s1, s0, 31
	s_lshl_b64 s[0:1], s[0:1], 2
	s_delay_alu instid0(SALU_CYCLE_1)
	s_add_u32 s0, s16, s0
	s_addc_u32 s1, s17, s1
	global_load_b32 v6, v4, s[0:1] glc
	s_waitcnt vmcnt(0)
	v_cmp_ne_u32_e32 vcc_lo, 0, v6
	s_cbranch_vccz .LBB31_49
.LBB31_41:                              ;   in Loop: Header=BB31_12 Depth=1
	s_or_b32 exec_lo, exec_lo, s27
	v_dual_mov_b32 v16, 0 :: v_dual_mov_b32 v17, 0
	s_mov_b32 s0, 0
	s_waitcnt_vscnt null, 0x0
	s_barrier
	buffer_gl0_inv
	buffer_gl1_inv
	buffer_gl0_inv
	s_and_saveexec_b32 s1, s2
	s_cbranch_execz .LBB31_43
; %bb.42:                               ;   in Loop: Header=BB31_12 Depth=1
	s_mul_i32 s27, s26, s21
	s_mul_hi_u32 s28, s26, s20
	s_ashr_i32 s29, s26, 31
	s_add_i32 s27, s28, s27
	s_mul_i32 s29, s29, s20
	s_mul_i32 s26, s26, s20
	s_add_i32 s27, s27, s29
	s_delay_alu instid0(SALU_CYCLE_1) | instskip(NEXT) | instid1(SALU_CYCLE_1)
	s_lshl_b64 s[26:27], s[26:27], 3
	v_add_co_u32 v15, vcc_lo, v9, s26
	v_add_co_ci_u32_e32 v16, vcc_lo, s27, v10, vcc_lo
	global_load_b64 v[15:16], v[15:16], off
	s_waitcnt vmcnt(0)
	v_fma_f32 v17, -v5, v15, v8
	v_fma_f32 v6, -v3, v15, v7
	s_delay_alu instid0(VALU_DEP_2) | instskip(NEXT) | instid1(VALU_DEP_2)
	v_fmac_f32_e32 v17, v3, v16
	v_fma_f32 v16, -v5, v16, v6
.LBB31_43:                              ;   in Loop: Header=BB31_12 Depth=1
	s_or_b32 exec_lo, exec_lo, s1
	v_dual_mov_b32 v6, v14 :: v_dual_mov_b32 v15, v13
	s_mov_b32 s28, 0
	s_and_b32 vcc_lo, exec_lo, s0
	s_cbranch_vccz .LBB31_34
.LBB31_44:                              ;   in Loop: Header=BB31_12 Depth=1
	s_and_not1_b32 vcc_lo, exec_lo, s23
	s_cbranch_vccnz .LBB31_46
; %bb.45:                               ;   in Loop: Header=BB31_12 Depth=1
	v_mul_f32_e32 v6, v3, v3
	s_delay_alu instid0(VALU_DEP_1) | instskip(NEXT) | instid1(VALU_DEP_1)
	v_fmac_f32_e32 v6, v5, v5
	v_div_scale_f32 v13, null, v6, v6, 1.0
	v_div_scale_f32 v16, vcc_lo, 1.0, v6, 1.0
	s_delay_alu instid0(VALU_DEP_2) | instskip(SKIP_2) | instid1(VALU_DEP_1)
	v_rcp_f32_e32 v14, v13
	s_waitcnt_depctr 0xfff
	v_fma_f32 v15, -v13, v14, 1.0
	v_fmac_f32_e32 v14, v15, v14
	s_delay_alu instid0(VALU_DEP_1) | instskip(NEXT) | instid1(VALU_DEP_1)
	v_mul_f32_e32 v15, v16, v14
	v_fma_f32 v17, -v13, v15, v16
	s_delay_alu instid0(VALU_DEP_1) | instskip(NEXT) | instid1(VALU_DEP_1)
	v_fmac_f32_e32 v15, v17, v14
	v_fma_f32 v13, -v13, v15, v16
	s_delay_alu instid0(VALU_DEP_1) | instskip(SKIP_2) | instid1(VALU_DEP_3)
	v_div_fmas_f32 v13, v13, v14, v15
	v_fma_f32 v14, 0, v3, v5
	v_fma_f32 v3, v5, 0, -v3
	v_div_fixup_f32 v6, v13, v6, 1.0
	s_delay_alu instid0(VALU_DEP_1) | instskip(NEXT) | instid1(VALU_DEP_3)
	v_mul_f32_e32 v13, v14, v6
	v_mul_f32_e32 v14, v3, v6
.LBB31_46:                              ;   in Loop: Header=BB31_12 Depth=1
	s_delay_alu instid0(VALU_DEP_1) | instskip(SKIP_2) | instid1(SALU_CYCLE_1)
	v_dual_mov_b32 v15, v13 :: v_dual_mov_b32 v6, v14
	v_dual_mov_b32 v17, v8 :: v_dual_mov_b32 v16, v7
	s_mov_b32 s28, 2
	s_cmp_gt_i32 s28, 3
	s_mov_b32 s0, -1
	s_cbranch_scc0 .LBB31_35
.LBB31_47:                              ;   in Loop: Header=BB31_12 Depth=1
	s_branch .LBB31_10
.LBB31_48:                              ;   in Loop: Header=BB31_12 Depth=1
                                        ; implicit-def: $sgpr25
	s_branch .LBB31_11
.LBB31_49:                              ;   in Loop: Header=BB31_12 Depth=1
	s_mov_b32 s28, 0
	s_branch .LBB31_51
	.p2align	6
.LBB31_50:                              ;   in Loop: Header=BB31_51 Depth=2
	global_load_b32 v6, v4, s[0:1] glc
	s_cmpk_lt_u32 s28, 0xf43
	s_cselect_b32 s29, -1, 0
	s_delay_alu instid0(SALU_CYCLE_1)
	s_cmp_lg_u32 s29, 0
	s_addc_u32 s28, s28, 0
	s_waitcnt vmcnt(0)
	v_cmp_ne_u32_e32 vcc_lo, 0, v6
	s_cbranch_vccnz .LBB31_41
.LBB31_51:                              ;   Parent Loop BB31_12 Depth=1
                                        ; =>  This Loop Header: Depth=2
                                        ;       Child Loop BB31_52 Depth 3
	s_cmp_eq_u32 s28, 0
	s_mov_b32 s29, s28
	s_cbranch_scc1 .LBB31_50
.LBB31_52:                              ;   Parent Loop BB31_12 Depth=1
                                        ;     Parent Loop BB31_51 Depth=2
                                        ; =>    This Inner Loop Header: Depth=3
	s_add_i32 s29, s29, -1
	s_sleep 1
	s_cmp_eq_u32 s29, 0
	s_cbranch_scc0 .LBB31_52
	s_branch .LBB31_50
.LBB31_53:
                                        ; implicit-def: $vgpr7
                                        ; implicit-def: $vgpr8
	s_load_b64 s[16:17], s[0:1], 0x40
.LBB31_54:
	v_dual_mov_b32 v7, 0 :: v_dual_mov_b32 v8, 0
	s_delay_alu instid0(VALU_DEP_2)
	s_and_saveexec_b32 s3, s2
	s_cbranch_execz .LBB31_56
; %bb.55:
	v_lshlrev_b64 v[5:6], 3, v[1:2]
	s_delay_alu instid0(VALU_DEP_1) | instskip(NEXT) | instid1(VALU_DEP_2)
	v_add_co_u32 v5, vcc_lo, s12, v5
	v_add_co_ci_u32_e32 v6, vcc_lo, s13, v6, vcc_lo
	global_load_b64 v[5:6], v[5:6], off
	s_waitcnt vmcnt(0)
	v_mul_f32_e64 v7, s24, -v6
	s_delay_alu instid0(VALU_DEP_1) | instskip(NEXT) | instid1(VALU_DEP_1)
	v_dual_mul_f32 v8, s9, v6 :: v_dual_fmac_f32 v7, s9, v5
	v_fmac_f32_e32 v8, s24, v5
.LBB31_56:
	s_or_b32 exec_lo, exec_lo, s3
	v_cmp_eq_u32_e64 s3, 0, v0
	s_waitcnt lgkmcnt(0)
	s_cmp_ge_i32 s22, s23
	s_cbranch_scc0 .LBB31_9
.LBB31_57:
	v_dual_mov_b32 v6, 0 :: v_dual_mov_b32 v15, 1.0
	s_and_saveexec_b32 s0, s2
	s_cbranch_execnz .LBB31_59
	s_branch .LBB31_60
.LBB31_58:
	v_dual_mov_b32 v7, v16 :: v_dual_mov_b32 v8, v17
	s_and_saveexec_b32 s0, s2
	s_cbranch_execz .LBB31_60
.LBB31_59:
	v_lshlrev_b64 v[1:2], 3, v[1:2]
	s_delay_alu instid0(VALU_DEP_2) | instskip(SKIP_2) | instid1(VALU_DEP_2)
	v_mul_f32_e32 v3, v6, v8
	v_mul_f32_e64 v5, v6, -v7
	s_cmp_eq_u32 s6, 0
	v_fmac_f32_e32 v3, v7, v15
	s_delay_alu instid0(VALU_DEP_2) | instskip(SKIP_3) | instid1(VALU_DEP_3)
	v_fmac_f32_e32 v5, v8, v15
	v_add_co_u32 v1, vcc_lo, s12, v1
	v_add_co_ci_u32_e32 v2, vcc_lo, s13, v2, vcc_lo
	s_cselect_b32 vcc_lo, -1, 0
	v_dual_cndmask_b32 v4, v7, v3 :: v_dual_cndmask_b32 v3, v8, v5
	global_store_b64 v[1:2], v[3:4], off
.LBB31_60:
	s_or_b32 exec_lo, exec_lo, s0
	s_waitcnt_vscnt null, 0x0
	buffer_gl1_inv
	buffer_gl0_inv
	s_barrier
	buffer_gl0_inv
	s_mov_b32 s0, exec_lo
	v_cmpx_eq_u32_e32 0, v0
	s_cbranch_execz .LBB31_62
; %bb.61:
	s_add_i32 s0, s14, s7
	v_dual_mov_b32 v0, 0 :: v_dual_mov_b32 v1, 1
	s_ashr_i32 s1, s0, 31
	s_delay_alu instid0(SALU_CYCLE_1) | instskip(NEXT) | instid1(SALU_CYCLE_1)
	s_lshl_b64 s[0:1], s[0:1], 2
	s_add_u32 s0, s16, s0
	s_addc_u32 s1, s17, s1
	global_store_b32 v0, v1, s[0:1]
.LBB31_62:
	s_nop 0
	s_sendmsg sendmsg(MSG_DEALLOC_VGPRS)
	s_endpgm
	.section	.rodata,"a",@progbits
	.p2align	6, 0x0
	.amdhsa_kernel _ZN9rocsparseL5csrsmILj1024ELj64ELb1Eii21rocsparse_complex_numIfEEEv20rocsparse_operation_T3_S4_NS_24const_host_device_scalarIT4_EEPKT2_PKS4_PKS6_PS6_lPiSC_PS4_21rocsparse_index_base_20rocsparse_fill_mode_20rocsparse_diag_type_b
		.amdhsa_group_segment_fixed_size 12288
		.amdhsa_private_segment_fixed_size 0
		.amdhsa_kernarg_size 104
		.amdhsa_user_sgpr_count 15
		.amdhsa_user_sgpr_dispatch_ptr 0
		.amdhsa_user_sgpr_queue_ptr 0
		.amdhsa_user_sgpr_kernarg_segment_ptr 1
		.amdhsa_user_sgpr_dispatch_id 0
		.amdhsa_user_sgpr_private_segment_size 0
		.amdhsa_wavefront_size32 1
		.amdhsa_uses_dynamic_stack 0
		.amdhsa_enable_private_segment 0
		.amdhsa_system_sgpr_workgroup_id_x 1
		.amdhsa_system_sgpr_workgroup_id_y 0
		.amdhsa_system_sgpr_workgroup_id_z 0
		.amdhsa_system_sgpr_workgroup_info 0
		.amdhsa_system_vgpr_workitem_id 0
		.amdhsa_next_free_vgpr 20
		.amdhsa_next_free_sgpr 30
		.amdhsa_reserve_vcc 1
		.amdhsa_float_round_mode_32 0
		.amdhsa_float_round_mode_16_64 0
		.amdhsa_float_denorm_mode_32 3
		.amdhsa_float_denorm_mode_16_64 3
		.amdhsa_dx10_clamp 1
		.amdhsa_ieee_mode 1
		.amdhsa_fp16_overflow 0
		.amdhsa_workgroup_processor_mode 1
		.amdhsa_memory_ordered 1
		.amdhsa_forward_progress 0
		.amdhsa_shared_vgpr_count 0
		.amdhsa_exception_fp_ieee_invalid_op 0
		.amdhsa_exception_fp_denorm_src 0
		.amdhsa_exception_fp_ieee_div_zero 0
		.amdhsa_exception_fp_ieee_overflow 0
		.amdhsa_exception_fp_ieee_underflow 0
		.amdhsa_exception_fp_ieee_inexact 0
		.amdhsa_exception_int_div_zero 0
	.end_amdhsa_kernel
	.section	.text._ZN9rocsparseL5csrsmILj1024ELj64ELb1Eii21rocsparse_complex_numIfEEEv20rocsparse_operation_T3_S4_NS_24const_host_device_scalarIT4_EEPKT2_PKS4_PKS6_PS6_lPiSC_PS4_21rocsparse_index_base_20rocsparse_fill_mode_20rocsparse_diag_type_b,"axG",@progbits,_ZN9rocsparseL5csrsmILj1024ELj64ELb1Eii21rocsparse_complex_numIfEEEv20rocsparse_operation_T3_S4_NS_24const_host_device_scalarIT4_EEPKT2_PKS4_PKS6_PS6_lPiSC_PS4_21rocsparse_index_base_20rocsparse_fill_mode_20rocsparse_diag_type_b,comdat
.Lfunc_end31:
	.size	_ZN9rocsparseL5csrsmILj1024ELj64ELb1Eii21rocsparse_complex_numIfEEEv20rocsparse_operation_T3_S4_NS_24const_host_device_scalarIT4_EEPKT2_PKS4_PKS6_PS6_lPiSC_PS4_21rocsparse_index_base_20rocsparse_fill_mode_20rocsparse_diag_type_b, .Lfunc_end31-_ZN9rocsparseL5csrsmILj1024ELj64ELb1Eii21rocsparse_complex_numIfEEEv20rocsparse_operation_T3_S4_NS_24const_host_device_scalarIT4_EEPKT2_PKS4_PKS6_PS6_lPiSC_PS4_21rocsparse_index_base_20rocsparse_fill_mode_20rocsparse_diag_type_b
                                        ; -- End function
	.section	.AMDGPU.csdata,"",@progbits
; Kernel info:
; codeLenInByte = 2136
; NumSgprs: 32
; NumVgprs: 20
; ScratchSize: 0
; MemoryBound: 0
; FloatMode: 240
; IeeeMode: 1
; LDSByteSize: 12288 bytes/workgroup (compile time only)
; SGPRBlocks: 3
; VGPRBlocks: 2
; NumSGPRsForWavesPerEU: 32
; NumVGPRsForWavesPerEU: 20
; Occupancy: 16
; WaveLimiterHint : 1
; COMPUTE_PGM_RSRC2:SCRATCH_EN: 0
; COMPUTE_PGM_RSRC2:USER_SGPR: 15
; COMPUTE_PGM_RSRC2:TRAP_HANDLER: 0
; COMPUTE_PGM_RSRC2:TGID_X_EN: 1
; COMPUTE_PGM_RSRC2:TGID_Y_EN: 0
; COMPUTE_PGM_RSRC2:TGID_Z_EN: 0
; COMPUTE_PGM_RSRC2:TIDIG_COMP_CNT: 0
	.section	.text._ZN9rocsparseL5csrsmILj1024ELj64ELb0Eii21rocsparse_complex_numIfEEEv20rocsparse_operation_T3_S4_NS_24const_host_device_scalarIT4_EEPKT2_PKS4_PKS6_PS6_lPiSC_PS4_21rocsparse_index_base_20rocsparse_fill_mode_20rocsparse_diag_type_b,"axG",@progbits,_ZN9rocsparseL5csrsmILj1024ELj64ELb0Eii21rocsparse_complex_numIfEEEv20rocsparse_operation_T3_S4_NS_24const_host_device_scalarIT4_EEPKT2_PKS4_PKS6_PS6_lPiSC_PS4_21rocsparse_index_base_20rocsparse_fill_mode_20rocsparse_diag_type_b,comdat
	.globl	_ZN9rocsparseL5csrsmILj1024ELj64ELb0Eii21rocsparse_complex_numIfEEEv20rocsparse_operation_T3_S4_NS_24const_host_device_scalarIT4_EEPKT2_PKS4_PKS6_PS6_lPiSC_PS4_21rocsparse_index_base_20rocsparse_fill_mode_20rocsparse_diag_type_b ; -- Begin function _ZN9rocsparseL5csrsmILj1024ELj64ELb0Eii21rocsparse_complex_numIfEEEv20rocsparse_operation_T3_S4_NS_24const_host_device_scalarIT4_EEPKT2_PKS4_PKS6_PS6_lPiSC_PS4_21rocsparse_index_base_20rocsparse_fill_mode_20rocsparse_diag_type_b
	.p2align	8
	.type	_ZN9rocsparseL5csrsmILj1024ELj64ELb0Eii21rocsparse_complex_numIfEEEv20rocsparse_operation_T3_S4_NS_24const_host_device_scalarIT4_EEPKT2_PKS4_PKS6_PS6_lPiSC_PS4_21rocsparse_index_base_20rocsparse_fill_mode_20rocsparse_diag_type_b,@function
_ZN9rocsparseL5csrsmILj1024ELj64ELb0Eii21rocsparse_complex_numIfEEEv20rocsparse_operation_T3_S4_NS_24const_host_device_scalarIT4_EEPKT2_PKS4_PKS6_PS6_lPiSC_PS4_21rocsparse_index_base_20rocsparse_fill_mode_20rocsparse_diag_type_b: ; @_ZN9rocsparseL5csrsmILj1024ELj64ELb0Eii21rocsparse_complex_numIfEEEv20rocsparse_operation_T3_S4_NS_24const_host_device_scalarIT4_EEPKT2_PKS4_PKS6_PS6_lPiSC_PS4_21rocsparse_index_base_20rocsparse_fill_mode_20rocsparse_diag_type_b
; %bb.0:
	s_clause 0x2
	s_load_b128 s[4:7], s[0:1], 0x58
	s_load_b128 s[8:11], s[0:1], 0x10
	s_load_b64 s[2:3], s[0:1], 0x48
	s_waitcnt lgkmcnt(0)
	s_bitcmp1_b32 s7, 0
	s_mov_b32 s24, s8
	s_cselect_b32 s12, -1, 0
	s_delay_alu instid0(SALU_CYCLE_1)
	s_xor_b32 s7, s12, -1
	s_and_b32 vcc_lo, exec_lo, s12
	s_cbranch_vccnz .LBB32_2
; %bb.1:
	s_load_b32 s24, s[8:9], 0x0
.LBB32_2:
	s_load_b64 s[12:13], s[0:1], 0x30
	s_and_not1_b32 vcc_lo, exec_lo, s7
	s_cbranch_vccnz .LBB32_4
; %bb.3:
	s_load_b32 s9, s[8:9], 0x4
.LBB32_4:
	s_clause 0x1
	s_load_b128 s[16:19], s[0:1], 0x0
	s_load_b64 s[20:21], s[0:1], 0x38
	s_waitcnt lgkmcnt(0)
	v_cvt_f32_u32_e32 v1, s17
	s_sub_i32 s8, 0, s17
	s_delay_alu instid0(VALU_DEP_1) | instskip(SKIP_2) | instid1(VALU_DEP_1)
	v_rcp_iflag_f32_e32 v1, v1
	s_waitcnt_depctr 0xfff
	v_mul_f32_e32 v1, 0x4f7ffffe, v1
	v_cvt_u32_f32_e32 v1, v1
	s_delay_alu instid0(VALU_DEP_1) | instskip(NEXT) | instid1(VALU_DEP_1)
	v_readfirstlane_b32 s7, v1
	s_mul_i32 s8, s8, s7
	s_delay_alu instid0(SALU_CYCLE_1) | instskip(NEXT) | instid1(SALU_CYCLE_1)
	s_mul_hi_u32 s8, s7, s8
	s_add_i32 s7, s7, s8
	s_delay_alu instid0(SALU_CYCLE_1) | instskip(NEXT) | instid1(SALU_CYCLE_1)
	s_mul_hi_u32 s7, s15, s7
	s_mul_i32 s8, s7, s17
	s_add_i32 s14, s7, 1
	s_sub_i32 s8, s15, s8
	s_delay_alu instid0(SALU_CYCLE_1)
	s_sub_i32 s19, s8, s17
	s_cmp_ge_u32 s8, s17
	s_cselect_b32 s7, s14, s7
	s_cselect_b32 s8, s19, s8
	s_add_i32 s14, s7, 1
	s_cmp_ge_u32 s8, s17
	s_cselect_b32 s8, s14, s7
	s_delay_alu instid0(SALU_CYCLE_1) | instskip(SKIP_2) | instid1(SALU_CYCLE_1)
	s_mul_i32 s7, s8, s17
	v_lshl_or_b32 v3, s8, 10, v0
	s_sub_i32 s14, s15, s7
	s_ashr_i32 s15, s14, 31
	s_delay_alu instid0(VALU_DEP_1) | instskip(SKIP_1) | instid1(SALU_CYCLE_1)
	v_ashrrev_i32_e32 v4, 31, v3
	s_lshl_b64 s[14:15], s[14:15], 2
	s_add_u32 s2, s2, s14
	s_addc_u32 s3, s3, s15
	s_load_b32 s14, s[2:3], 0x0
	s_waitcnt lgkmcnt(0)
	s_ashr_i32 s15, s14, 31
	v_mad_u64_u32 v[1:2], null, s14, s20, v[3:4]
	s_lshl_b64 s[2:3], s[14:15], 2
	s_delay_alu instid0(SALU_CYCLE_1)
	s_add_u32 s2, s10, s2
	s_addc_u32 s3, s11, s3
	s_cmpk_lg_i32 s16, 0x71
	s_load_b64 s[22:23], s[2:3], 0x0
	s_mul_i32 s2, s15, s20
	s_mul_i32 s3, s14, s21
	s_delay_alu instid0(SALU_CYCLE_1)
	v_add3_u32 v2, s3, s2, v2
	v_cmp_gt_i32_e64 s2, s18, v3
	s_cbranch_scc0 .LBB32_50
; %bb.5:
	v_dual_mov_b32 v7, 0 :: v_dual_mov_b32 v8, 0
	s_mov_b32 s3, 0
	s_delay_alu instid0(VALU_DEP_2)
	s_and_saveexec_b32 s8, s2
	s_cbranch_execz .LBB32_7
; %bb.6:
	v_lshlrev_b64 v[5:6], 3, v[1:2]
	s_delay_alu instid0(VALU_DEP_1) | instskip(NEXT) | instid1(VALU_DEP_2)
	v_add_co_u32 v5, vcc_lo, s12, v5
	v_add_co_ci_u32_e32 v6, vcc_lo, s13, v6, vcc_lo
	global_load_b64 v[5:6], v[5:6], off
	s_waitcnt vmcnt(0)
	v_mul_f32_e64 v8, v6, -s9
	s_delay_alu instid0(VALU_DEP_1) | instskip(NEXT) | instid1(VALU_DEP_1)
	v_dual_mul_f32 v7, s24, v6 :: v_dual_fmac_f32 v8, s24, v5
	v_fmac_f32_e32 v7, s9, v5
.LBB32_7:
	s_or_b32 exec_lo, exec_lo, s8
	s_load_b64 s[16:17], s[0:1], 0x40
	s_and_not1_b32 vcc_lo, exec_lo, s3
	s_cbranch_vccz .LBB32_51
; %bb.8:
	v_cmp_eq_u32_e64 s3, 0, v0
	s_waitcnt lgkmcnt(0)
	s_cmp_ge_i32 s22, s23
	s_cbranch_scc1 .LBB32_54
.LBB32_9:
	s_clause 0x1
	s_load_b64 s[18:19], s[0:1], 0x50
	s_load_b128 s[8:11], s[0:1], 0x20
	v_lshlrev_b64 v[3:4], 3, v[3:4]
	s_sub_i32 s15, s22, s4
	s_sub_i32 s22, s23, s4
	v_lshl_or_b32 v11, v0, 2, 0x2000
	v_dual_mov_b32 v13, 1.0 :: v_dual_lshlrev_b32 v12, 3, v0
	s_delay_alu instid0(VALU_DEP_3)
	v_add_co_u32 v9, vcc_lo, s12, v3
	v_add_co_ci_u32_e32 v10, vcc_lo, s13, v4, vcc_lo
	v_mov_b32_e32 v4, 0
	v_mov_b32_e32 v14, 0
	s_cmp_eq_u32 s6, 0
	s_mov_b32 s25, s15
	s_cselect_b32 s23, -1, 0
	s_add_i32 s24, s14, s4
	s_branch .LBB32_12
.LBB32_10:                              ;   in Loop: Header=BB32_12 Depth=1
	s_add_i32 s25, s25, 1
	s_delay_alu instid0(SALU_CYCLE_1)
	s_cmp_ge_i32 s25, s22
	s_cselect_b32 s0, -1, 0
.LBB32_11:                              ;   in Loop: Header=BB32_12 Depth=1
	v_dual_mov_b32 v7, v16 :: v_dual_mov_b32 v8, v17
	v_dual_mov_b32 v14, v6 :: v_dual_mov_b32 v13, v15
	s_and_not1_b32 vcc_lo, exec_lo, s0
	s_cbranch_vccz .LBB32_55
.LBB32_12:                              ; =>This Loop Header: Depth=1
                                        ;     Child Loop BB32_41 Depth 2
	s_sub_i32 s0, s25, s15
	s_delay_alu instid0(SALU_CYCLE_1) | instskip(NEXT) | instid1(SALU_CYCLE_1)
	s_and_b32 s0, s0, 0x3ff
	s_cmp_lg_u32 s0, 0
	s_cbranch_scc1 .LBB32_16
; %bb.13:                               ;   in Loop: Header=BB32_12 Depth=1
	s_sub_i32 s1, s22, s25
	v_dual_mov_b32 v3, -1 :: v_dual_mov_b32 v6, 0
	v_cmp_gt_u32_e32 vcc_lo, s1, v0
	v_mov_b32_e32 v5, -1.0
	s_and_saveexec_b32 s1, vcc_lo
	s_cbranch_execz .LBB32_15
; %bb.14:                               ;   in Loop: Header=BB32_12 Depth=1
	v_add_nc_u32_e32 v3, s25, v0
	s_delay_alu instid0(VALU_DEP_1) | instskip(SKIP_2) | instid1(VALU_DEP_2)
	v_lshlrev_b64 v[5:6], 2, v[3:4]
	v_lshlrev_b64 v[15:16], 3, v[3:4]
	s_waitcnt lgkmcnt(0)
	v_add_co_u32 v5, vcc_lo, s8, v5
	s_delay_alu instid0(VALU_DEP_3)
	v_add_co_ci_u32_e32 v6, vcc_lo, s9, v6, vcc_lo
	global_load_b32 v3, v[5:6], off
	v_add_co_u32 v5, vcc_lo, s10, v15
	v_add_co_ci_u32_e32 v6, vcc_lo, s11, v16, vcc_lo
	global_load_b64 v[5:6], v[5:6], off
	s_waitcnt vmcnt(1)
	v_subrev_nc_u32_e32 v3, s4, v3
.LBB32_15:                              ;   in Loop: Header=BB32_12 Depth=1
	s_or_b32 exec_lo, exec_lo, s1
	ds_store_b32 v11, v3
	s_waitcnt vmcnt(0)
	ds_store_b64 v12, v[5:6]
.LBB32_16:                              ;   in Loop: Header=BB32_12 Depth=1
	s_lshl_b32 s1, s0, 3
	s_lshl_b32 s0, s0, 2
	v_mov_b32_e32 v3, s1
	v_mov_b32_e32 v15, s0
	s_waitcnt lgkmcnt(0)
	s_waitcnt_vscnt null, 0x0
	s_barrier
	buffer_gl0_inv
	ds_load_b64 v[5:6], v3
	ds_load_b32 v3, v15 offset:8192
	s_waitcnt lgkmcnt(1)
	v_cmp_eq_f32_e32 vcc_lo, 0, v5
	v_cmp_eq_f32_e64 s0, 0, v6
	s_waitcnt lgkmcnt(0)
	v_readfirstlane_b32 s26, v3
	v_cmp_ne_u32_e64 s1, s14, v3
	s_delay_alu instid0(VALU_DEP_3) | instskip(NEXT) | instid1(VALU_DEP_2)
	s_and_b32 s0, vcc_lo, s0
	s_cmp_eq_u32 s26, s14
	s_cselect_b32 s28, -1, 0
	s_delay_alu instid0(SALU_CYCLE_1) | instskip(NEXT) | instid1(SALU_CYCLE_1)
	s_and_b32 s0, s0, s28
	s_and_b32 s0, s23, s0
	s_delay_alu instid0(SALU_CYCLE_1) | instskip(SKIP_2) | instid1(SALU_CYCLE_1)
	v_cndmask_b32_e64 v3, v6, 0, s0
	v_cndmask_b32_e64 v5, v5, 1.0, s0
	s_and_b32 s27, s3, s0
	s_and_saveexec_b32 s0, s27
	s_cbranch_execz .LBB32_20
; %bb.17:                               ;   in Loop: Header=BB32_12 Depth=1
	v_mbcnt_lo_u32_b32 v3, exec_lo, 0
	s_mov_b32 s27, exec_lo
	s_delay_alu instid0(VALU_DEP_1)
	v_cmpx_eq_u32_e32 0, v3
	s_cbranch_execz .LBB32_19
; %bb.18:                               ;   in Loop: Header=BB32_12 Depth=1
	v_mov_b32_e32 v3, s24
	global_atomic_min_i32 v4, v3, s[18:19]
.LBB32_19:                              ;   in Loop: Header=BB32_12 Depth=1
	s_or_b32 exec_lo, exec_lo, s27
	v_mov_b32_e32 v3, 0
	v_mov_b32_e32 v5, 1.0
.LBB32_20:                              ;   in Loop: Header=BB32_12 Depth=1
	s_or_b32 exec_lo, exec_lo, s0
	s_cmp_lt_i32 s5, 1
	s_mov_b32 s0, 0
	s_cbranch_scc1 .LBB32_26
; %bb.21:                               ;   in Loop: Header=BB32_12 Depth=1
	s_cmp_eq_u32 s5, 1
	s_cbranch_scc0 .LBB32_27
; %bb.22:                               ;   in Loop: Header=BB32_12 Depth=1
	v_dual_mov_b32 v6, v14 :: v_dual_mov_b32 v15, v13
	s_cmp_ge_i32 s26, s14
	s_mov_b32 s27, 0
	s_cbranch_scc0 .LBB32_29
; %bb.23:                               ;   in Loop: Header=BB32_12 Depth=1
	s_and_b32 vcc_lo, exec_lo, s28
	s_cbranch_vccz .LBB32_28
; %bb.24:                               ;   in Loop: Header=BB32_12 Depth=1
	v_dual_mov_b32 v6, v14 :: v_dual_mov_b32 v15, v13
	s_and_not1_b32 vcc_lo, exec_lo, s23
	s_cbranch_vccnz .LBB32_29
; %bb.25:                               ;   in Loop: Header=BB32_12 Depth=1
	v_mul_f32_e32 v6, v3, v3
	s_delay_alu instid0(VALU_DEP_1) | instskip(NEXT) | instid1(VALU_DEP_1)
	v_fmac_f32_e32 v6, v5, v5
	v_div_scale_f32 v15, null, v6, v6, 1.0
	v_div_scale_f32 v18, vcc_lo, 1.0, v6, 1.0
	s_delay_alu instid0(VALU_DEP_2) | instskip(SKIP_2) | instid1(VALU_DEP_1)
	v_rcp_f32_e32 v16, v15
	s_waitcnt_depctr 0xfff
	v_fma_f32 v17, -v15, v16, 1.0
	v_fmac_f32_e32 v16, v17, v16
	s_delay_alu instid0(VALU_DEP_1) | instskip(NEXT) | instid1(VALU_DEP_1)
	v_mul_f32_e32 v17, v18, v16
	v_fma_f32 v19, -v15, v17, v18
	s_delay_alu instid0(VALU_DEP_1) | instskip(NEXT) | instid1(VALU_DEP_1)
	v_fmac_f32_e32 v17, v19, v16
	v_fma_f32 v15, -v15, v17, v18
	s_delay_alu instid0(VALU_DEP_1) | instskip(SKIP_2) | instid1(VALU_DEP_3)
	v_div_fmas_f32 v15, v15, v16, v17
	v_fma_f32 v16, 0, v3, v5
	v_fma_f32 v17, v5, 0, -v3
	v_div_fixup_f32 v6, v15, v6, 1.0
	s_delay_alu instid0(VALU_DEP_1) | instskip(NEXT) | instid1(VALU_DEP_3)
	v_mul_f32_e32 v15, v16, v6
	v_mul_f32_e32 v6, v17, v6
	s_branch .LBB32_29
.LBB32_26:                              ;   in Loop: Header=BB32_12 Depth=1
	s_mov_b32 s27, 0
                                        ; implicit-def: $sgpr28
                                        ; implicit-def: $vgpr16
                                        ; implicit-def: $vgpr17
                                        ; implicit-def: $vgpr6
                                        ; implicit-def: $vgpr15
	s_cbranch_execnz .LBB32_30
	s_branch .LBB32_32
.LBB32_27:                              ;   in Loop: Header=BB32_12 Depth=1
	s_mov_b32 s27, -1
                                        ; implicit-def: $sgpr28
                                        ; implicit-def: $vgpr16
                                        ; implicit-def: $vgpr17
                                        ; implicit-def: $vgpr6
                                        ; implicit-def: $vgpr15
	s_branch .LBB32_32
.LBB32_28:                              ;   in Loop: Header=BB32_12 Depth=1
	s_mov_b32 s27, -1
                                        ; implicit-def: $vgpr6
                                        ; implicit-def: $vgpr15
.LBB32_29:                              ;   in Loop: Header=BB32_12 Depth=1
	v_dual_mov_b32 v16, v7 :: v_dual_mov_b32 v17, v8
	s_mov_b32 s28, 4
	s_branch .LBB32_32
.LBB32_30:                              ;   in Loop: Header=BB32_12 Depth=1
	s_cmp_eq_u32 s5, 0
	s_cbranch_scc1 .LBB32_36
; %bb.31:                               ;   in Loop: Header=BB32_12 Depth=1
	s_mov_b32 s27, -1
                                        ; implicit-def: $sgpr28
                                        ; implicit-def: $vgpr16
                                        ; implicit-def: $vgpr17
                                        ; implicit-def: $vgpr6
                                        ; implicit-def: $vgpr15
.LBB32_32:                              ;   in Loop: Header=BB32_12 Depth=1
	s_delay_alu instid0(SALU_CYCLE_1)
	s_and_b32 vcc_lo, exec_lo, s27
	s_cbranch_vccnz .LBB32_39
.LBB32_33:                              ;   in Loop: Header=BB32_12 Depth=1
	s_and_b32 vcc_lo, exec_lo, s0
	s_cbranch_vccnz .LBB32_45
.LBB32_34:                              ;   in Loop: Header=BB32_12 Depth=1
	s_cmp_gt_i32 s28, 3
	s_mov_b32 s0, -1
	s_cbranch_scc1 .LBB32_48
.LBB32_35:                              ;   in Loop: Header=BB32_12 Depth=1
	s_cmp_eq_u32 s28, 0
	s_cselect_b32 s1, -1, 0
	s_delay_alu instid0(SALU_CYCLE_1)
	s_and_not1_b32 vcc_lo, exec_lo, s1
	s_cbranch_vccz .LBB32_10
	s_branch .LBB32_49
.LBB32_36:                              ;   in Loop: Header=BB32_12 Depth=1
	s_cmp_le_i32 s26, s14
	s_mov_b32 s27, 0
	s_cbranch_scc0 .LBB32_38
; %bb.37:                               ;   in Loop: Header=BB32_12 Depth=1
	s_mov_b32 s0, -1
	s_mov_b32 s27, s1
.LBB32_38:                              ;   in Loop: Header=BB32_12 Depth=1
	v_dual_mov_b32 v16, v7 :: v_dual_mov_b32 v17, v8
	v_dual_mov_b32 v6, v14 :: v_dual_mov_b32 v15, v13
	s_mov_b32 s28, 2
	s_and_b32 vcc_lo, exec_lo, s27
	s_cbranch_vccz .LBB32_33
.LBB32_39:                              ;   in Loop: Header=BB32_12 Depth=1
	s_and_saveexec_b32 s27, s3
	s_cbranch_execz .LBB32_42
; %bb.40:                               ;   in Loop: Header=BB32_12 Depth=1
	s_add_i32 s0, s26, s7
	s_delay_alu instid0(SALU_CYCLE_1) | instskip(NEXT) | instid1(SALU_CYCLE_1)
	s_ashr_i32 s1, s0, 31
	s_lshl_b64 s[0:1], s[0:1], 2
	s_delay_alu instid0(SALU_CYCLE_1)
	s_add_u32 s0, s16, s0
	s_addc_u32 s1, s17, s1
	global_load_b32 v6, v4, s[0:1] glc
	s_waitcnt vmcnt(0)
	v_cmp_ne_u32_e32 vcc_lo, 0, v6
	s_cbranch_vccnz .LBB32_42
.LBB32_41:                              ;   Parent Loop BB32_12 Depth=1
                                        ; =>  This Inner Loop Header: Depth=2
	global_load_b32 v6, v4, s[0:1] glc
	s_waitcnt vmcnt(0)
	v_cmp_eq_u32_e32 vcc_lo, 0, v6
	s_cbranch_vccnz .LBB32_41
.LBB32_42:                              ;   in Loop: Header=BB32_12 Depth=1
	s_or_b32 exec_lo, exec_lo, s27
	v_dual_mov_b32 v16, 0 :: v_dual_mov_b32 v17, 0
	s_mov_b32 s0, 0
	s_waitcnt_vscnt null, 0x0
	s_barrier
	buffer_gl0_inv
	buffer_gl1_inv
	buffer_gl0_inv
	s_and_saveexec_b32 s1, s2
	s_cbranch_execz .LBB32_44
; %bb.43:                               ;   in Loop: Header=BB32_12 Depth=1
	s_mul_i32 s27, s26, s21
	s_mul_hi_u32 s28, s26, s20
	s_ashr_i32 s29, s26, 31
	s_add_i32 s27, s28, s27
	s_mul_i32 s29, s29, s20
	s_mul_i32 s26, s26, s20
	s_add_i32 s27, s27, s29
	s_delay_alu instid0(SALU_CYCLE_1) | instskip(NEXT) | instid1(SALU_CYCLE_1)
	s_lshl_b64 s[26:27], s[26:27], 3
	v_add_co_u32 v15, vcc_lo, v9, s26
	v_add_co_ci_u32_e32 v16, vcc_lo, s27, v10, vcc_lo
	global_load_b64 v[15:16], v[15:16], off
	s_waitcnt vmcnt(0)
	v_fma_f32 v17, -v5, v15, v8
	v_fma_f32 v6, -v3, v15, v7
	s_delay_alu instid0(VALU_DEP_2) | instskip(NEXT) | instid1(VALU_DEP_2)
	v_fmac_f32_e32 v17, v3, v16
	v_fma_f32 v16, -v5, v16, v6
.LBB32_44:                              ;   in Loop: Header=BB32_12 Depth=1
	s_or_b32 exec_lo, exec_lo, s1
	v_dual_mov_b32 v6, v14 :: v_dual_mov_b32 v15, v13
	s_mov_b32 s28, 0
	s_and_b32 vcc_lo, exec_lo, s0
	s_cbranch_vccz .LBB32_34
.LBB32_45:                              ;   in Loop: Header=BB32_12 Depth=1
	s_and_not1_b32 vcc_lo, exec_lo, s23
	s_cbranch_vccnz .LBB32_47
; %bb.46:                               ;   in Loop: Header=BB32_12 Depth=1
	v_mul_f32_e32 v6, v3, v3
	s_delay_alu instid0(VALU_DEP_1) | instskip(NEXT) | instid1(VALU_DEP_1)
	v_fmac_f32_e32 v6, v5, v5
	v_div_scale_f32 v13, null, v6, v6, 1.0
	v_div_scale_f32 v16, vcc_lo, 1.0, v6, 1.0
	s_delay_alu instid0(VALU_DEP_2) | instskip(SKIP_2) | instid1(VALU_DEP_1)
	v_rcp_f32_e32 v14, v13
	s_waitcnt_depctr 0xfff
	v_fma_f32 v15, -v13, v14, 1.0
	v_fmac_f32_e32 v14, v15, v14
	s_delay_alu instid0(VALU_DEP_1) | instskip(NEXT) | instid1(VALU_DEP_1)
	v_mul_f32_e32 v15, v16, v14
	v_fma_f32 v17, -v13, v15, v16
	s_delay_alu instid0(VALU_DEP_1) | instskip(NEXT) | instid1(VALU_DEP_1)
	v_fmac_f32_e32 v15, v17, v14
	v_fma_f32 v13, -v13, v15, v16
	s_delay_alu instid0(VALU_DEP_1) | instskip(SKIP_2) | instid1(VALU_DEP_3)
	v_div_fmas_f32 v13, v13, v14, v15
	v_fma_f32 v14, 0, v3, v5
	v_fma_f32 v3, v5, 0, -v3
	v_div_fixup_f32 v6, v13, v6, 1.0
	s_delay_alu instid0(VALU_DEP_1) | instskip(NEXT) | instid1(VALU_DEP_3)
	v_mul_f32_e32 v13, v14, v6
	v_mul_f32_e32 v14, v3, v6
.LBB32_47:                              ;   in Loop: Header=BB32_12 Depth=1
	s_delay_alu instid0(VALU_DEP_1) | instskip(SKIP_2) | instid1(SALU_CYCLE_1)
	v_dual_mov_b32 v15, v13 :: v_dual_mov_b32 v6, v14
	v_dual_mov_b32 v17, v8 :: v_dual_mov_b32 v16, v7
	s_mov_b32 s28, 2
	s_cmp_gt_i32 s28, 3
	s_mov_b32 s0, -1
	s_cbranch_scc0 .LBB32_35
.LBB32_48:                              ;   in Loop: Header=BB32_12 Depth=1
	s_branch .LBB32_10
.LBB32_49:                              ;   in Loop: Header=BB32_12 Depth=1
                                        ; implicit-def: $sgpr25
	s_branch .LBB32_11
.LBB32_50:
                                        ; implicit-def: $vgpr7
                                        ; implicit-def: $vgpr8
	s_load_b64 s[16:17], s[0:1], 0x40
.LBB32_51:
	v_dual_mov_b32 v7, 0 :: v_dual_mov_b32 v8, 0
	s_delay_alu instid0(VALU_DEP_2)
	s_and_saveexec_b32 s3, s2
	s_cbranch_execz .LBB32_53
; %bb.52:
	v_lshlrev_b64 v[5:6], 3, v[1:2]
	s_delay_alu instid0(VALU_DEP_1) | instskip(NEXT) | instid1(VALU_DEP_2)
	v_add_co_u32 v5, vcc_lo, s12, v5
	v_add_co_ci_u32_e32 v6, vcc_lo, s13, v6, vcc_lo
	global_load_b64 v[5:6], v[5:6], off
	s_waitcnt vmcnt(0)
	v_mul_f32_e64 v7, s24, -v6
	s_delay_alu instid0(VALU_DEP_1) | instskip(NEXT) | instid1(VALU_DEP_1)
	v_dual_mul_f32 v8, s9, v6 :: v_dual_fmac_f32 v7, s9, v5
	v_fmac_f32_e32 v8, s24, v5
.LBB32_53:
	s_or_b32 exec_lo, exec_lo, s3
	v_cmp_eq_u32_e64 s3, 0, v0
	s_waitcnt lgkmcnt(0)
	s_cmp_ge_i32 s22, s23
	s_cbranch_scc0 .LBB32_9
.LBB32_54:
	v_dual_mov_b32 v6, 0 :: v_dual_mov_b32 v15, 1.0
	s_and_saveexec_b32 s0, s2
	s_cbranch_execnz .LBB32_56
	s_branch .LBB32_57
.LBB32_55:
	v_dual_mov_b32 v7, v16 :: v_dual_mov_b32 v8, v17
	s_and_saveexec_b32 s0, s2
	s_cbranch_execz .LBB32_57
.LBB32_56:
	v_lshlrev_b64 v[1:2], 3, v[1:2]
	s_delay_alu instid0(VALU_DEP_2) | instskip(SKIP_2) | instid1(VALU_DEP_2)
	v_mul_f32_e32 v3, v6, v8
	v_mul_f32_e64 v5, v6, -v7
	s_cmp_eq_u32 s6, 0
	v_fmac_f32_e32 v3, v7, v15
	s_delay_alu instid0(VALU_DEP_2) | instskip(SKIP_3) | instid1(VALU_DEP_3)
	v_fmac_f32_e32 v5, v8, v15
	v_add_co_u32 v1, vcc_lo, s12, v1
	v_add_co_ci_u32_e32 v2, vcc_lo, s13, v2, vcc_lo
	s_cselect_b32 vcc_lo, -1, 0
	v_dual_cndmask_b32 v4, v7, v3 :: v_dual_cndmask_b32 v3, v8, v5
	global_store_b64 v[1:2], v[3:4], off
.LBB32_57:
	s_or_b32 exec_lo, exec_lo, s0
	s_waitcnt_vscnt null, 0x0
	buffer_gl1_inv
	buffer_gl0_inv
	s_barrier
	buffer_gl0_inv
	s_mov_b32 s0, exec_lo
	v_cmpx_eq_u32_e32 0, v0
	s_cbranch_execz .LBB32_59
; %bb.58:
	s_add_i32 s0, s14, s7
	v_dual_mov_b32 v0, 0 :: v_dual_mov_b32 v1, 1
	s_ashr_i32 s1, s0, 31
	s_delay_alu instid0(SALU_CYCLE_1) | instskip(NEXT) | instid1(SALU_CYCLE_1)
	s_lshl_b64 s[0:1], s[0:1], 2
	s_add_u32 s0, s16, s0
	s_addc_u32 s1, s17, s1
	global_store_b32 v0, v1, s[0:1]
.LBB32_59:
	s_nop 0
	s_sendmsg sendmsg(MSG_DEALLOC_VGPRS)
	s_endpgm
	.section	.rodata,"a",@progbits
	.p2align	6, 0x0
	.amdhsa_kernel _ZN9rocsparseL5csrsmILj1024ELj64ELb0Eii21rocsparse_complex_numIfEEEv20rocsparse_operation_T3_S4_NS_24const_host_device_scalarIT4_EEPKT2_PKS4_PKS6_PS6_lPiSC_PS4_21rocsparse_index_base_20rocsparse_fill_mode_20rocsparse_diag_type_b
		.amdhsa_group_segment_fixed_size 12288
		.amdhsa_private_segment_fixed_size 0
		.amdhsa_kernarg_size 104
		.amdhsa_user_sgpr_count 15
		.amdhsa_user_sgpr_dispatch_ptr 0
		.amdhsa_user_sgpr_queue_ptr 0
		.amdhsa_user_sgpr_kernarg_segment_ptr 1
		.amdhsa_user_sgpr_dispatch_id 0
		.amdhsa_user_sgpr_private_segment_size 0
		.amdhsa_wavefront_size32 1
		.amdhsa_uses_dynamic_stack 0
		.amdhsa_enable_private_segment 0
		.amdhsa_system_sgpr_workgroup_id_x 1
		.amdhsa_system_sgpr_workgroup_id_y 0
		.amdhsa_system_sgpr_workgroup_id_z 0
		.amdhsa_system_sgpr_workgroup_info 0
		.amdhsa_system_vgpr_workitem_id 0
		.amdhsa_next_free_vgpr 20
		.amdhsa_next_free_sgpr 30
		.amdhsa_reserve_vcc 1
		.amdhsa_float_round_mode_32 0
		.amdhsa_float_round_mode_16_64 0
		.amdhsa_float_denorm_mode_32 3
		.amdhsa_float_denorm_mode_16_64 3
		.amdhsa_dx10_clamp 1
		.amdhsa_ieee_mode 1
		.amdhsa_fp16_overflow 0
		.amdhsa_workgroup_processor_mode 1
		.amdhsa_memory_ordered 1
		.amdhsa_forward_progress 0
		.amdhsa_shared_vgpr_count 0
		.amdhsa_exception_fp_ieee_invalid_op 0
		.amdhsa_exception_fp_denorm_src 0
		.amdhsa_exception_fp_ieee_div_zero 0
		.amdhsa_exception_fp_ieee_overflow 0
		.amdhsa_exception_fp_ieee_underflow 0
		.amdhsa_exception_fp_ieee_inexact 0
		.amdhsa_exception_int_div_zero 0
	.end_amdhsa_kernel
	.section	.text._ZN9rocsparseL5csrsmILj1024ELj64ELb0Eii21rocsparse_complex_numIfEEEv20rocsparse_operation_T3_S4_NS_24const_host_device_scalarIT4_EEPKT2_PKS4_PKS6_PS6_lPiSC_PS4_21rocsparse_index_base_20rocsparse_fill_mode_20rocsparse_diag_type_b,"axG",@progbits,_ZN9rocsparseL5csrsmILj1024ELj64ELb0Eii21rocsparse_complex_numIfEEEv20rocsparse_operation_T3_S4_NS_24const_host_device_scalarIT4_EEPKT2_PKS4_PKS6_PS6_lPiSC_PS4_21rocsparse_index_base_20rocsparse_fill_mode_20rocsparse_diag_type_b,comdat
.Lfunc_end32:
	.size	_ZN9rocsparseL5csrsmILj1024ELj64ELb0Eii21rocsparse_complex_numIfEEEv20rocsparse_operation_T3_S4_NS_24const_host_device_scalarIT4_EEPKT2_PKS4_PKS6_PS6_lPiSC_PS4_21rocsparse_index_base_20rocsparse_fill_mode_20rocsparse_diag_type_b, .Lfunc_end32-_ZN9rocsparseL5csrsmILj1024ELj64ELb0Eii21rocsparse_complex_numIfEEEv20rocsparse_operation_T3_S4_NS_24const_host_device_scalarIT4_EEPKT2_PKS4_PKS6_PS6_lPiSC_PS4_21rocsparse_index_base_20rocsparse_fill_mode_20rocsparse_diag_type_b
                                        ; -- End function
	.section	.AMDGPU.csdata,"",@progbits
; Kernel info:
; codeLenInByte = 2076
; NumSgprs: 32
; NumVgprs: 20
; ScratchSize: 0
; MemoryBound: 0
; FloatMode: 240
; IeeeMode: 1
; LDSByteSize: 12288 bytes/workgroup (compile time only)
; SGPRBlocks: 3
; VGPRBlocks: 2
; NumSGPRsForWavesPerEU: 32
; NumVGPRsForWavesPerEU: 20
; Occupancy: 16
; WaveLimiterHint : 1
; COMPUTE_PGM_RSRC2:SCRATCH_EN: 0
; COMPUTE_PGM_RSRC2:USER_SGPR: 15
; COMPUTE_PGM_RSRC2:TRAP_HANDLER: 0
; COMPUTE_PGM_RSRC2:TGID_X_EN: 1
; COMPUTE_PGM_RSRC2:TGID_Y_EN: 0
; COMPUTE_PGM_RSRC2:TGID_Z_EN: 0
; COMPUTE_PGM_RSRC2:TIDIG_COMP_CNT: 0
	.section	.text._ZN9rocsparseL23csrsm_solve_copy_y_to_BILj1024E21rocsparse_complex_numIdEEEvlPT0_lPKS3_,"axG",@progbits,_ZN9rocsparseL23csrsm_solve_copy_y_to_BILj1024E21rocsparse_complex_numIdEEEvlPT0_lPKS3_,comdat
	.globl	_ZN9rocsparseL23csrsm_solve_copy_y_to_BILj1024E21rocsparse_complex_numIdEEEvlPT0_lPKS3_ ; -- Begin function _ZN9rocsparseL23csrsm_solve_copy_y_to_BILj1024E21rocsparse_complex_numIdEEEvlPT0_lPKS3_
	.p2align	8
	.type	_ZN9rocsparseL23csrsm_solve_copy_y_to_BILj1024E21rocsparse_complex_numIdEEEvlPT0_lPKS3_,@function
_ZN9rocsparseL23csrsm_solve_copy_y_to_BILj1024E21rocsparse_complex_numIdEEEvlPT0_lPKS3_: ; @_ZN9rocsparseL23csrsm_solve_copy_y_to_BILj1024E21rocsparse_complex_numIdEEEvlPT0_lPKS3_
; %bb.0:
	s_load_b256 s[0:7], s[0:1], 0x0
	v_lshl_or_b32 v0, s15, 10, v0
	v_mov_b32_e32 v1, 0
	s_waitcnt lgkmcnt(0)
	s_delay_alu instid0(VALU_DEP_1)
	v_cmp_gt_u64_e32 vcc_lo, s[0:1], v[0:1]
	s_and_saveexec_b32 s0, vcc_lo
	s_cbranch_execz .LBB33_2
; %bb.1:
	v_lshlrev_b64 v[1:2], 4, v[0:1]
	v_mad_u64_u32 v[5:6], null, v0, s4, 0
	s_delay_alu instid0(VALU_DEP_2) | instskip(NEXT) | instid1(VALU_DEP_3)
	v_add_co_u32 v1, vcc_lo, s6, v1
	v_add_co_ci_u32_e32 v2, vcc_lo, s7, v2, vcc_lo
	s_delay_alu instid0(VALU_DEP_3) | instskip(SKIP_2) | instid1(VALU_DEP_1)
	v_mad_u64_u32 v[7:8], null, v0, s5, v[6:7]
	global_load_b128 v[1:4], v[1:2], off
	v_mov_b32_e32 v6, v7
	v_lshlrev_b64 v[5:6], 4, v[5:6]
	s_delay_alu instid0(VALU_DEP_1) | instskip(NEXT) | instid1(VALU_DEP_2)
	v_add_co_u32 v5, vcc_lo, s2, v5
	v_add_co_ci_u32_e32 v6, vcc_lo, s3, v6, vcc_lo
	s_waitcnt vmcnt(0)
	global_store_b128 v[5:6], v[1:4], off
.LBB33_2:
	s_nop 0
	s_sendmsg sendmsg(MSG_DEALLOC_VGPRS)
	s_endpgm
	.section	.rodata,"a",@progbits
	.p2align	6, 0x0
	.amdhsa_kernel _ZN9rocsparseL23csrsm_solve_copy_y_to_BILj1024E21rocsparse_complex_numIdEEEvlPT0_lPKS3_
		.amdhsa_group_segment_fixed_size 0
		.amdhsa_private_segment_fixed_size 0
		.amdhsa_kernarg_size 32
		.amdhsa_user_sgpr_count 15
		.amdhsa_user_sgpr_dispatch_ptr 0
		.amdhsa_user_sgpr_queue_ptr 0
		.amdhsa_user_sgpr_kernarg_segment_ptr 1
		.amdhsa_user_sgpr_dispatch_id 0
		.amdhsa_user_sgpr_private_segment_size 0
		.amdhsa_wavefront_size32 1
		.amdhsa_uses_dynamic_stack 0
		.amdhsa_enable_private_segment 0
		.amdhsa_system_sgpr_workgroup_id_x 1
		.amdhsa_system_sgpr_workgroup_id_y 0
		.amdhsa_system_sgpr_workgroup_id_z 0
		.amdhsa_system_sgpr_workgroup_info 0
		.amdhsa_system_vgpr_workitem_id 0
		.amdhsa_next_free_vgpr 9
		.amdhsa_next_free_sgpr 16
		.amdhsa_reserve_vcc 1
		.amdhsa_float_round_mode_32 0
		.amdhsa_float_round_mode_16_64 0
		.amdhsa_float_denorm_mode_32 3
		.amdhsa_float_denorm_mode_16_64 3
		.amdhsa_dx10_clamp 1
		.amdhsa_ieee_mode 1
		.amdhsa_fp16_overflow 0
		.amdhsa_workgroup_processor_mode 1
		.amdhsa_memory_ordered 1
		.amdhsa_forward_progress 0
		.amdhsa_shared_vgpr_count 0
		.amdhsa_exception_fp_ieee_invalid_op 0
		.amdhsa_exception_fp_denorm_src 0
		.amdhsa_exception_fp_ieee_div_zero 0
		.amdhsa_exception_fp_ieee_overflow 0
		.amdhsa_exception_fp_ieee_underflow 0
		.amdhsa_exception_fp_ieee_inexact 0
		.amdhsa_exception_int_div_zero 0
	.end_amdhsa_kernel
	.section	.text._ZN9rocsparseL23csrsm_solve_copy_y_to_BILj1024E21rocsparse_complex_numIdEEEvlPT0_lPKS3_,"axG",@progbits,_ZN9rocsparseL23csrsm_solve_copy_y_to_BILj1024E21rocsparse_complex_numIdEEEvlPT0_lPKS3_,comdat
.Lfunc_end33:
	.size	_ZN9rocsparseL23csrsm_solve_copy_y_to_BILj1024E21rocsparse_complex_numIdEEEvlPT0_lPKS3_, .Lfunc_end33-_ZN9rocsparseL23csrsm_solve_copy_y_to_BILj1024E21rocsparse_complex_numIdEEEvlPT0_lPKS3_
                                        ; -- End function
	.section	.AMDGPU.csdata,"",@progbits
; Kernel info:
; codeLenInByte = 144
; NumSgprs: 18
; NumVgprs: 9
; ScratchSize: 0
; MemoryBound: 0
; FloatMode: 240
; IeeeMode: 1
; LDSByteSize: 0 bytes/workgroup (compile time only)
; SGPRBlocks: 2
; VGPRBlocks: 1
; NumSGPRsForWavesPerEU: 18
; NumVGPRsForWavesPerEU: 9
; Occupancy: 16
; WaveLimiterHint : 0
; COMPUTE_PGM_RSRC2:SCRATCH_EN: 0
; COMPUTE_PGM_RSRC2:USER_SGPR: 15
; COMPUTE_PGM_RSRC2:TRAP_HANDLER: 0
; COMPUTE_PGM_RSRC2:TGID_X_EN: 1
; COMPUTE_PGM_RSRC2:TGID_Y_EN: 0
; COMPUTE_PGM_RSRC2:TGID_Z_EN: 0
; COMPUTE_PGM_RSRC2:TIDIG_COMP_CNT: 0
	.section	.text._ZN9rocsparseL5csrsmILj64ELj64ELb1Eii21rocsparse_complex_numIdEEEv20rocsparse_operation_T3_S4_NS_24const_host_device_scalarIT4_EEPKT2_PKS4_PKS6_PS6_lPiSC_PS4_21rocsparse_index_base_20rocsparse_fill_mode_20rocsparse_diag_type_b,"axG",@progbits,_ZN9rocsparseL5csrsmILj64ELj64ELb1Eii21rocsparse_complex_numIdEEEv20rocsparse_operation_T3_S4_NS_24const_host_device_scalarIT4_EEPKT2_PKS4_PKS6_PS6_lPiSC_PS4_21rocsparse_index_base_20rocsparse_fill_mode_20rocsparse_diag_type_b,comdat
	.globl	_ZN9rocsparseL5csrsmILj64ELj64ELb1Eii21rocsparse_complex_numIdEEEv20rocsparse_operation_T3_S4_NS_24const_host_device_scalarIT4_EEPKT2_PKS4_PKS6_PS6_lPiSC_PS4_21rocsparse_index_base_20rocsparse_fill_mode_20rocsparse_diag_type_b ; -- Begin function _ZN9rocsparseL5csrsmILj64ELj64ELb1Eii21rocsparse_complex_numIdEEEv20rocsparse_operation_T3_S4_NS_24const_host_device_scalarIT4_EEPKT2_PKS4_PKS6_PS6_lPiSC_PS4_21rocsparse_index_base_20rocsparse_fill_mode_20rocsparse_diag_type_b
	.p2align	8
	.type	_ZN9rocsparseL5csrsmILj64ELj64ELb1Eii21rocsparse_complex_numIdEEEv20rocsparse_operation_T3_S4_NS_24const_host_device_scalarIT4_EEPKT2_PKS4_PKS6_PS6_lPiSC_PS4_21rocsparse_index_base_20rocsparse_fill_mode_20rocsparse_diag_type_b,@function
_ZN9rocsparseL5csrsmILj64ELj64ELb1Eii21rocsparse_complex_numIdEEEv20rocsparse_operation_T3_S4_NS_24const_host_device_scalarIT4_EEPKT2_PKS4_PKS6_PS6_lPiSC_PS4_21rocsparse_index_base_20rocsparse_fill_mode_20rocsparse_diag_type_b: ; @_ZN9rocsparseL5csrsmILj64ELj64ELb1Eii21rocsparse_complex_numIdEEEv20rocsparse_operation_T3_S4_NS_24const_host_device_scalarIT4_EEPKT2_PKS4_PKS6_PS6_lPiSC_PS4_21rocsparse_index_base_20rocsparse_fill_mode_20rocsparse_diag_type_b
; %bb.0:
	s_load_b64 s[0:1], s[0:1], 0x4
	s_load_b128 s[4:7], s[2:3], 0x60
	v_bfe_u32 v1, v0, 10, 10
	s_load_b128 s[8:11], s[2:3], 0x10
	v_and_b32_e32 v21, 0x3ff, v0
	v_bfe_u32 v0, v0, 20, 10
	s_mov_b64 s[12:13], src_shared_base
	s_waitcnt lgkmcnt(0)
	v_mul_u32_u24_e32 v1, s1, v1
	s_lshr_b32 s0, s0, 16
	s_delay_alu instid0(SALU_CYCLE_1)
	s_mul_i32 s0, s0, s1
	s_delay_alu instid0(VALU_DEP_1) | instid1(SALU_CYCLE_1)
	v_mad_u32_u24 v1, s0, v21, v1
	s_and_b32 s0, 1, s7
	s_delay_alu instid0(SALU_CYCLE_1)
	s_cmp_eq_u32 s0, 1
	s_load_b64 s[0:1], s[2:3], 0x20
	v_mov_b32_e32 v2, s8
	v_add_lshl_u32 v4, v1, v0, 3
	s_cselect_b32 vcc_lo, -1, 0
	v_dual_mov_b32 v3, s9 :: v_dual_mov_b32 v6, s10
	s_delay_alu instid0(VALU_DEP_2) | instskip(SKIP_4) | instid1(SALU_CYCLE_1)
	v_dual_mov_b32 v7, s11 :: v_dual_add_nc_u32 v0, 0x500, v4
	ds_store_b64 v4, v[2:3] offset:1280
	v_cndmask_b32_e32 v0, s8, v0, vcc_lo
	s_and_b32 vcc_lo, vcc_lo, exec_lo
	s_cselect_b32 s7, s13, s9
	v_mov_b32_e32 v1, s7
	flat_load_b64 v[4:5], v[0:1]
	s_clause 0x1
	s_load_b64 s[12:13], s[2:3], 0x50
	s_load_b64 s[20:21], s[2:3], 0x38
	s_cbranch_vccnz .LBB34_2
; %bb.1:
	v_dual_mov_b32 v0, s8 :: v_dual_mov_b32 v1, s9
	flat_load_b64 v[6:7], v[0:1] offset:8
.LBB34_2:
	s_clause 0x1
	s_load_b128 s[8:11], s[2:3], 0x0
	s_load_b64 s[16:17], s[2:3], 0x40
	s_waitcnt lgkmcnt(0)
	v_cvt_f32_u32_e32 v0, s9
	s_sub_i32 s11, 0, s9
	s_delay_alu instid0(VALU_DEP_1) | instskip(SKIP_2) | instid1(VALU_DEP_1)
	v_rcp_iflag_f32_e32 v0, v0
	s_waitcnt_depctr 0xfff
	v_mul_f32_e32 v0, 0x4f7ffffe, v0
	v_cvt_u32_f32_e32 v0, v0
	s_delay_alu instid0(VALU_DEP_1) | instskip(NEXT) | instid1(VALU_DEP_1)
	v_readfirstlane_b32 s7, v0
	s_mul_i32 s11, s11, s7
	s_delay_alu instid0(SALU_CYCLE_1) | instskip(NEXT) | instid1(SALU_CYCLE_1)
	s_mul_hi_u32 s11, s7, s11
	s_add_i32 s7, s7, s11
	s_delay_alu instid0(SALU_CYCLE_1) | instskip(NEXT) | instid1(SALU_CYCLE_1)
	s_mul_hi_u32 s7, s15, s7
	s_mul_i32 s11, s7, s9
	s_add_i32 s14, s7, 1
	s_sub_i32 s11, s15, s11
	s_delay_alu instid0(SALU_CYCLE_1)
	s_sub_i32 s18, s11, s9
	s_cmp_ge_u32 s11, s9
	s_cselect_b32 s7, s14, s7
	s_cselect_b32 s11, s18, s11
	s_add_i32 s14, s7, 1
	s_cmp_ge_u32 s11, s9
	s_cselect_b32 s11, s14, s7
	s_delay_alu instid0(SALU_CYCLE_1) | instskip(SKIP_2) | instid1(SALU_CYCLE_1)
	s_mul_i32 s7, s11, s9
	v_lshl_or_b32 v8, s11, 6, v21
	s_sub_i32 s14, s15, s7
	s_ashr_i32 s15, s14, 31
	s_delay_alu instid0(VALU_DEP_1) | instskip(SKIP_1) | instid1(SALU_CYCLE_1)
	v_ashrrev_i32_e32 v9, 31, v8
	s_lshl_b64 s[14:15], s[14:15], 2
	s_add_u32 s12, s12, s14
	s_addc_u32 s13, s13, s15
	s_load_b32 s12, s[12:13], 0x0
	s_waitcnt lgkmcnt(0)
	s_ashr_i32 s13, s12, 31
	s_delay_alu instid0(SALU_CYCLE_1) | instskip(NEXT) | instid1(SALU_CYCLE_1)
	s_lshl_b64 s[14:15], s[12:13], 2
	s_add_u32 s0, s0, s14
	s_addc_u32 s1, s1, s15
	s_mul_i32 s14, s12, s16
	s_load_b64 s[22:23], s[0:1], 0x0
	s_mul_i32 s0, s12, s17
	s_mul_hi_u32 s1, s12, s16
	v_add_co_u32 v10, vcc_lo, s14, v8
	s_add_i32 s0, s1, s0
	s_mul_i32 s1, s13, s16
	s_delay_alu instid0(SALU_CYCLE_1)
	s_add_i32 s15, s0, s1
	v_cmp_gt_i32_e64 s0, s10, v8
	v_add_co_ci_u32_e32 v11, vcc_lo, s15, v9, vcc_lo
	s_cmpk_lg_i32 s8, 0x71
	s_cbranch_scc0 .LBB34_6
; %bb.3:
	v_mov_b32_e32 v2, 0
	v_mov_b32_e32 v3, 0
	s_delay_alu instid0(VALU_DEP_1)
	v_dual_mov_b32 v0, v2 :: v_dual_mov_b32 v1, v3
	s_and_saveexec_b32 s1, s0
	s_cbranch_execz .LBB34_5
; %bb.4:
	v_lshlrev_b64 v[0:1], 4, v[10:11]
	s_delay_alu instid0(VALU_DEP_1) | instskip(NEXT) | instid1(VALU_DEP_2)
	v_add_co_u32 v0, vcc_lo, s20, v0
	v_add_co_ci_u32_e32 v1, vcc_lo, s21, v1, vcc_lo
	global_load_b128 v[12:15], v[0:1], off
	s_waitcnt vmcnt(0)
	v_mul_f64 v[0:1], v[14:15], -v[6:7]
	v_mul_f64 v[2:3], v[4:5], v[14:15]
	s_delay_alu instid0(VALU_DEP_2) | instskip(NEXT) | instid1(VALU_DEP_2)
	v_fma_f64 v[0:1], v[4:5], v[12:13], v[0:1]
	v_fma_f64 v[2:3], v[6:7], v[12:13], v[2:3]
.LBB34_5:
	s_or_b32 exec_lo, exec_lo, s1
	s_load_b64 s[18:19], s[2:3], 0x48
	s_cbranch_execz .LBB34_7
	s_branch .LBB34_10
.LBB34_6:
                                        ; implicit-def: $vgpr2_vgpr3
	s_load_b64 s[18:19], s[2:3], 0x48
.LBB34_7:
	v_mov_b32_e32 v2, 0
	v_mov_b32_e32 v3, 0
	s_delay_alu instid0(VALU_DEP_1)
	v_dual_mov_b32 v0, v2 :: v_dual_mov_b32 v1, v3
	s_and_saveexec_b32 s1, s0
	s_cbranch_execz .LBB34_9
; %bb.8:
	v_lshlrev_b64 v[0:1], 4, v[10:11]
	s_delay_alu instid0(VALU_DEP_1) | instskip(NEXT) | instid1(VALU_DEP_2)
	v_add_co_u32 v0, vcc_lo, s20, v0
	v_add_co_ci_u32_e32 v1, vcc_lo, s21, v1, vcc_lo
	global_load_b128 v[10:13], v[0:1], off
	s_waitcnt vmcnt(0)
	v_mul_f64 v[0:1], v[6:7], v[12:13]
	v_mul_f64 v[2:3], v[4:5], -v[12:13]
	s_delay_alu instid0(VALU_DEP_2) | instskip(NEXT) | instid1(VALU_DEP_2)
	v_fma_f64 v[0:1], v[4:5], v[10:11], v[0:1]
	v_fma_f64 v[2:3], v[6:7], v[10:11], v[2:3]
.LBB34_9:
	s_or_b32 exec_lo, exec_lo, s1
.LBB34_10:
	s_waitcnt vmcnt(0)
	v_lshlrev_b64 v[4:5], 4, v[8:9]
	v_cmp_eq_u32_e64 s1, 0, v21
	s_waitcnt lgkmcnt(0)
	s_cmp_ge_i32 s22, s23
	s_delay_alu instid0(VALU_DEP_2) | instskip(NEXT) | instid1(VALU_DEP_3)
	v_add_co_u32 v22, vcc_lo, s20, v4
	v_add_co_ci_u32_e32 v23, vcc_lo, s21, v5, vcc_lo
	s_cbranch_scc1 .LBB34_55
; %bb.11:
	s_clause 0x1
	s_load_b64 s[20:21], s[2:3], 0x58
	s_load_b128 s[8:11], s[2:3], 0x28
	v_mov_b32_e32 v9, 0
	v_dual_mov_b32 v11, 0 :: v_dual_mov_b32 v8, 0
	s_sub_i32 s13, s22, s4
	s_sub_i32 s22, s23, s4
	v_lshl_or_b32 v24, v21, 2, 0x400
	v_dual_mov_b32 v10, 0 :: v_dual_lshlrev_b32 v25, 4, v21
	v_mov_b32_e32 v12, 0x3ff00000
	s_cmp_eq_u32 s6, 0
	s_mov_b32 s25, s13
	s_cselect_b32 s23, -1, 0
	s_add_i32 s24, s12, s4
	s_branch .LBB34_14
.LBB34_12:                              ;   in Loop: Header=BB34_14 Depth=1
	s_add_i32 s25, s25, 1
	s_delay_alu instid0(SALU_CYCLE_1)
	s_cmp_ge_i32 s25, s22
	s_cselect_b32 s2, -1, 0
.LBB34_13:                              ;   in Loop: Header=BB34_14 Depth=1
	s_delay_alu instid0(VALU_DEP_3) | instskip(NEXT) | instid1(VALU_DEP_4)
	v_dual_mov_b32 v2, v17 :: v_dual_mov_b32 v3, v18
	v_dual_mov_b32 v0, v19 :: v_dual_mov_b32 v1, v20
	s_delay_alu instid0(VALU_DEP_4) | instskip(NEXT) | instid1(VALU_DEP_4)
	v_dual_mov_b32 v9, v13 :: v_dual_mov_b32 v10, v14
	v_dual_mov_b32 v11, v15 :: v_dual_mov_b32 v12, v16
	s_and_not1_b32 vcc_lo, exec_lo, s2
	s_cbranch_vccz .LBB34_56
.LBB34_14:                              ; =>This Loop Header: Depth=1
                                        ;     Child Loop BB34_53 Depth 2
                                        ;       Child Loop BB34_54 Depth 3
	s_sub_i32 s2, s25, s13
	s_delay_alu instid0(SALU_CYCLE_1) | instskip(NEXT) | instid1(SALU_CYCLE_1)
	s_and_b32 s3, s2, 63
	s_cmp_lg_u32 s3, 0
	s_cbranch_scc1 .LBB34_18
; %bb.15:                               ;   in Loop: Header=BB34_14 Depth=1
	s_sub_i32 s2, s22, s25
	v_mov_b32_e32 v6, 0
	v_dual_mov_b32 v7, 0 :: v_dual_mov_b32 v4, 0
	v_cmp_gt_u32_e32 vcc_lo, s2, v21
	v_mov_b32_e32 v5, 0xbff00000
	v_mov_b32_e32 v13, -1
	s_and_saveexec_b32 s2, vcc_lo
	s_cbranch_execz .LBB34_17
; %bb.16:                               ;   in Loop: Header=BB34_14 Depth=1
	v_add_nc_u32_e32 v7, s25, v21
	s_delay_alu instid0(VALU_DEP_1) | instskip(SKIP_2) | instid1(VALU_DEP_2)
	v_lshlrev_b64 v[4:5], 2, v[7:8]
	v_lshlrev_b64 v[6:7], 4, v[7:8]
	s_waitcnt lgkmcnt(0)
	v_add_co_u32 v4, vcc_lo, s8, v4
	s_delay_alu instid0(VALU_DEP_3)
	v_add_co_ci_u32_e32 v5, vcc_lo, s9, v5, vcc_lo
	global_load_b32 v13, v[4:5], off
	v_add_co_u32 v4, vcc_lo, s10, v6
	v_add_co_ci_u32_e32 v5, vcc_lo, s11, v7, vcc_lo
	global_load_b128 v[4:7], v[4:5], off
	s_waitcnt vmcnt(1)
	v_subrev_nc_u32_e32 v13, s4, v13
.LBB34_17:                              ;   in Loop: Header=BB34_14 Depth=1
	s_or_b32 exec_lo, exec_lo, s2
	ds_store_b32 v24, v13
	s_waitcnt vmcnt(0)
	ds_store_b128 v25, v[4:7]
.LBB34_18:                              ;   in Loop: Header=BB34_14 Depth=1
	s_lshl_b32 s2, s3, 4
	s_waitcnt lgkmcnt(0)
	v_mov_b32_e32 v4, s2
	s_waitcnt_vscnt null, 0x0
	s_barrier
	buffer_gl0_inv
	s_lshl_b32 s3, s3, 2
	ds_load_b128 v[13:16], v4
	v_mov_b32_e32 v4, s3
	ds_load_b32 v4, v4 offset:1024
	s_waitcnt lgkmcnt(1)
	v_cmp_eq_f64_e32 vcc_lo, 0, v[13:14]
	v_cmp_eq_f64_e64 s2, 0, v[15:16]
	s_waitcnt lgkmcnt(0)
	v_readfirstlane_b32 s26, v4
	v_cmp_ne_u32_e64 s3, s12, v4
	s_delay_alu instid0(VALU_DEP_3) | instskip(NEXT) | instid1(VALU_DEP_2)
	s_and_b32 s2, vcc_lo, s2
	s_cmp_eq_u32 s26, s12
	s_cselect_b32 s28, -1, 0
	s_delay_alu instid0(SALU_CYCLE_1) | instskip(NEXT) | instid1(SALU_CYCLE_1)
	s_and_b32 s2, s2, s28
	s_and_b32 s2, s23, s2
	s_delay_alu instid0(SALU_CYCLE_1) | instskip(SKIP_4) | instid1(SALU_CYCLE_1)
	v_cndmask_b32_e64 v5, v16, 0, s2
	v_cndmask_b32_e64 v4, v15, 0, s2
	;; [unrolled: 1-line block ×4, first 2 shown]
	s_and_b32 s27, s1, s2
	s_and_saveexec_b32 s2, s27
	s_cbranch_execz .LBB34_22
; %bb.19:                               ;   in Loop: Header=BB34_14 Depth=1
	v_mbcnt_lo_u32_b32 v4, exec_lo, 0
	s_mov_b32 s27, exec_lo
	s_delay_alu instid0(VALU_DEP_1)
	v_cmpx_eq_u32_e32 0, v4
	s_cbranch_execz .LBB34_21
; %bb.20:                               ;   in Loop: Header=BB34_14 Depth=1
	v_mov_b32_e32 v4, s24
	global_atomic_min_i32 v8, v4, s[20:21]
.LBB34_21:                              ;   in Loop: Header=BB34_14 Depth=1
	s_or_b32 exec_lo, exec_lo, s27
	v_mov_b32_e32 v4, 0
	v_dual_mov_b32 v5, 0 :: v_dual_mov_b32 v6, 0
	v_mov_b32_e32 v7, 0x3ff00000
.LBB34_22:                              ;   in Loop: Header=BB34_14 Depth=1
	s_or_b32 exec_lo, exec_lo, s2
	s_cmp_lt_i32 s5, 1
	s_mov_b32 s2, 0
	s_cbranch_scc1 .LBB34_28
; %bb.23:                               ;   in Loop: Header=BB34_14 Depth=1
	s_cmp_eq_u32 s5, 1
	s_cbranch_scc0 .LBB34_29
; %bb.24:                               ;   in Loop: Header=BB34_14 Depth=1
	v_dual_mov_b32 v14, v10 :: v_dual_mov_b32 v13, v9
	v_dual_mov_b32 v16, v12 :: v_dual_mov_b32 v15, v11
	s_cmp_ge_i32 s26, s12
	s_mov_b32 s27, 0
	s_cbranch_scc0 .LBB34_31
; %bb.25:                               ;   in Loop: Header=BB34_14 Depth=1
	s_and_b32 vcc_lo, exec_lo, s28
	s_cbranch_vccz .LBB34_30
; %bb.26:                               ;   in Loop: Header=BB34_14 Depth=1
	v_dual_mov_b32 v14, v10 :: v_dual_mov_b32 v13, v9
	v_dual_mov_b32 v16, v12 :: v_dual_mov_b32 v15, v11
	s_and_not1_b32 vcc_lo, exec_lo, s23
	s_cbranch_vccnz .LBB34_31
; %bb.27:                               ;   in Loop: Header=BB34_14 Depth=1
	v_mul_f64 v[13:14], v[4:5], v[4:5]
	s_delay_alu instid0(VALU_DEP_1) | instskip(NEXT) | instid1(VALU_DEP_1)
	v_fma_f64 v[13:14], v[6:7], v[6:7], v[13:14]
	v_div_scale_f64 v[15:16], null, v[13:14], v[13:14], 1.0
	v_div_scale_f64 v[26:27], vcc_lo, 1.0, v[13:14], 1.0
	s_delay_alu instid0(VALU_DEP_2) | instskip(SKIP_2) | instid1(VALU_DEP_1)
	v_rcp_f64_e32 v[17:18], v[15:16]
	s_waitcnt_depctr 0xfff
	v_fma_f64 v[19:20], -v[15:16], v[17:18], 1.0
	v_fma_f64 v[17:18], v[17:18], v[19:20], v[17:18]
	s_delay_alu instid0(VALU_DEP_1) | instskip(NEXT) | instid1(VALU_DEP_1)
	v_fma_f64 v[19:20], -v[15:16], v[17:18], 1.0
	v_fma_f64 v[17:18], v[17:18], v[19:20], v[17:18]
	s_delay_alu instid0(VALU_DEP_1) | instskip(NEXT) | instid1(VALU_DEP_1)
	v_mul_f64 v[19:20], v[26:27], v[17:18]
	v_fma_f64 v[15:16], -v[15:16], v[19:20], v[26:27]
	s_delay_alu instid0(VALU_DEP_1) | instskip(SKIP_2) | instid1(VALU_DEP_3)
	v_div_fmas_f64 v[15:16], v[15:16], v[17:18], v[19:20]
	v_fma_f64 v[17:18], v[4:5], 0, v[6:7]
	v_fma_f64 v[19:20], v[6:7], 0, -v[4:5]
	v_div_fixup_f64 v[13:14], v[15:16], v[13:14], 1.0
	s_delay_alu instid0(VALU_DEP_1) | instskip(NEXT) | instid1(VALU_DEP_3)
	v_mul_f64 v[15:16], v[17:18], v[13:14]
	v_mul_f64 v[13:14], v[19:20], v[13:14]
	s_branch .LBB34_31
.LBB34_28:                              ;   in Loop: Header=BB34_14 Depth=1
	s_mov_b32 s27, 0
                                        ; implicit-def: $sgpr28
                                        ; implicit-def: $vgpr17_vgpr18
                                        ; implicit-def: $vgpr19_vgpr20
                                        ; implicit-def: $vgpr13_vgpr14
                                        ; implicit-def: $vgpr15_vgpr16
	s_cbranch_execnz .LBB34_32
	s_branch .LBB34_34
.LBB34_29:                              ;   in Loop: Header=BB34_14 Depth=1
	s_mov_b32 s27, -1
                                        ; implicit-def: $sgpr28
                                        ; implicit-def: $vgpr17_vgpr18
                                        ; implicit-def: $vgpr19_vgpr20
                                        ; implicit-def: $vgpr13_vgpr14
                                        ; implicit-def: $vgpr15_vgpr16
	s_branch .LBB34_34
.LBB34_30:                              ;   in Loop: Header=BB34_14 Depth=1
	s_mov_b32 s27, -1
                                        ; implicit-def: $vgpr13_vgpr14
                                        ; implicit-def: $vgpr15_vgpr16
.LBB34_31:                              ;   in Loop: Header=BB34_14 Depth=1
	v_dual_mov_b32 v18, v3 :: v_dual_mov_b32 v17, v2
	v_dual_mov_b32 v20, v1 :: v_dual_mov_b32 v19, v0
	s_mov_b32 s28, 4
	s_branch .LBB34_34
.LBB34_32:                              ;   in Loop: Header=BB34_14 Depth=1
	s_cmp_eq_u32 s5, 0
	s_cbranch_scc1 .LBB34_38
; %bb.33:                               ;   in Loop: Header=BB34_14 Depth=1
	s_mov_b32 s27, -1
                                        ; implicit-def: $sgpr28
                                        ; implicit-def: $vgpr17_vgpr18
                                        ; implicit-def: $vgpr19_vgpr20
                                        ; implicit-def: $vgpr13_vgpr14
                                        ; implicit-def: $vgpr15_vgpr16
.LBB34_34:                              ;   in Loop: Header=BB34_14 Depth=1
	s_delay_alu instid0(SALU_CYCLE_1)
	s_and_b32 vcc_lo, exec_lo, s27
	s_cbranch_vccnz .LBB34_41
.LBB34_35:                              ;   in Loop: Header=BB34_14 Depth=1
	s_and_b32 vcc_lo, exec_lo, s2
	s_cbranch_vccnz .LBB34_46
.LBB34_36:                              ;   in Loop: Header=BB34_14 Depth=1
	s_cmp_gt_i32 s28, 3
	s_mov_b32 s2, -1
	s_cbranch_scc1 .LBB34_49
.LBB34_37:                              ;   in Loop: Header=BB34_14 Depth=1
	s_cmp_eq_u32 s28, 0
	s_cselect_b32 s3, -1, 0
	s_delay_alu instid0(SALU_CYCLE_1)
	s_and_not1_b32 vcc_lo, exec_lo, s3
	s_cbranch_vccz .LBB34_12
	s_branch .LBB34_50
.LBB34_38:                              ;   in Loop: Header=BB34_14 Depth=1
	s_cmp_le_i32 s26, s12
	s_mov_b32 s27, 0
	s_cbranch_scc0 .LBB34_40
; %bb.39:                               ;   in Loop: Header=BB34_14 Depth=1
	s_mov_b32 s2, -1
	s_mov_b32 s27, s3
.LBB34_40:                              ;   in Loop: Header=BB34_14 Depth=1
	v_dual_mov_b32 v18, v3 :: v_dual_mov_b32 v17, v2
	v_dual_mov_b32 v20, v1 :: v_dual_mov_b32 v19, v0
	;; [unrolled: 1-line block ×4, first 2 shown]
	s_mov_b32 s28, 2
	s_and_b32 vcc_lo, exec_lo, s27
	s_cbranch_vccz .LBB34_35
.LBB34_41:                              ;   in Loop: Header=BB34_14 Depth=1
	s_and_saveexec_b32 s27, s1
	s_cbranch_execz .LBB34_43
; %bb.42:                               ;   in Loop: Header=BB34_14 Depth=1
	s_add_i32 s2, s26, s7
	s_delay_alu instid0(SALU_CYCLE_1) | instskip(NEXT) | instid1(SALU_CYCLE_1)
	s_ashr_i32 s3, s2, 31
	s_lshl_b64 s[2:3], s[2:3], 2
	s_delay_alu instid0(SALU_CYCLE_1)
	s_add_u32 s2, s18, s2
	s_addc_u32 s3, s19, s3
	global_load_b32 v13, v8, s[2:3] glc
	s_waitcnt vmcnt(0)
	v_cmp_ne_u32_e32 vcc_lo, 0, v13
	s_cbranch_vccz .LBB34_51
.LBB34_43:                              ;   in Loop: Header=BB34_14 Depth=1
	s_or_b32 exec_lo, exec_lo, s27
	v_mov_b32_e32 v17, 0
	v_mov_b32_e32 v18, 0
	s_waitcnt_vscnt null, 0x0
	s_barrier
	buffer_gl0_inv
	buffer_gl1_inv
	buffer_gl0_inv
	v_dual_mov_b32 v20, v18 :: v_dual_mov_b32 v19, v17
	s_and_saveexec_b32 s2, s0
	s_cbranch_execz .LBB34_45
; %bb.44:                               ;   in Loop: Header=BB34_14 Depth=1
	s_mul_i32 s3, s26, s17
	s_mul_hi_u32 s27, s26, s16
	s_ashr_i32 s28, s26, 31
	s_add_i32 s3, s27, s3
	s_mul_i32 s28, s28, s16
	s_mul_i32 s26, s26, s16
	s_add_i32 s27, s3, s28
	s_delay_alu instid0(SALU_CYCLE_1) | instskip(NEXT) | instid1(SALU_CYCLE_1)
	s_lshl_b64 s[26:27], s[26:27], 4
	v_add_co_u32 v13, vcc_lo, v22, s26
	v_add_co_ci_u32_e32 v14, vcc_lo, s27, v23, vcc_lo
	global_load_b128 v[13:16], v[13:14], off
	s_waitcnt vmcnt(0)
	v_fma_f64 v[17:18], -v[6:7], v[13:14], v[0:1]
	v_fma_f64 v[13:14], -v[4:5], v[13:14], v[2:3]
	s_delay_alu instid0(VALU_DEP_2) | instskip(NEXT) | instid1(VALU_DEP_2)
	v_fma_f64 v[19:20], v[4:5], v[15:16], v[17:18]
	v_fma_f64 v[17:18], -v[6:7], v[15:16], v[13:14]
.LBB34_45:                              ;   in Loop: Header=BB34_14 Depth=1
	s_or_b32 exec_lo, exec_lo, s2
	v_dual_mov_b32 v14, v10 :: v_dual_mov_b32 v13, v9
	v_dual_mov_b32 v16, v12 :: v_dual_mov_b32 v15, v11
	s_mov_b32 s28, 0
	s_branch .LBB34_36
.LBB34_46:                              ;   in Loop: Header=BB34_14 Depth=1
	s_and_not1_b32 vcc_lo, exec_lo, s23
	s_cbranch_vccnz .LBB34_48
; %bb.47:                               ;   in Loop: Header=BB34_14 Depth=1
	v_mul_f64 v[9:10], v[4:5], v[4:5]
	s_delay_alu instid0(VALU_DEP_1) | instskip(NEXT) | instid1(VALU_DEP_1)
	v_fma_f64 v[9:10], v[6:7], v[6:7], v[9:10]
	v_div_scale_f64 v[11:12], null, v[9:10], v[9:10], 1.0
	v_div_scale_f64 v[17:18], vcc_lo, 1.0, v[9:10], 1.0
	s_delay_alu instid0(VALU_DEP_2) | instskip(SKIP_2) | instid1(VALU_DEP_1)
	v_rcp_f64_e32 v[13:14], v[11:12]
	s_waitcnt_depctr 0xfff
	v_fma_f64 v[15:16], -v[11:12], v[13:14], 1.0
	v_fma_f64 v[13:14], v[13:14], v[15:16], v[13:14]
	s_delay_alu instid0(VALU_DEP_1) | instskip(NEXT) | instid1(VALU_DEP_1)
	v_fma_f64 v[15:16], -v[11:12], v[13:14], 1.0
	v_fma_f64 v[13:14], v[13:14], v[15:16], v[13:14]
	s_delay_alu instid0(VALU_DEP_1) | instskip(NEXT) | instid1(VALU_DEP_1)
	v_mul_f64 v[15:16], v[17:18], v[13:14]
	v_fma_f64 v[11:12], -v[11:12], v[15:16], v[17:18]
	s_delay_alu instid0(VALU_DEP_1) | instskip(SKIP_2) | instid1(VALU_DEP_3)
	v_div_fmas_f64 v[11:12], v[11:12], v[13:14], v[15:16]
	v_fma_f64 v[13:14], v[4:5], 0, v[6:7]
	v_fma_f64 v[4:5], v[6:7], 0, -v[4:5]
	v_div_fixup_f64 v[9:10], v[11:12], v[9:10], 1.0
	s_delay_alu instid0(VALU_DEP_1) | instskip(NEXT) | instid1(VALU_DEP_3)
	v_mul_f64 v[11:12], v[13:14], v[9:10]
	v_mul_f64 v[9:10], v[4:5], v[9:10]
.LBB34_48:                              ;   in Loop: Header=BB34_14 Depth=1
	s_delay_alu instid0(VALU_DEP_2) | instskip(NEXT) | instid1(VALU_DEP_2)
	v_dual_mov_b32 v16, v12 :: v_dual_mov_b32 v15, v11
	v_dual_mov_b32 v14, v10 :: v_dual_mov_b32 v13, v9
	;; [unrolled: 1-line block ×4, first 2 shown]
	s_mov_b32 s28, 2
	s_delay_alu instid0(SALU_CYCLE_1)
	s_cmp_gt_i32 s28, 3
	s_mov_b32 s2, -1
	s_cbranch_scc0 .LBB34_37
.LBB34_49:                              ;   in Loop: Header=BB34_14 Depth=1
	s_branch .LBB34_12
.LBB34_50:                              ;   in Loop: Header=BB34_14 Depth=1
                                        ; implicit-def: $sgpr25
	s_branch .LBB34_13
.LBB34_51:                              ;   in Loop: Header=BB34_14 Depth=1
	s_mov_b32 s28, 0
	s_branch .LBB34_53
	.p2align	6
.LBB34_52:                              ;   in Loop: Header=BB34_53 Depth=2
	global_load_b32 v13, v8, s[2:3] glc
	s_cmpk_lt_u32 s28, 0xf43
	s_cselect_b32 s29, -1, 0
	s_delay_alu instid0(SALU_CYCLE_1)
	s_cmp_lg_u32 s29, 0
	s_addc_u32 s28, s28, 0
	s_waitcnt vmcnt(0)
	v_cmp_ne_u32_e32 vcc_lo, 0, v13
	s_cbranch_vccnz .LBB34_43
.LBB34_53:                              ;   Parent Loop BB34_14 Depth=1
                                        ; =>  This Loop Header: Depth=2
                                        ;       Child Loop BB34_54 Depth 3
	s_cmp_eq_u32 s28, 0
	s_mov_b32 s29, s28
	s_cbranch_scc1 .LBB34_52
.LBB34_54:                              ;   Parent Loop BB34_14 Depth=1
                                        ;     Parent Loop BB34_53 Depth=2
                                        ; =>    This Inner Loop Header: Depth=3
	s_add_i32 s29, s29, -1
	s_sleep 1
	s_cmp_eq_u32 s29, 0
	s_cbranch_scc0 .LBB34_54
	s_branch .LBB34_52
.LBB34_55:
	v_mov_b32_e32 v13, 0
	v_dual_mov_b32 v14, 0 :: v_dual_mov_b32 v15, 0
	v_mov_b32_e32 v16, 0x3ff00000
	s_cmp_lg_u32 s6, 0
	s_cbranch_scc1 .LBB34_58
	s_branch .LBB34_57
.LBB34_56:
	v_dual_mov_b32 v2, v17 :: v_dual_mov_b32 v3, v18
	v_dual_mov_b32 v0, v19 :: v_dual_mov_b32 v1, v20
	s_cmp_lg_u32 s6, 0
	s_cbranch_scc1 .LBB34_58
.LBB34_57:
	s_delay_alu instid0(VALU_DEP_2) | instskip(NEXT) | instid1(VALU_DEP_2)
	v_mul_f64 v[4:5], v[13:14], -v[2:3]
	v_mul_f64 v[6:7], v[13:14], v[0:1]
	s_delay_alu instid0(VALU_DEP_2) | instskip(NEXT) | instid1(VALU_DEP_2)
	v_fma_f64 v[0:1], v[0:1], v[15:16], v[4:5]
	v_fma_f64 v[2:3], v[2:3], v[15:16], v[6:7]
.LBB34_58:
	s_and_saveexec_b32 s1, s0
	s_cbranch_execz .LBB34_60
; %bb.59:
	s_lshl_b64 s[2:3], s[14:15], 4
	s_delay_alu instid0(SALU_CYCLE_1)
	v_add_co_u32 v4, vcc_lo, v22, s2
	v_add_co_ci_u32_e32 v5, vcc_lo, s3, v23, vcc_lo
	global_store_b128 v[4:5], v[0:3], off
.LBB34_60:
	s_or_b32 exec_lo, exec_lo, s1
	s_waitcnt_vscnt null, 0x0
	buffer_gl1_inv
	buffer_gl0_inv
	s_barrier
	buffer_gl0_inv
	s_mov_b32 s0, exec_lo
	v_cmpx_eq_u32_e32 0, v21
	s_cbranch_execz .LBB34_62
; %bb.61:
	s_add_i32 s0, s12, s7
	v_dual_mov_b32 v0, 0 :: v_dual_mov_b32 v1, 1
	s_ashr_i32 s1, s0, 31
	s_delay_alu instid0(SALU_CYCLE_1) | instskip(NEXT) | instid1(SALU_CYCLE_1)
	s_lshl_b64 s[0:1], s[0:1], 2
	s_add_u32 s0, s18, s0
	s_addc_u32 s1, s19, s1
	global_store_b32 v0, v1, s[0:1]
.LBB34_62:
	s_nop 0
	s_sendmsg sendmsg(MSG_DEALLOC_VGPRS)
	s_endpgm
	.section	.rodata,"a",@progbits
	.p2align	6, 0x0
	.amdhsa_kernel _ZN9rocsparseL5csrsmILj64ELj64ELb1Eii21rocsparse_complex_numIdEEEv20rocsparse_operation_T3_S4_NS_24const_host_device_scalarIT4_EEPKT2_PKS4_PKS6_PS6_lPiSC_PS4_21rocsparse_index_base_20rocsparse_fill_mode_20rocsparse_diag_type_b
		.amdhsa_group_segment_fixed_size 1792
		.amdhsa_private_segment_fixed_size 0
		.amdhsa_kernarg_size 112
		.amdhsa_user_sgpr_count 15
		.amdhsa_user_sgpr_dispatch_ptr 1
		.amdhsa_user_sgpr_queue_ptr 0
		.amdhsa_user_sgpr_kernarg_segment_ptr 1
		.amdhsa_user_sgpr_dispatch_id 0
		.amdhsa_user_sgpr_private_segment_size 0
		.amdhsa_wavefront_size32 1
		.amdhsa_uses_dynamic_stack 0
		.amdhsa_enable_private_segment 0
		.amdhsa_system_sgpr_workgroup_id_x 1
		.amdhsa_system_sgpr_workgroup_id_y 0
		.amdhsa_system_sgpr_workgroup_id_z 0
		.amdhsa_system_sgpr_workgroup_info 0
		.amdhsa_system_vgpr_workitem_id 2
		.amdhsa_next_free_vgpr 28
		.amdhsa_next_free_sgpr 30
		.amdhsa_reserve_vcc 1
		.amdhsa_float_round_mode_32 0
		.amdhsa_float_round_mode_16_64 0
		.amdhsa_float_denorm_mode_32 3
		.amdhsa_float_denorm_mode_16_64 3
		.amdhsa_dx10_clamp 1
		.amdhsa_ieee_mode 1
		.amdhsa_fp16_overflow 0
		.amdhsa_workgroup_processor_mode 1
		.amdhsa_memory_ordered 1
		.amdhsa_forward_progress 0
		.amdhsa_shared_vgpr_count 0
		.amdhsa_exception_fp_ieee_invalid_op 0
		.amdhsa_exception_fp_denorm_src 0
		.amdhsa_exception_fp_ieee_div_zero 0
		.amdhsa_exception_fp_ieee_overflow 0
		.amdhsa_exception_fp_ieee_underflow 0
		.amdhsa_exception_fp_ieee_inexact 0
		.amdhsa_exception_int_div_zero 0
	.end_amdhsa_kernel
	.section	.text._ZN9rocsparseL5csrsmILj64ELj64ELb1Eii21rocsparse_complex_numIdEEEv20rocsparse_operation_T3_S4_NS_24const_host_device_scalarIT4_EEPKT2_PKS4_PKS6_PS6_lPiSC_PS4_21rocsparse_index_base_20rocsparse_fill_mode_20rocsparse_diag_type_b,"axG",@progbits,_ZN9rocsparseL5csrsmILj64ELj64ELb1Eii21rocsparse_complex_numIdEEEv20rocsparse_operation_T3_S4_NS_24const_host_device_scalarIT4_EEPKT2_PKS4_PKS6_PS6_lPiSC_PS4_21rocsparse_index_base_20rocsparse_fill_mode_20rocsparse_diag_type_b,comdat
.Lfunc_end34:
	.size	_ZN9rocsparseL5csrsmILj64ELj64ELb1Eii21rocsparse_complex_numIdEEEv20rocsparse_operation_T3_S4_NS_24const_host_device_scalarIT4_EEPKT2_PKS4_PKS6_PS6_lPiSC_PS4_21rocsparse_index_base_20rocsparse_fill_mode_20rocsparse_diag_type_b, .Lfunc_end34-_ZN9rocsparseL5csrsmILj64ELj64ELb1Eii21rocsparse_complex_numIdEEEv20rocsparse_operation_T3_S4_NS_24const_host_device_scalarIT4_EEPKT2_PKS4_PKS6_PS6_lPiSC_PS4_21rocsparse_index_base_20rocsparse_fill_mode_20rocsparse_diag_type_b
                                        ; -- End function
	.section	.AMDGPU.csdata,"",@progbits
; Kernel info:
; codeLenInByte = 2520
; NumSgprs: 32
; NumVgprs: 28
; ScratchSize: 0
; MemoryBound: 0
; FloatMode: 240
; IeeeMode: 1
; LDSByteSize: 1792 bytes/workgroup (compile time only)
; SGPRBlocks: 3
; VGPRBlocks: 3
; NumSGPRsForWavesPerEU: 32
; NumVGPRsForWavesPerEU: 28
; Occupancy: 16
; WaveLimiterHint : 1
; COMPUTE_PGM_RSRC2:SCRATCH_EN: 0
; COMPUTE_PGM_RSRC2:USER_SGPR: 15
; COMPUTE_PGM_RSRC2:TRAP_HANDLER: 0
; COMPUTE_PGM_RSRC2:TGID_X_EN: 1
; COMPUTE_PGM_RSRC2:TGID_Y_EN: 0
; COMPUTE_PGM_RSRC2:TGID_Z_EN: 0
; COMPUTE_PGM_RSRC2:TIDIG_COMP_CNT: 2
	.section	.text._ZN9rocsparseL5csrsmILj64ELj64ELb0Eii21rocsparse_complex_numIdEEEv20rocsparse_operation_T3_S4_NS_24const_host_device_scalarIT4_EEPKT2_PKS4_PKS6_PS6_lPiSC_PS4_21rocsparse_index_base_20rocsparse_fill_mode_20rocsparse_diag_type_b,"axG",@progbits,_ZN9rocsparseL5csrsmILj64ELj64ELb0Eii21rocsparse_complex_numIdEEEv20rocsparse_operation_T3_S4_NS_24const_host_device_scalarIT4_EEPKT2_PKS4_PKS6_PS6_lPiSC_PS4_21rocsparse_index_base_20rocsparse_fill_mode_20rocsparse_diag_type_b,comdat
	.globl	_ZN9rocsparseL5csrsmILj64ELj64ELb0Eii21rocsparse_complex_numIdEEEv20rocsparse_operation_T3_S4_NS_24const_host_device_scalarIT4_EEPKT2_PKS4_PKS6_PS6_lPiSC_PS4_21rocsparse_index_base_20rocsparse_fill_mode_20rocsparse_diag_type_b ; -- Begin function _ZN9rocsparseL5csrsmILj64ELj64ELb0Eii21rocsparse_complex_numIdEEEv20rocsparse_operation_T3_S4_NS_24const_host_device_scalarIT4_EEPKT2_PKS4_PKS6_PS6_lPiSC_PS4_21rocsparse_index_base_20rocsparse_fill_mode_20rocsparse_diag_type_b
	.p2align	8
	.type	_ZN9rocsparseL5csrsmILj64ELj64ELb0Eii21rocsparse_complex_numIdEEEv20rocsparse_operation_T3_S4_NS_24const_host_device_scalarIT4_EEPKT2_PKS4_PKS6_PS6_lPiSC_PS4_21rocsparse_index_base_20rocsparse_fill_mode_20rocsparse_diag_type_b,@function
_ZN9rocsparseL5csrsmILj64ELj64ELb0Eii21rocsparse_complex_numIdEEEv20rocsparse_operation_T3_S4_NS_24const_host_device_scalarIT4_EEPKT2_PKS4_PKS6_PS6_lPiSC_PS4_21rocsparse_index_base_20rocsparse_fill_mode_20rocsparse_diag_type_b: ; @_ZN9rocsparseL5csrsmILj64ELj64ELb0Eii21rocsparse_complex_numIdEEEv20rocsparse_operation_T3_S4_NS_24const_host_device_scalarIT4_EEPKT2_PKS4_PKS6_PS6_lPiSC_PS4_21rocsparse_index_base_20rocsparse_fill_mode_20rocsparse_diag_type_b
; %bb.0:
	s_load_b64 s[0:1], s[0:1], 0x4
	s_load_b128 s[4:7], s[2:3], 0x60
	v_bfe_u32 v1, v0, 10, 10
	s_load_b128 s[8:11], s[2:3], 0x10
	v_and_b32_e32 v21, 0x3ff, v0
	v_bfe_u32 v0, v0, 20, 10
	s_mov_b64 s[12:13], src_shared_base
	s_waitcnt lgkmcnt(0)
	v_mul_u32_u24_e32 v1, s1, v1
	s_lshr_b32 s0, s0, 16
	s_delay_alu instid0(SALU_CYCLE_1)
	s_mul_i32 s0, s0, s1
	s_delay_alu instid0(VALU_DEP_1) | instid1(SALU_CYCLE_1)
	v_mad_u32_u24 v1, s0, v21, v1
	s_and_b32 s0, 1, s7
	s_delay_alu instid0(SALU_CYCLE_1)
	s_cmp_eq_u32 s0, 1
	s_load_b64 s[0:1], s[2:3], 0x20
	v_mov_b32_e32 v2, s8
	v_add_lshl_u32 v4, v1, v0, 3
	s_cselect_b32 vcc_lo, -1, 0
	v_dual_mov_b32 v3, s9 :: v_dual_mov_b32 v6, s10
	s_delay_alu instid0(VALU_DEP_2) | instskip(SKIP_4) | instid1(SALU_CYCLE_1)
	v_dual_mov_b32 v7, s11 :: v_dual_add_nc_u32 v0, 0x500, v4
	ds_store_b64 v4, v[2:3] offset:1280
	v_cndmask_b32_e32 v0, s8, v0, vcc_lo
	s_and_b32 vcc_lo, vcc_lo, exec_lo
	s_cselect_b32 s7, s13, s9
	v_mov_b32_e32 v1, s7
	flat_load_b64 v[4:5], v[0:1]
	s_clause 0x1
	s_load_b64 s[12:13], s[2:3], 0x50
	s_load_b64 s[20:21], s[2:3], 0x38
	s_cbranch_vccnz .LBB35_2
; %bb.1:
	v_dual_mov_b32 v0, s8 :: v_dual_mov_b32 v1, s9
	flat_load_b64 v[6:7], v[0:1] offset:8
.LBB35_2:
	s_clause 0x1
	s_load_b128 s[8:11], s[2:3], 0x0
	s_load_b64 s[16:17], s[2:3], 0x40
	s_waitcnt lgkmcnt(0)
	v_cvt_f32_u32_e32 v0, s9
	s_sub_i32 s11, 0, s9
	s_delay_alu instid0(VALU_DEP_1) | instskip(SKIP_2) | instid1(VALU_DEP_1)
	v_rcp_iflag_f32_e32 v0, v0
	s_waitcnt_depctr 0xfff
	v_mul_f32_e32 v0, 0x4f7ffffe, v0
	v_cvt_u32_f32_e32 v0, v0
	s_delay_alu instid0(VALU_DEP_1) | instskip(NEXT) | instid1(VALU_DEP_1)
	v_readfirstlane_b32 s7, v0
	s_mul_i32 s11, s11, s7
	s_delay_alu instid0(SALU_CYCLE_1) | instskip(NEXT) | instid1(SALU_CYCLE_1)
	s_mul_hi_u32 s11, s7, s11
	s_add_i32 s7, s7, s11
	s_delay_alu instid0(SALU_CYCLE_1) | instskip(NEXT) | instid1(SALU_CYCLE_1)
	s_mul_hi_u32 s7, s15, s7
	s_mul_i32 s11, s7, s9
	s_add_i32 s14, s7, 1
	s_sub_i32 s11, s15, s11
	s_delay_alu instid0(SALU_CYCLE_1)
	s_sub_i32 s18, s11, s9
	s_cmp_ge_u32 s11, s9
	s_cselect_b32 s7, s14, s7
	s_cselect_b32 s11, s18, s11
	s_add_i32 s14, s7, 1
	s_cmp_ge_u32 s11, s9
	s_cselect_b32 s11, s14, s7
	s_delay_alu instid0(SALU_CYCLE_1) | instskip(SKIP_2) | instid1(SALU_CYCLE_1)
	s_mul_i32 s7, s11, s9
	v_lshl_or_b32 v8, s11, 6, v21
	s_sub_i32 s14, s15, s7
	s_ashr_i32 s15, s14, 31
	s_delay_alu instid0(VALU_DEP_1) | instskip(SKIP_1) | instid1(SALU_CYCLE_1)
	v_ashrrev_i32_e32 v9, 31, v8
	s_lshl_b64 s[14:15], s[14:15], 2
	s_add_u32 s12, s12, s14
	s_addc_u32 s13, s13, s15
	s_load_b32 s12, s[12:13], 0x0
	s_waitcnt lgkmcnt(0)
	s_ashr_i32 s13, s12, 31
	s_delay_alu instid0(SALU_CYCLE_1) | instskip(NEXT) | instid1(SALU_CYCLE_1)
	s_lshl_b64 s[14:15], s[12:13], 2
	s_add_u32 s0, s0, s14
	s_addc_u32 s1, s1, s15
	s_mul_i32 s14, s12, s16
	s_load_b64 s[22:23], s[0:1], 0x0
	s_mul_i32 s0, s12, s17
	s_mul_hi_u32 s1, s12, s16
	v_add_co_u32 v10, vcc_lo, s14, v8
	s_add_i32 s0, s1, s0
	s_mul_i32 s1, s13, s16
	s_delay_alu instid0(SALU_CYCLE_1)
	s_add_i32 s15, s0, s1
	v_cmp_gt_i32_e64 s0, s10, v8
	v_add_co_ci_u32_e32 v11, vcc_lo, s15, v9, vcc_lo
	s_cmpk_lg_i32 s8, 0x71
	s_cbranch_scc0 .LBB35_6
; %bb.3:
	v_mov_b32_e32 v2, 0
	v_mov_b32_e32 v3, 0
	s_delay_alu instid0(VALU_DEP_1)
	v_dual_mov_b32 v0, v2 :: v_dual_mov_b32 v1, v3
	s_and_saveexec_b32 s1, s0
	s_cbranch_execz .LBB35_5
; %bb.4:
	v_lshlrev_b64 v[0:1], 4, v[10:11]
	s_delay_alu instid0(VALU_DEP_1) | instskip(NEXT) | instid1(VALU_DEP_2)
	v_add_co_u32 v0, vcc_lo, s20, v0
	v_add_co_ci_u32_e32 v1, vcc_lo, s21, v1, vcc_lo
	global_load_b128 v[12:15], v[0:1], off
	s_waitcnt vmcnt(0)
	v_mul_f64 v[0:1], v[14:15], -v[6:7]
	v_mul_f64 v[2:3], v[4:5], v[14:15]
	s_delay_alu instid0(VALU_DEP_2) | instskip(NEXT) | instid1(VALU_DEP_2)
	v_fma_f64 v[0:1], v[4:5], v[12:13], v[0:1]
	v_fma_f64 v[2:3], v[6:7], v[12:13], v[2:3]
.LBB35_5:
	s_or_b32 exec_lo, exec_lo, s1
	s_load_b64 s[18:19], s[2:3], 0x48
	s_cbranch_execz .LBB35_7
	s_branch .LBB35_10
.LBB35_6:
                                        ; implicit-def: $vgpr2_vgpr3
	s_load_b64 s[18:19], s[2:3], 0x48
.LBB35_7:
	v_mov_b32_e32 v2, 0
	v_mov_b32_e32 v3, 0
	s_delay_alu instid0(VALU_DEP_1)
	v_dual_mov_b32 v0, v2 :: v_dual_mov_b32 v1, v3
	s_and_saveexec_b32 s1, s0
	s_cbranch_execz .LBB35_9
; %bb.8:
	v_lshlrev_b64 v[0:1], 4, v[10:11]
	s_delay_alu instid0(VALU_DEP_1) | instskip(NEXT) | instid1(VALU_DEP_2)
	v_add_co_u32 v0, vcc_lo, s20, v0
	v_add_co_ci_u32_e32 v1, vcc_lo, s21, v1, vcc_lo
	global_load_b128 v[10:13], v[0:1], off
	s_waitcnt vmcnt(0)
	v_mul_f64 v[0:1], v[6:7], v[12:13]
	v_mul_f64 v[2:3], v[4:5], -v[12:13]
	s_delay_alu instid0(VALU_DEP_2) | instskip(NEXT) | instid1(VALU_DEP_2)
	v_fma_f64 v[0:1], v[4:5], v[10:11], v[0:1]
	v_fma_f64 v[2:3], v[6:7], v[10:11], v[2:3]
.LBB35_9:
	s_or_b32 exec_lo, exec_lo, s1
.LBB35_10:
	s_waitcnt vmcnt(0)
	v_lshlrev_b64 v[4:5], 4, v[8:9]
	v_cmp_eq_u32_e64 s1, 0, v21
	s_waitcnt lgkmcnt(0)
	s_cmp_ge_i32 s22, s23
	s_delay_alu instid0(VALU_DEP_2) | instskip(NEXT) | instid1(VALU_DEP_3)
	v_add_co_u32 v22, vcc_lo, s20, v4
	v_add_co_ci_u32_e32 v23, vcc_lo, s21, v5, vcc_lo
	s_cbranch_scc1 .LBB35_52
; %bb.11:
	s_clause 0x1
	s_load_b64 s[20:21], s[2:3], 0x58
	s_load_b128 s[8:11], s[2:3], 0x28
	v_mov_b32_e32 v9, 0
	v_dual_mov_b32 v11, 0 :: v_dual_mov_b32 v8, 0
	s_sub_i32 s13, s22, s4
	s_sub_i32 s22, s23, s4
	v_lshl_or_b32 v24, v21, 2, 0x400
	v_dual_mov_b32 v10, 0 :: v_dual_lshlrev_b32 v25, 4, v21
	v_mov_b32_e32 v12, 0x3ff00000
	s_cmp_eq_u32 s6, 0
	s_mov_b32 s25, s13
	s_cselect_b32 s23, -1, 0
	s_add_i32 s24, s12, s4
	s_branch .LBB35_14
.LBB35_12:                              ;   in Loop: Header=BB35_14 Depth=1
	s_add_i32 s25, s25, 1
	s_delay_alu instid0(SALU_CYCLE_1)
	s_cmp_ge_i32 s25, s22
	s_cselect_b32 s2, -1, 0
.LBB35_13:                              ;   in Loop: Header=BB35_14 Depth=1
	s_delay_alu instid0(VALU_DEP_3) | instskip(NEXT) | instid1(VALU_DEP_4)
	v_dual_mov_b32 v2, v17 :: v_dual_mov_b32 v3, v18
	v_dual_mov_b32 v0, v19 :: v_dual_mov_b32 v1, v20
	s_delay_alu instid0(VALU_DEP_4) | instskip(NEXT) | instid1(VALU_DEP_4)
	v_dual_mov_b32 v9, v13 :: v_dual_mov_b32 v10, v14
	v_dual_mov_b32 v11, v15 :: v_dual_mov_b32 v12, v16
	s_and_not1_b32 vcc_lo, exec_lo, s2
	s_cbranch_vccz .LBB35_53
.LBB35_14:                              ; =>This Loop Header: Depth=1
                                        ;     Child Loop BB35_43 Depth 2
	s_sub_i32 s2, s25, s13
	s_delay_alu instid0(SALU_CYCLE_1) | instskip(NEXT) | instid1(SALU_CYCLE_1)
	s_and_b32 s3, s2, 63
	s_cmp_lg_u32 s3, 0
	s_cbranch_scc1 .LBB35_18
; %bb.15:                               ;   in Loop: Header=BB35_14 Depth=1
	s_sub_i32 s2, s22, s25
	v_mov_b32_e32 v6, 0
	v_dual_mov_b32 v7, 0 :: v_dual_mov_b32 v4, 0
	v_cmp_gt_u32_e32 vcc_lo, s2, v21
	v_mov_b32_e32 v5, 0xbff00000
	v_mov_b32_e32 v13, -1
	s_and_saveexec_b32 s2, vcc_lo
	s_cbranch_execz .LBB35_17
; %bb.16:                               ;   in Loop: Header=BB35_14 Depth=1
	v_add_nc_u32_e32 v7, s25, v21
	s_delay_alu instid0(VALU_DEP_1) | instskip(SKIP_2) | instid1(VALU_DEP_2)
	v_lshlrev_b64 v[4:5], 2, v[7:8]
	v_lshlrev_b64 v[6:7], 4, v[7:8]
	s_waitcnt lgkmcnt(0)
	v_add_co_u32 v4, vcc_lo, s8, v4
	s_delay_alu instid0(VALU_DEP_3)
	v_add_co_ci_u32_e32 v5, vcc_lo, s9, v5, vcc_lo
	global_load_b32 v13, v[4:5], off
	v_add_co_u32 v4, vcc_lo, s10, v6
	v_add_co_ci_u32_e32 v5, vcc_lo, s11, v7, vcc_lo
	global_load_b128 v[4:7], v[4:5], off
	s_waitcnt vmcnt(1)
	v_subrev_nc_u32_e32 v13, s4, v13
.LBB35_17:                              ;   in Loop: Header=BB35_14 Depth=1
	s_or_b32 exec_lo, exec_lo, s2
	ds_store_b32 v24, v13
	s_waitcnt vmcnt(0)
	ds_store_b128 v25, v[4:7]
.LBB35_18:                              ;   in Loop: Header=BB35_14 Depth=1
	s_lshl_b32 s2, s3, 4
	s_waitcnt lgkmcnt(0)
	v_mov_b32_e32 v4, s2
	s_waitcnt_vscnt null, 0x0
	s_barrier
	buffer_gl0_inv
	s_lshl_b32 s3, s3, 2
	ds_load_b128 v[13:16], v4
	v_mov_b32_e32 v4, s3
	ds_load_b32 v4, v4 offset:1024
	s_waitcnt lgkmcnt(1)
	v_cmp_eq_f64_e32 vcc_lo, 0, v[13:14]
	v_cmp_eq_f64_e64 s2, 0, v[15:16]
	s_waitcnt lgkmcnt(0)
	v_readfirstlane_b32 s26, v4
	v_cmp_ne_u32_e64 s3, s12, v4
	s_delay_alu instid0(VALU_DEP_3) | instskip(NEXT) | instid1(VALU_DEP_2)
	s_and_b32 s2, vcc_lo, s2
	s_cmp_eq_u32 s26, s12
	s_cselect_b32 s28, -1, 0
	s_delay_alu instid0(SALU_CYCLE_1) | instskip(NEXT) | instid1(SALU_CYCLE_1)
	s_and_b32 s2, s2, s28
	s_and_b32 s2, s23, s2
	s_delay_alu instid0(SALU_CYCLE_1) | instskip(SKIP_4) | instid1(SALU_CYCLE_1)
	v_cndmask_b32_e64 v5, v16, 0, s2
	v_cndmask_b32_e64 v4, v15, 0, s2
	;; [unrolled: 1-line block ×4, first 2 shown]
	s_and_b32 s27, s1, s2
	s_and_saveexec_b32 s2, s27
	s_cbranch_execz .LBB35_22
; %bb.19:                               ;   in Loop: Header=BB35_14 Depth=1
	v_mbcnt_lo_u32_b32 v4, exec_lo, 0
	s_mov_b32 s27, exec_lo
	s_delay_alu instid0(VALU_DEP_1)
	v_cmpx_eq_u32_e32 0, v4
	s_cbranch_execz .LBB35_21
; %bb.20:                               ;   in Loop: Header=BB35_14 Depth=1
	v_mov_b32_e32 v4, s24
	global_atomic_min_i32 v8, v4, s[20:21]
.LBB35_21:                              ;   in Loop: Header=BB35_14 Depth=1
	s_or_b32 exec_lo, exec_lo, s27
	v_mov_b32_e32 v4, 0
	v_dual_mov_b32 v5, 0 :: v_dual_mov_b32 v6, 0
	v_mov_b32_e32 v7, 0x3ff00000
.LBB35_22:                              ;   in Loop: Header=BB35_14 Depth=1
	s_or_b32 exec_lo, exec_lo, s2
	s_cmp_lt_i32 s5, 1
	s_mov_b32 s2, 0
	s_cbranch_scc1 .LBB35_28
; %bb.23:                               ;   in Loop: Header=BB35_14 Depth=1
	s_cmp_eq_u32 s5, 1
	s_cbranch_scc0 .LBB35_29
; %bb.24:                               ;   in Loop: Header=BB35_14 Depth=1
	v_dual_mov_b32 v14, v10 :: v_dual_mov_b32 v13, v9
	v_dual_mov_b32 v16, v12 :: v_dual_mov_b32 v15, v11
	s_cmp_ge_i32 s26, s12
	s_mov_b32 s27, 0
	s_cbranch_scc0 .LBB35_31
; %bb.25:                               ;   in Loop: Header=BB35_14 Depth=1
	s_and_b32 vcc_lo, exec_lo, s28
	s_cbranch_vccz .LBB35_30
; %bb.26:                               ;   in Loop: Header=BB35_14 Depth=1
	v_dual_mov_b32 v14, v10 :: v_dual_mov_b32 v13, v9
	v_dual_mov_b32 v16, v12 :: v_dual_mov_b32 v15, v11
	s_and_not1_b32 vcc_lo, exec_lo, s23
	s_cbranch_vccnz .LBB35_31
; %bb.27:                               ;   in Loop: Header=BB35_14 Depth=1
	v_mul_f64 v[13:14], v[4:5], v[4:5]
	s_delay_alu instid0(VALU_DEP_1) | instskip(NEXT) | instid1(VALU_DEP_1)
	v_fma_f64 v[13:14], v[6:7], v[6:7], v[13:14]
	v_div_scale_f64 v[15:16], null, v[13:14], v[13:14], 1.0
	v_div_scale_f64 v[26:27], vcc_lo, 1.0, v[13:14], 1.0
	s_delay_alu instid0(VALU_DEP_2) | instskip(SKIP_2) | instid1(VALU_DEP_1)
	v_rcp_f64_e32 v[17:18], v[15:16]
	s_waitcnt_depctr 0xfff
	v_fma_f64 v[19:20], -v[15:16], v[17:18], 1.0
	v_fma_f64 v[17:18], v[17:18], v[19:20], v[17:18]
	s_delay_alu instid0(VALU_DEP_1) | instskip(NEXT) | instid1(VALU_DEP_1)
	v_fma_f64 v[19:20], -v[15:16], v[17:18], 1.0
	v_fma_f64 v[17:18], v[17:18], v[19:20], v[17:18]
	s_delay_alu instid0(VALU_DEP_1) | instskip(NEXT) | instid1(VALU_DEP_1)
	v_mul_f64 v[19:20], v[26:27], v[17:18]
	v_fma_f64 v[15:16], -v[15:16], v[19:20], v[26:27]
	s_delay_alu instid0(VALU_DEP_1) | instskip(SKIP_2) | instid1(VALU_DEP_3)
	v_div_fmas_f64 v[15:16], v[15:16], v[17:18], v[19:20]
	v_fma_f64 v[17:18], v[4:5], 0, v[6:7]
	v_fma_f64 v[19:20], v[6:7], 0, -v[4:5]
	v_div_fixup_f64 v[13:14], v[15:16], v[13:14], 1.0
	s_delay_alu instid0(VALU_DEP_1) | instskip(NEXT) | instid1(VALU_DEP_3)
	v_mul_f64 v[15:16], v[17:18], v[13:14]
	v_mul_f64 v[13:14], v[19:20], v[13:14]
	s_branch .LBB35_31
.LBB35_28:                              ;   in Loop: Header=BB35_14 Depth=1
	s_mov_b32 s27, 0
                                        ; implicit-def: $sgpr28
                                        ; implicit-def: $vgpr17_vgpr18
                                        ; implicit-def: $vgpr19_vgpr20
                                        ; implicit-def: $vgpr13_vgpr14
                                        ; implicit-def: $vgpr15_vgpr16
	s_cbranch_execnz .LBB35_32
	s_branch .LBB35_34
.LBB35_29:                              ;   in Loop: Header=BB35_14 Depth=1
	s_mov_b32 s27, -1
                                        ; implicit-def: $sgpr28
                                        ; implicit-def: $vgpr17_vgpr18
                                        ; implicit-def: $vgpr19_vgpr20
                                        ; implicit-def: $vgpr13_vgpr14
                                        ; implicit-def: $vgpr15_vgpr16
	s_branch .LBB35_34
.LBB35_30:                              ;   in Loop: Header=BB35_14 Depth=1
	s_mov_b32 s27, -1
                                        ; implicit-def: $vgpr13_vgpr14
                                        ; implicit-def: $vgpr15_vgpr16
.LBB35_31:                              ;   in Loop: Header=BB35_14 Depth=1
	v_dual_mov_b32 v18, v3 :: v_dual_mov_b32 v17, v2
	v_dual_mov_b32 v20, v1 :: v_dual_mov_b32 v19, v0
	s_mov_b32 s28, 4
	s_branch .LBB35_34
.LBB35_32:                              ;   in Loop: Header=BB35_14 Depth=1
	s_cmp_eq_u32 s5, 0
	s_cbranch_scc1 .LBB35_38
; %bb.33:                               ;   in Loop: Header=BB35_14 Depth=1
	s_mov_b32 s27, -1
                                        ; implicit-def: $sgpr28
                                        ; implicit-def: $vgpr17_vgpr18
                                        ; implicit-def: $vgpr19_vgpr20
                                        ; implicit-def: $vgpr13_vgpr14
                                        ; implicit-def: $vgpr15_vgpr16
.LBB35_34:                              ;   in Loop: Header=BB35_14 Depth=1
	s_delay_alu instid0(SALU_CYCLE_1)
	s_and_b32 vcc_lo, exec_lo, s27
	s_cbranch_vccnz .LBB35_41
.LBB35_35:                              ;   in Loop: Header=BB35_14 Depth=1
	s_and_b32 vcc_lo, exec_lo, s2
	s_cbranch_vccnz .LBB35_47
.LBB35_36:                              ;   in Loop: Header=BB35_14 Depth=1
	s_cmp_gt_i32 s28, 3
	s_mov_b32 s2, -1
	s_cbranch_scc1 .LBB35_50
.LBB35_37:                              ;   in Loop: Header=BB35_14 Depth=1
	s_cmp_eq_u32 s28, 0
	s_cselect_b32 s3, -1, 0
	s_delay_alu instid0(SALU_CYCLE_1)
	s_and_not1_b32 vcc_lo, exec_lo, s3
	s_cbranch_vccz .LBB35_12
	s_branch .LBB35_51
.LBB35_38:                              ;   in Loop: Header=BB35_14 Depth=1
	s_cmp_le_i32 s26, s12
	s_mov_b32 s27, 0
	s_cbranch_scc0 .LBB35_40
; %bb.39:                               ;   in Loop: Header=BB35_14 Depth=1
	s_mov_b32 s2, -1
	s_mov_b32 s27, s3
.LBB35_40:                              ;   in Loop: Header=BB35_14 Depth=1
	v_dual_mov_b32 v18, v3 :: v_dual_mov_b32 v17, v2
	v_dual_mov_b32 v20, v1 :: v_dual_mov_b32 v19, v0
	;; [unrolled: 1-line block ×4, first 2 shown]
	s_mov_b32 s28, 2
	s_and_b32 vcc_lo, exec_lo, s27
	s_cbranch_vccz .LBB35_35
.LBB35_41:                              ;   in Loop: Header=BB35_14 Depth=1
	s_and_saveexec_b32 s27, s1
	s_cbranch_execz .LBB35_44
; %bb.42:                               ;   in Loop: Header=BB35_14 Depth=1
	s_add_i32 s2, s26, s7
	s_delay_alu instid0(SALU_CYCLE_1) | instskip(NEXT) | instid1(SALU_CYCLE_1)
	s_ashr_i32 s3, s2, 31
	s_lshl_b64 s[2:3], s[2:3], 2
	s_delay_alu instid0(SALU_CYCLE_1)
	s_add_u32 s2, s18, s2
	s_addc_u32 s3, s19, s3
	global_load_b32 v13, v8, s[2:3] glc
	s_waitcnt vmcnt(0)
	v_cmp_ne_u32_e32 vcc_lo, 0, v13
	s_cbranch_vccnz .LBB35_44
.LBB35_43:                              ;   Parent Loop BB35_14 Depth=1
                                        ; =>  This Inner Loop Header: Depth=2
	global_load_b32 v13, v8, s[2:3] glc
	s_waitcnt vmcnt(0)
	v_cmp_eq_u32_e32 vcc_lo, 0, v13
	s_cbranch_vccnz .LBB35_43
.LBB35_44:                              ;   in Loop: Header=BB35_14 Depth=1
	s_or_b32 exec_lo, exec_lo, s27
	v_mov_b32_e32 v17, 0
	v_mov_b32_e32 v18, 0
	s_waitcnt_vscnt null, 0x0
	s_barrier
	buffer_gl0_inv
	buffer_gl1_inv
	buffer_gl0_inv
	v_dual_mov_b32 v20, v18 :: v_dual_mov_b32 v19, v17
	s_and_saveexec_b32 s2, s0
	s_cbranch_execz .LBB35_46
; %bb.45:                               ;   in Loop: Header=BB35_14 Depth=1
	s_mul_i32 s3, s26, s17
	s_mul_hi_u32 s27, s26, s16
	s_ashr_i32 s28, s26, 31
	s_add_i32 s3, s27, s3
	s_mul_i32 s28, s28, s16
	s_mul_i32 s26, s26, s16
	s_add_i32 s27, s3, s28
	s_delay_alu instid0(SALU_CYCLE_1) | instskip(NEXT) | instid1(SALU_CYCLE_1)
	s_lshl_b64 s[26:27], s[26:27], 4
	v_add_co_u32 v13, vcc_lo, v22, s26
	v_add_co_ci_u32_e32 v14, vcc_lo, s27, v23, vcc_lo
	global_load_b128 v[13:16], v[13:14], off
	s_waitcnt vmcnt(0)
	v_fma_f64 v[17:18], -v[6:7], v[13:14], v[0:1]
	v_fma_f64 v[13:14], -v[4:5], v[13:14], v[2:3]
	s_delay_alu instid0(VALU_DEP_2) | instskip(NEXT) | instid1(VALU_DEP_2)
	v_fma_f64 v[19:20], v[4:5], v[15:16], v[17:18]
	v_fma_f64 v[17:18], -v[6:7], v[15:16], v[13:14]
.LBB35_46:                              ;   in Loop: Header=BB35_14 Depth=1
	s_or_b32 exec_lo, exec_lo, s2
	v_dual_mov_b32 v14, v10 :: v_dual_mov_b32 v13, v9
	v_dual_mov_b32 v16, v12 :: v_dual_mov_b32 v15, v11
	s_mov_b32 s28, 0
	s_branch .LBB35_36
.LBB35_47:                              ;   in Loop: Header=BB35_14 Depth=1
	s_and_not1_b32 vcc_lo, exec_lo, s23
	s_cbranch_vccnz .LBB35_49
; %bb.48:                               ;   in Loop: Header=BB35_14 Depth=1
	v_mul_f64 v[9:10], v[4:5], v[4:5]
	s_delay_alu instid0(VALU_DEP_1) | instskip(NEXT) | instid1(VALU_DEP_1)
	v_fma_f64 v[9:10], v[6:7], v[6:7], v[9:10]
	v_div_scale_f64 v[11:12], null, v[9:10], v[9:10], 1.0
	v_div_scale_f64 v[17:18], vcc_lo, 1.0, v[9:10], 1.0
	s_delay_alu instid0(VALU_DEP_2) | instskip(SKIP_2) | instid1(VALU_DEP_1)
	v_rcp_f64_e32 v[13:14], v[11:12]
	s_waitcnt_depctr 0xfff
	v_fma_f64 v[15:16], -v[11:12], v[13:14], 1.0
	v_fma_f64 v[13:14], v[13:14], v[15:16], v[13:14]
	s_delay_alu instid0(VALU_DEP_1) | instskip(NEXT) | instid1(VALU_DEP_1)
	v_fma_f64 v[15:16], -v[11:12], v[13:14], 1.0
	v_fma_f64 v[13:14], v[13:14], v[15:16], v[13:14]
	s_delay_alu instid0(VALU_DEP_1) | instskip(NEXT) | instid1(VALU_DEP_1)
	v_mul_f64 v[15:16], v[17:18], v[13:14]
	v_fma_f64 v[11:12], -v[11:12], v[15:16], v[17:18]
	s_delay_alu instid0(VALU_DEP_1) | instskip(SKIP_2) | instid1(VALU_DEP_3)
	v_div_fmas_f64 v[11:12], v[11:12], v[13:14], v[15:16]
	v_fma_f64 v[13:14], v[4:5], 0, v[6:7]
	v_fma_f64 v[4:5], v[6:7], 0, -v[4:5]
	v_div_fixup_f64 v[9:10], v[11:12], v[9:10], 1.0
	s_delay_alu instid0(VALU_DEP_1) | instskip(NEXT) | instid1(VALU_DEP_3)
	v_mul_f64 v[11:12], v[13:14], v[9:10]
	v_mul_f64 v[9:10], v[4:5], v[9:10]
.LBB35_49:                              ;   in Loop: Header=BB35_14 Depth=1
	s_delay_alu instid0(VALU_DEP_2) | instskip(NEXT) | instid1(VALU_DEP_2)
	v_dual_mov_b32 v16, v12 :: v_dual_mov_b32 v15, v11
	v_dual_mov_b32 v14, v10 :: v_dual_mov_b32 v13, v9
	;; [unrolled: 1-line block ×4, first 2 shown]
	s_mov_b32 s28, 2
	s_delay_alu instid0(SALU_CYCLE_1)
	s_cmp_gt_i32 s28, 3
	s_mov_b32 s2, -1
	s_cbranch_scc0 .LBB35_37
.LBB35_50:                              ;   in Loop: Header=BB35_14 Depth=1
	s_branch .LBB35_12
.LBB35_51:                              ;   in Loop: Header=BB35_14 Depth=1
                                        ; implicit-def: $sgpr25
	s_branch .LBB35_13
.LBB35_52:
	v_mov_b32_e32 v13, 0
	v_dual_mov_b32 v14, 0 :: v_dual_mov_b32 v15, 0
	v_mov_b32_e32 v16, 0x3ff00000
	s_cmp_lg_u32 s6, 0
	s_cbranch_scc1 .LBB35_55
	s_branch .LBB35_54
.LBB35_53:
	v_dual_mov_b32 v2, v17 :: v_dual_mov_b32 v3, v18
	v_dual_mov_b32 v0, v19 :: v_dual_mov_b32 v1, v20
	s_cmp_lg_u32 s6, 0
	s_cbranch_scc1 .LBB35_55
.LBB35_54:
	s_delay_alu instid0(VALU_DEP_2) | instskip(NEXT) | instid1(VALU_DEP_2)
	v_mul_f64 v[4:5], v[13:14], -v[2:3]
	v_mul_f64 v[6:7], v[13:14], v[0:1]
	s_delay_alu instid0(VALU_DEP_2) | instskip(NEXT) | instid1(VALU_DEP_2)
	v_fma_f64 v[0:1], v[0:1], v[15:16], v[4:5]
	v_fma_f64 v[2:3], v[2:3], v[15:16], v[6:7]
.LBB35_55:
	s_and_saveexec_b32 s1, s0
	s_cbranch_execz .LBB35_57
; %bb.56:
	s_lshl_b64 s[2:3], s[14:15], 4
	s_delay_alu instid0(SALU_CYCLE_1)
	v_add_co_u32 v4, vcc_lo, v22, s2
	v_add_co_ci_u32_e32 v5, vcc_lo, s3, v23, vcc_lo
	global_store_b128 v[4:5], v[0:3], off
.LBB35_57:
	s_or_b32 exec_lo, exec_lo, s1
	s_waitcnt_vscnt null, 0x0
	buffer_gl1_inv
	buffer_gl0_inv
	s_barrier
	buffer_gl0_inv
	s_mov_b32 s0, exec_lo
	v_cmpx_eq_u32_e32 0, v21
	s_cbranch_execz .LBB35_59
; %bb.58:
	s_add_i32 s0, s12, s7
	v_dual_mov_b32 v0, 0 :: v_dual_mov_b32 v1, 1
	s_ashr_i32 s1, s0, 31
	s_delay_alu instid0(SALU_CYCLE_1) | instskip(NEXT) | instid1(SALU_CYCLE_1)
	s_lshl_b64 s[0:1], s[0:1], 2
	s_add_u32 s0, s18, s0
	s_addc_u32 s1, s19, s1
	global_store_b32 v0, v1, s[0:1]
.LBB35_59:
	s_nop 0
	s_sendmsg sendmsg(MSG_DEALLOC_VGPRS)
	s_endpgm
	.section	.rodata,"a",@progbits
	.p2align	6, 0x0
	.amdhsa_kernel _ZN9rocsparseL5csrsmILj64ELj64ELb0Eii21rocsparse_complex_numIdEEEv20rocsparse_operation_T3_S4_NS_24const_host_device_scalarIT4_EEPKT2_PKS4_PKS6_PS6_lPiSC_PS4_21rocsparse_index_base_20rocsparse_fill_mode_20rocsparse_diag_type_b
		.amdhsa_group_segment_fixed_size 1792
		.amdhsa_private_segment_fixed_size 0
		.amdhsa_kernarg_size 112
		.amdhsa_user_sgpr_count 15
		.amdhsa_user_sgpr_dispatch_ptr 1
		.amdhsa_user_sgpr_queue_ptr 0
		.amdhsa_user_sgpr_kernarg_segment_ptr 1
		.amdhsa_user_sgpr_dispatch_id 0
		.amdhsa_user_sgpr_private_segment_size 0
		.amdhsa_wavefront_size32 1
		.amdhsa_uses_dynamic_stack 0
		.amdhsa_enable_private_segment 0
		.amdhsa_system_sgpr_workgroup_id_x 1
		.amdhsa_system_sgpr_workgroup_id_y 0
		.amdhsa_system_sgpr_workgroup_id_z 0
		.amdhsa_system_sgpr_workgroup_info 0
		.amdhsa_system_vgpr_workitem_id 2
		.amdhsa_next_free_vgpr 28
		.amdhsa_next_free_sgpr 29
		.amdhsa_reserve_vcc 1
		.amdhsa_float_round_mode_32 0
		.amdhsa_float_round_mode_16_64 0
		.amdhsa_float_denorm_mode_32 3
		.amdhsa_float_denorm_mode_16_64 3
		.amdhsa_dx10_clamp 1
		.amdhsa_ieee_mode 1
		.amdhsa_fp16_overflow 0
		.amdhsa_workgroup_processor_mode 1
		.amdhsa_memory_ordered 1
		.amdhsa_forward_progress 0
		.amdhsa_shared_vgpr_count 0
		.amdhsa_exception_fp_ieee_invalid_op 0
		.amdhsa_exception_fp_denorm_src 0
		.amdhsa_exception_fp_ieee_div_zero 0
		.amdhsa_exception_fp_ieee_overflow 0
		.amdhsa_exception_fp_ieee_underflow 0
		.amdhsa_exception_fp_ieee_inexact 0
		.amdhsa_exception_int_div_zero 0
	.end_amdhsa_kernel
	.section	.text._ZN9rocsparseL5csrsmILj64ELj64ELb0Eii21rocsparse_complex_numIdEEEv20rocsparse_operation_T3_S4_NS_24const_host_device_scalarIT4_EEPKT2_PKS4_PKS6_PS6_lPiSC_PS4_21rocsparse_index_base_20rocsparse_fill_mode_20rocsparse_diag_type_b,"axG",@progbits,_ZN9rocsparseL5csrsmILj64ELj64ELb0Eii21rocsparse_complex_numIdEEEv20rocsparse_operation_T3_S4_NS_24const_host_device_scalarIT4_EEPKT2_PKS4_PKS6_PS6_lPiSC_PS4_21rocsparse_index_base_20rocsparse_fill_mode_20rocsparse_diag_type_b,comdat
.Lfunc_end35:
	.size	_ZN9rocsparseL5csrsmILj64ELj64ELb0Eii21rocsparse_complex_numIdEEEv20rocsparse_operation_T3_S4_NS_24const_host_device_scalarIT4_EEPKT2_PKS4_PKS6_PS6_lPiSC_PS4_21rocsparse_index_base_20rocsparse_fill_mode_20rocsparse_diag_type_b, .Lfunc_end35-_ZN9rocsparseL5csrsmILj64ELj64ELb0Eii21rocsparse_complex_numIdEEEv20rocsparse_operation_T3_S4_NS_24const_host_device_scalarIT4_EEPKT2_PKS4_PKS6_PS6_lPiSC_PS4_21rocsparse_index_base_20rocsparse_fill_mode_20rocsparse_diag_type_b
                                        ; -- End function
	.section	.AMDGPU.csdata,"",@progbits
; Kernel info:
; codeLenInByte = 2460
; NumSgprs: 31
; NumVgprs: 28
; ScratchSize: 0
; MemoryBound: 0
; FloatMode: 240
; IeeeMode: 1
; LDSByteSize: 1792 bytes/workgroup (compile time only)
; SGPRBlocks: 3
; VGPRBlocks: 3
; NumSGPRsForWavesPerEU: 31
; NumVGPRsForWavesPerEU: 28
; Occupancy: 16
; WaveLimiterHint : 1
; COMPUTE_PGM_RSRC2:SCRATCH_EN: 0
; COMPUTE_PGM_RSRC2:USER_SGPR: 15
; COMPUTE_PGM_RSRC2:TRAP_HANDLER: 0
; COMPUTE_PGM_RSRC2:TGID_X_EN: 1
; COMPUTE_PGM_RSRC2:TGID_Y_EN: 0
; COMPUTE_PGM_RSRC2:TGID_Z_EN: 0
; COMPUTE_PGM_RSRC2:TIDIG_COMP_CNT: 2
	.section	.text._ZN9rocsparseL5csrsmILj128ELj64ELb1Eii21rocsparse_complex_numIdEEEv20rocsparse_operation_T3_S4_NS_24const_host_device_scalarIT4_EEPKT2_PKS4_PKS6_PS6_lPiSC_PS4_21rocsparse_index_base_20rocsparse_fill_mode_20rocsparse_diag_type_b,"axG",@progbits,_ZN9rocsparseL5csrsmILj128ELj64ELb1Eii21rocsparse_complex_numIdEEEv20rocsparse_operation_T3_S4_NS_24const_host_device_scalarIT4_EEPKT2_PKS4_PKS6_PS6_lPiSC_PS4_21rocsparse_index_base_20rocsparse_fill_mode_20rocsparse_diag_type_b,comdat
	.globl	_ZN9rocsparseL5csrsmILj128ELj64ELb1Eii21rocsparse_complex_numIdEEEv20rocsparse_operation_T3_S4_NS_24const_host_device_scalarIT4_EEPKT2_PKS4_PKS6_PS6_lPiSC_PS4_21rocsparse_index_base_20rocsparse_fill_mode_20rocsparse_diag_type_b ; -- Begin function _ZN9rocsparseL5csrsmILj128ELj64ELb1Eii21rocsparse_complex_numIdEEEv20rocsparse_operation_T3_S4_NS_24const_host_device_scalarIT4_EEPKT2_PKS4_PKS6_PS6_lPiSC_PS4_21rocsparse_index_base_20rocsparse_fill_mode_20rocsparse_diag_type_b
	.p2align	8
	.type	_ZN9rocsparseL5csrsmILj128ELj64ELb1Eii21rocsparse_complex_numIdEEEv20rocsparse_operation_T3_S4_NS_24const_host_device_scalarIT4_EEPKT2_PKS4_PKS6_PS6_lPiSC_PS4_21rocsparse_index_base_20rocsparse_fill_mode_20rocsparse_diag_type_b,@function
_ZN9rocsparseL5csrsmILj128ELj64ELb1Eii21rocsparse_complex_numIdEEEv20rocsparse_operation_T3_S4_NS_24const_host_device_scalarIT4_EEPKT2_PKS4_PKS6_PS6_lPiSC_PS4_21rocsparse_index_base_20rocsparse_fill_mode_20rocsparse_diag_type_b: ; @_ZN9rocsparseL5csrsmILj128ELj64ELb1Eii21rocsparse_complex_numIdEEEv20rocsparse_operation_T3_S4_NS_24const_host_device_scalarIT4_EEPKT2_PKS4_PKS6_PS6_lPiSC_PS4_21rocsparse_index_base_20rocsparse_fill_mode_20rocsparse_diag_type_b
; %bb.0:
	s_load_b64 s[0:1], s[0:1], 0x4
	s_load_b128 s[4:7], s[2:3], 0x60
	v_bfe_u32 v1, v0, 10, 10
	s_load_b128 s[8:11], s[2:3], 0x10
	v_and_b32_e32 v21, 0x3ff, v0
	v_bfe_u32 v0, v0, 20, 10
	s_mov_b64 s[12:13], src_shared_base
	s_waitcnt lgkmcnt(0)
	v_mul_u32_u24_e32 v1, s1, v1
	s_lshr_b32 s0, s0, 16
	s_delay_alu instid0(SALU_CYCLE_1)
	s_mul_i32 s0, s0, s1
	s_delay_alu instid0(VALU_DEP_1) | instid1(SALU_CYCLE_1)
	v_mad_u32_u24 v1, s0, v21, v1
	s_and_b32 s0, 1, s7
	s_delay_alu instid0(SALU_CYCLE_1)
	s_cmp_eq_u32 s0, 1
	s_load_b64 s[0:1], s[2:3], 0x20
	v_mov_b32_e32 v2, s8
	v_add_lshl_u32 v4, v1, v0, 3
	s_cselect_b32 vcc_lo, -1, 0
	v_dual_mov_b32 v3, s9 :: v_dual_mov_b32 v6, s10
	s_delay_alu instid0(VALU_DEP_2) | instskip(SKIP_4) | instid1(SALU_CYCLE_1)
	v_dual_mov_b32 v7, s11 :: v_dual_add_nc_u32 v0, 0xa00, v4
	ds_store_b64 v4, v[2:3] offset:2560
	v_cndmask_b32_e32 v0, s8, v0, vcc_lo
	s_and_b32 vcc_lo, vcc_lo, exec_lo
	s_cselect_b32 s7, s13, s9
	v_mov_b32_e32 v1, s7
	flat_load_b64 v[4:5], v[0:1]
	s_clause 0x1
	s_load_b64 s[12:13], s[2:3], 0x50
	s_load_b64 s[20:21], s[2:3], 0x38
	s_cbranch_vccnz .LBB36_2
; %bb.1:
	v_dual_mov_b32 v0, s8 :: v_dual_mov_b32 v1, s9
	flat_load_b64 v[6:7], v[0:1] offset:8
.LBB36_2:
	s_clause 0x1
	s_load_b128 s[8:11], s[2:3], 0x0
	s_load_b64 s[16:17], s[2:3], 0x40
	s_waitcnt lgkmcnt(0)
	v_cvt_f32_u32_e32 v0, s9
	s_sub_i32 s11, 0, s9
	s_delay_alu instid0(VALU_DEP_1) | instskip(SKIP_2) | instid1(VALU_DEP_1)
	v_rcp_iflag_f32_e32 v0, v0
	s_waitcnt_depctr 0xfff
	v_mul_f32_e32 v0, 0x4f7ffffe, v0
	v_cvt_u32_f32_e32 v0, v0
	s_delay_alu instid0(VALU_DEP_1) | instskip(NEXT) | instid1(VALU_DEP_1)
	v_readfirstlane_b32 s7, v0
	s_mul_i32 s11, s11, s7
	s_delay_alu instid0(SALU_CYCLE_1) | instskip(NEXT) | instid1(SALU_CYCLE_1)
	s_mul_hi_u32 s11, s7, s11
	s_add_i32 s7, s7, s11
	s_delay_alu instid0(SALU_CYCLE_1) | instskip(NEXT) | instid1(SALU_CYCLE_1)
	s_mul_hi_u32 s7, s15, s7
	s_mul_i32 s11, s7, s9
	s_add_i32 s14, s7, 1
	s_sub_i32 s11, s15, s11
	s_delay_alu instid0(SALU_CYCLE_1)
	s_sub_i32 s18, s11, s9
	s_cmp_ge_u32 s11, s9
	s_cselect_b32 s7, s14, s7
	s_cselect_b32 s11, s18, s11
	s_add_i32 s14, s7, 1
	s_cmp_ge_u32 s11, s9
	s_cselect_b32 s11, s14, s7
	s_delay_alu instid0(SALU_CYCLE_1) | instskip(SKIP_2) | instid1(SALU_CYCLE_1)
	s_mul_i32 s7, s11, s9
	v_lshl_or_b32 v8, s11, 7, v21
	s_sub_i32 s14, s15, s7
	s_ashr_i32 s15, s14, 31
	s_delay_alu instid0(VALU_DEP_1) | instskip(SKIP_1) | instid1(SALU_CYCLE_1)
	v_ashrrev_i32_e32 v9, 31, v8
	s_lshl_b64 s[14:15], s[14:15], 2
	s_add_u32 s12, s12, s14
	s_addc_u32 s13, s13, s15
	s_load_b32 s12, s[12:13], 0x0
	s_waitcnt lgkmcnt(0)
	s_ashr_i32 s13, s12, 31
	s_delay_alu instid0(SALU_CYCLE_1) | instskip(NEXT) | instid1(SALU_CYCLE_1)
	s_lshl_b64 s[14:15], s[12:13], 2
	s_add_u32 s0, s0, s14
	s_addc_u32 s1, s1, s15
	s_mul_i32 s14, s12, s16
	s_load_b64 s[22:23], s[0:1], 0x0
	s_mul_i32 s0, s12, s17
	s_mul_hi_u32 s1, s12, s16
	v_add_co_u32 v10, vcc_lo, s14, v8
	s_add_i32 s0, s1, s0
	s_mul_i32 s1, s13, s16
	s_delay_alu instid0(SALU_CYCLE_1)
	s_add_i32 s15, s0, s1
	v_cmp_gt_i32_e64 s0, s10, v8
	v_add_co_ci_u32_e32 v11, vcc_lo, s15, v9, vcc_lo
	s_cmpk_lg_i32 s8, 0x71
	s_cbranch_scc0 .LBB36_6
; %bb.3:
	v_mov_b32_e32 v2, 0
	v_mov_b32_e32 v3, 0
	s_delay_alu instid0(VALU_DEP_1)
	v_dual_mov_b32 v0, v2 :: v_dual_mov_b32 v1, v3
	s_and_saveexec_b32 s1, s0
	s_cbranch_execz .LBB36_5
; %bb.4:
	v_lshlrev_b64 v[0:1], 4, v[10:11]
	s_delay_alu instid0(VALU_DEP_1) | instskip(NEXT) | instid1(VALU_DEP_2)
	v_add_co_u32 v0, vcc_lo, s20, v0
	v_add_co_ci_u32_e32 v1, vcc_lo, s21, v1, vcc_lo
	global_load_b128 v[12:15], v[0:1], off
	s_waitcnt vmcnt(0)
	v_mul_f64 v[0:1], v[14:15], -v[6:7]
	v_mul_f64 v[2:3], v[4:5], v[14:15]
	s_delay_alu instid0(VALU_DEP_2) | instskip(NEXT) | instid1(VALU_DEP_2)
	v_fma_f64 v[0:1], v[4:5], v[12:13], v[0:1]
	v_fma_f64 v[2:3], v[6:7], v[12:13], v[2:3]
.LBB36_5:
	s_or_b32 exec_lo, exec_lo, s1
	s_load_b64 s[18:19], s[2:3], 0x48
	s_cbranch_execz .LBB36_7
	s_branch .LBB36_10
.LBB36_6:
                                        ; implicit-def: $vgpr2_vgpr3
	s_load_b64 s[18:19], s[2:3], 0x48
.LBB36_7:
	v_mov_b32_e32 v2, 0
	v_mov_b32_e32 v3, 0
	s_delay_alu instid0(VALU_DEP_1)
	v_dual_mov_b32 v0, v2 :: v_dual_mov_b32 v1, v3
	s_and_saveexec_b32 s1, s0
	s_cbranch_execz .LBB36_9
; %bb.8:
	v_lshlrev_b64 v[0:1], 4, v[10:11]
	s_delay_alu instid0(VALU_DEP_1) | instskip(NEXT) | instid1(VALU_DEP_2)
	v_add_co_u32 v0, vcc_lo, s20, v0
	v_add_co_ci_u32_e32 v1, vcc_lo, s21, v1, vcc_lo
	global_load_b128 v[10:13], v[0:1], off
	s_waitcnt vmcnt(0)
	v_mul_f64 v[0:1], v[6:7], v[12:13]
	v_mul_f64 v[2:3], v[4:5], -v[12:13]
	s_delay_alu instid0(VALU_DEP_2) | instskip(NEXT) | instid1(VALU_DEP_2)
	v_fma_f64 v[0:1], v[4:5], v[10:11], v[0:1]
	v_fma_f64 v[2:3], v[6:7], v[10:11], v[2:3]
.LBB36_9:
	s_or_b32 exec_lo, exec_lo, s1
.LBB36_10:
	s_waitcnt vmcnt(0)
	v_lshlrev_b64 v[4:5], 4, v[8:9]
	v_cmp_eq_u32_e64 s1, 0, v21
	s_waitcnt lgkmcnt(0)
	s_cmp_ge_i32 s22, s23
	s_delay_alu instid0(VALU_DEP_2) | instskip(NEXT) | instid1(VALU_DEP_3)
	v_add_co_u32 v22, vcc_lo, s20, v4
	v_add_co_ci_u32_e32 v23, vcc_lo, s21, v5, vcc_lo
	s_cbranch_scc1 .LBB36_55
; %bb.11:
	s_clause 0x1
	s_load_b64 s[20:21], s[2:3], 0x58
	s_load_b128 s[8:11], s[2:3], 0x28
	v_mov_b32_e32 v9, 0
	v_dual_mov_b32 v11, 0 :: v_dual_mov_b32 v8, 0
	s_sub_i32 s13, s22, s4
	s_sub_i32 s22, s23, s4
	v_lshl_or_b32 v24, v21, 2, 0x800
	v_dual_mov_b32 v10, 0 :: v_dual_lshlrev_b32 v25, 4, v21
	v_mov_b32_e32 v12, 0x3ff00000
	s_cmp_eq_u32 s6, 0
	s_mov_b32 s25, s13
	s_cselect_b32 s23, -1, 0
	s_add_i32 s24, s12, s4
	s_branch .LBB36_14
.LBB36_12:                              ;   in Loop: Header=BB36_14 Depth=1
	s_add_i32 s25, s25, 1
	s_delay_alu instid0(SALU_CYCLE_1)
	s_cmp_ge_i32 s25, s22
	s_cselect_b32 s2, -1, 0
.LBB36_13:                              ;   in Loop: Header=BB36_14 Depth=1
	s_delay_alu instid0(VALU_DEP_3) | instskip(NEXT) | instid1(VALU_DEP_4)
	v_dual_mov_b32 v2, v17 :: v_dual_mov_b32 v3, v18
	v_dual_mov_b32 v0, v19 :: v_dual_mov_b32 v1, v20
	s_delay_alu instid0(VALU_DEP_4) | instskip(NEXT) | instid1(VALU_DEP_4)
	v_dual_mov_b32 v9, v13 :: v_dual_mov_b32 v10, v14
	v_dual_mov_b32 v11, v15 :: v_dual_mov_b32 v12, v16
	s_and_not1_b32 vcc_lo, exec_lo, s2
	s_cbranch_vccz .LBB36_56
.LBB36_14:                              ; =>This Loop Header: Depth=1
                                        ;     Child Loop BB36_53 Depth 2
                                        ;       Child Loop BB36_54 Depth 3
	s_sub_i32 s2, s25, s13
	s_delay_alu instid0(SALU_CYCLE_1) | instskip(NEXT) | instid1(SALU_CYCLE_1)
	s_and_b32 s3, s2, 0x7f
	s_cmp_lg_u32 s3, 0
	s_cbranch_scc1 .LBB36_18
; %bb.15:                               ;   in Loop: Header=BB36_14 Depth=1
	s_sub_i32 s2, s22, s25
	v_mov_b32_e32 v6, 0
	v_dual_mov_b32 v7, 0 :: v_dual_mov_b32 v4, 0
	v_cmp_gt_u32_e32 vcc_lo, s2, v21
	v_mov_b32_e32 v5, 0xbff00000
	v_mov_b32_e32 v13, -1
	s_and_saveexec_b32 s2, vcc_lo
	s_cbranch_execz .LBB36_17
; %bb.16:                               ;   in Loop: Header=BB36_14 Depth=1
	v_add_nc_u32_e32 v7, s25, v21
	s_delay_alu instid0(VALU_DEP_1) | instskip(SKIP_2) | instid1(VALU_DEP_2)
	v_lshlrev_b64 v[4:5], 2, v[7:8]
	v_lshlrev_b64 v[6:7], 4, v[7:8]
	s_waitcnt lgkmcnt(0)
	v_add_co_u32 v4, vcc_lo, s8, v4
	s_delay_alu instid0(VALU_DEP_3)
	v_add_co_ci_u32_e32 v5, vcc_lo, s9, v5, vcc_lo
	global_load_b32 v13, v[4:5], off
	v_add_co_u32 v4, vcc_lo, s10, v6
	v_add_co_ci_u32_e32 v5, vcc_lo, s11, v7, vcc_lo
	global_load_b128 v[4:7], v[4:5], off
	s_waitcnt vmcnt(1)
	v_subrev_nc_u32_e32 v13, s4, v13
.LBB36_17:                              ;   in Loop: Header=BB36_14 Depth=1
	s_or_b32 exec_lo, exec_lo, s2
	ds_store_b32 v24, v13
	s_waitcnt vmcnt(0)
	ds_store_b128 v25, v[4:7]
.LBB36_18:                              ;   in Loop: Header=BB36_14 Depth=1
	s_lshl_b32 s2, s3, 4
	s_waitcnt lgkmcnt(0)
	v_mov_b32_e32 v4, s2
	s_waitcnt_vscnt null, 0x0
	s_barrier
	buffer_gl0_inv
	s_lshl_b32 s3, s3, 2
	ds_load_b128 v[13:16], v4
	v_mov_b32_e32 v4, s3
	ds_load_b32 v4, v4 offset:2048
	s_waitcnt lgkmcnt(1)
	v_cmp_eq_f64_e32 vcc_lo, 0, v[13:14]
	v_cmp_eq_f64_e64 s2, 0, v[15:16]
	s_waitcnt lgkmcnt(0)
	v_readfirstlane_b32 s26, v4
	v_cmp_ne_u32_e64 s3, s12, v4
	s_delay_alu instid0(VALU_DEP_3) | instskip(NEXT) | instid1(VALU_DEP_2)
	s_and_b32 s2, vcc_lo, s2
	s_cmp_eq_u32 s26, s12
	s_cselect_b32 s28, -1, 0
	s_delay_alu instid0(SALU_CYCLE_1) | instskip(NEXT) | instid1(SALU_CYCLE_1)
	s_and_b32 s2, s2, s28
	s_and_b32 s2, s23, s2
	s_delay_alu instid0(SALU_CYCLE_1) | instskip(SKIP_4) | instid1(SALU_CYCLE_1)
	v_cndmask_b32_e64 v5, v16, 0, s2
	v_cndmask_b32_e64 v4, v15, 0, s2
	;; [unrolled: 1-line block ×4, first 2 shown]
	s_and_b32 s27, s1, s2
	s_and_saveexec_b32 s2, s27
	s_cbranch_execz .LBB36_22
; %bb.19:                               ;   in Loop: Header=BB36_14 Depth=1
	v_mbcnt_lo_u32_b32 v4, exec_lo, 0
	s_mov_b32 s27, exec_lo
	s_delay_alu instid0(VALU_DEP_1)
	v_cmpx_eq_u32_e32 0, v4
	s_cbranch_execz .LBB36_21
; %bb.20:                               ;   in Loop: Header=BB36_14 Depth=1
	v_mov_b32_e32 v4, s24
	global_atomic_min_i32 v8, v4, s[20:21]
.LBB36_21:                              ;   in Loop: Header=BB36_14 Depth=1
	s_or_b32 exec_lo, exec_lo, s27
	v_mov_b32_e32 v4, 0
	v_dual_mov_b32 v5, 0 :: v_dual_mov_b32 v6, 0
	v_mov_b32_e32 v7, 0x3ff00000
.LBB36_22:                              ;   in Loop: Header=BB36_14 Depth=1
	s_or_b32 exec_lo, exec_lo, s2
	s_cmp_lt_i32 s5, 1
	s_mov_b32 s2, 0
	s_cbranch_scc1 .LBB36_28
; %bb.23:                               ;   in Loop: Header=BB36_14 Depth=1
	s_cmp_eq_u32 s5, 1
	s_cbranch_scc0 .LBB36_29
; %bb.24:                               ;   in Loop: Header=BB36_14 Depth=1
	v_dual_mov_b32 v14, v10 :: v_dual_mov_b32 v13, v9
	v_dual_mov_b32 v16, v12 :: v_dual_mov_b32 v15, v11
	s_cmp_ge_i32 s26, s12
	s_mov_b32 s27, 0
	s_cbranch_scc0 .LBB36_31
; %bb.25:                               ;   in Loop: Header=BB36_14 Depth=1
	s_and_b32 vcc_lo, exec_lo, s28
	s_cbranch_vccz .LBB36_30
; %bb.26:                               ;   in Loop: Header=BB36_14 Depth=1
	v_dual_mov_b32 v14, v10 :: v_dual_mov_b32 v13, v9
	v_dual_mov_b32 v16, v12 :: v_dual_mov_b32 v15, v11
	s_and_not1_b32 vcc_lo, exec_lo, s23
	s_cbranch_vccnz .LBB36_31
; %bb.27:                               ;   in Loop: Header=BB36_14 Depth=1
	v_mul_f64 v[13:14], v[4:5], v[4:5]
	s_delay_alu instid0(VALU_DEP_1) | instskip(NEXT) | instid1(VALU_DEP_1)
	v_fma_f64 v[13:14], v[6:7], v[6:7], v[13:14]
	v_div_scale_f64 v[15:16], null, v[13:14], v[13:14], 1.0
	v_div_scale_f64 v[26:27], vcc_lo, 1.0, v[13:14], 1.0
	s_delay_alu instid0(VALU_DEP_2) | instskip(SKIP_2) | instid1(VALU_DEP_1)
	v_rcp_f64_e32 v[17:18], v[15:16]
	s_waitcnt_depctr 0xfff
	v_fma_f64 v[19:20], -v[15:16], v[17:18], 1.0
	v_fma_f64 v[17:18], v[17:18], v[19:20], v[17:18]
	s_delay_alu instid0(VALU_DEP_1) | instskip(NEXT) | instid1(VALU_DEP_1)
	v_fma_f64 v[19:20], -v[15:16], v[17:18], 1.0
	v_fma_f64 v[17:18], v[17:18], v[19:20], v[17:18]
	s_delay_alu instid0(VALU_DEP_1) | instskip(NEXT) | instid1(VALU_DEP_1)
	v_mul_f64 v[19:20], v[26:27], v[17:18]
	v_fma_f64 v[15:16], -v[15:16], v[19:20], v[26:27]
	s_delay_alu instid0(VALU_DEP_1) | instskip(SKIP_2) | instid1(VALU_DEP_3)
	v_div_fmas_f64 v[15:16], v[15:16], v[17:18], v[19:20]
	v_fma_f64 v[17:18], v[4:5], 0, v[6:7]
	v_fma_f64 v[19:20], v[6:7], 0, -v[4:5]
	v_div_fixup_f64 v[13:14], v[15:16], v[13:14], 1.0
	s_delay_alu instid0(VALU_DEP_1) | instskip(NEXT) | instid1(VALU_DEP_3)
	v_mul_f64 v[15:16], v[17:18], v[13:14]
	v_mul_f64 v[13:14], v[19:20], v[13:14]
	s_branch .LBB36_31
.LBB36_28:                              ;   in Loop: Header=BB36_14 Depth=1
	s_mov_b32 s27, 0
                                        ; implicit-def: $sgpr28
                                        ; implicit-def: $vgpr17_vgpr18
                                        ; implicit-def: $vgpr19_vgpr20
                                        ; implicit-def: $vgpr13_vgpr14
                                        ; implicit-def: $vgpr15_vgpr16
	s_cbranch_execnz .LBB36_32
	s_branch .LBB36_34
.LBB36_29:                              ;   in Loop: Header=BB36_14 Depth=1
	s_mov_b32 s27, -1
                                        ; implicit-def: $sgpr28
                                        ; implicit-def: $vgpr17_vgpr18
                                        ; implicit-def: $vgpr19_vgpr20
                                        ; implicit-def: $vgpr13_vgpr14
                                        ; implicit-def: $vgpr15_vgpr16
	s_branch .LBB36_34
.LBB36_30:                              ;   in Loop: Header=BB36_14 Depth=1
	s_mov_b32 s27, -1
                                        ; implicit-def: $vgpr13_vgpr14
                                        ; implicit-def: $vgpr15_vgpr16
.LBB36_31:                              ;   in Loop: Header=BB36_14 Depth=1
	v_dual_mov_b32 v18, v3 :: v_dual_mov_b32 v17, v2
	v_dual_mov_b32 v20, v1 :: v_dual_mov_b32 v19, v0
	s_mov_b32 s28, 4
	s_branch .LBB36_34
.LBB36_32:                              ;   in Loop: Header=BB36_14 Depth=1
	s_cmp_eq_u32 s5, 0
	s_cbranch_scc1 .LBB36_38
; %bb.33:                               ;   in Loop: Header=BB36_14 Depth=1
	s_mov_b32 s27, -1
                                        ; implicit-def: $sgpr28
                                        ; implicit-def: $vgpr17_vgpr18
                                        ; implicit-def: $vgpr19_vgpr20
                                        ; implicit-def: $vgpr13_vgpr14
                                        ; implicit-def: $vgpr15_vgpr16
.LBB36_34:                              ;   in Loop: Header=BB36_14 Depth=1
	s_delay_alu instid0(SALU_CYCLE_1)
	s_and_b32 vcc_lo, exec_lo, s27
	s_cbranch_vccnz .LBB36_41
.LBB36_35:                              ;   in Loop: Header=BB36_14 Depth=1
	s_and_b32 vcc_lo, exec_lo, s2
	s_cbranch_vccnz .LBB36_46
.LBB36_36:                              ;   in Loop: Header=BB36_14 Depth=1
	s_cmp_gt_i32 s28, 3
	s_mov_b32 s2, -1
	s_cbranch_scc1 .LBB36_49
.LBB36_37:                              ;   in Loop: Header=BB36_14 Depth=1
	s_cmp_eq_u32 s28, 0
	s_cselect_b32 s3, -1, 0
	s_delay_alu instid0(SALU_CYCLE_1)
	s_and_not1_b32 vcc_lo, exec_lo, s3
	s_cbranch_vccz .LBB36_12
	s_branch .LBB36_50
.LBB36_38:                              ;   in Loop: Header=BB36_14 Depth=1
	s_cmp_le_i32 s26, s12
	s_mov_b32 s27, 0
	s_cbranch_scc0 .LBB36_40
; %bb.39:                               ;   in Loop: Header=BB36_14 Depth=1
	s_mov_b32 s2, -1
	s_mov_b32 s27, s3
.LBB36_40:                              ;   in Loop: Header=BB36_14 Depth=1
	v_dual_mov_b32 v18, v3 :: v_dual_mov_b32 v17, v2
	v_dual_mov_b32 v20, v1 :: v_dual_mov_b32 v19, v0
	;; [unrolled: 1-line block ×4, first 2 shown]
	s_mov_b32 s28, 2
	s_and_b32 vcc_lo, exec_lo, s27
	s_cbranch_vccz .LBB36_35
.LBB36_41:                              ;   in Loop: Header=BB36_14 Depth=1
	s_and_saveexec_b32 s27, s1
	s_cbranch_execz .LBB36_43
; %bb.42:                               ;   in Loop: Header=BB36_14 Depth=1
	s_add_i32 s2, s26, s7
	s_delay_alu instid0(SALU_CYCLE_1) | instskip(NEXT) | instid1(SALU_CYCLE_1)
	s_ashr_i32 s3, s2, 31
	s_lshl_b64 s[2:3], s[2:3], 2
	s_delay_alu instid0(SALU_CYCLE_1)
	s_add_u32 s2, s18, s2
	s_addc_u32 s3, s19, s3
	global_load_b32 v13, v8, s[2:3] glc
	s_waitcnt vmcnt(0)
	v_cmp_ne_u32_e32 vcc_lo, 0, v13
	s_cbranch_vccz .LBB36_51
.LBB36_43:                              ;   in Loop: Header=BB36_14 Depth=1
	s_or_b32 exec_lo, exec_lo, s27
	v_mov_b32_e32 v17, 0
	v_mov_b32_e32 v18, 0
	s_waitcnt_vscnt null, 0x0
	s_barrier
	buffer_gl0_inv
	buffer_gl1_inv
	buffer_gl0_inv
	v_dual_mov_b32 v20, v18 :: v_dual_mov_b32 v19, v17
	s_and_saveexec_b32 s2, s0
	s_cbranch_execz .LBB36_45
; %bb.44:                               ;   in Loop: Header=BB36_14 Depth=1
	s_mul_i32 s3, s26, s17
	s_mul_hi_u32 s27, s26, s16
	s_ashr_i32 s28, s26, 31
	s_add_i32 s3, s27, s3
	s_mul_i32 s28, s28, s16
	s_mul_i32 s26, s26, s16
	s_add_i32 s27, s3, s28
	s_delay_alu instid0(SALU_CYCLE_1) | instskip(NEXT) | instid1(SALU_CYCLE_1)
	s_lshl_b64 s[26:27], s[26:27], 4
	v_add_co_u32 v13, vcc_lo, v22, s26
	v_add_co_ci_u32_e32 v14, vcc_lo, s27, v23, vcc_lo
	global_load_b128 v[13:16], v[13:14], off
	s_waitcnt vmcnt(0)
	v_fma_f64 v[17:18], -v[6:7], v[13:14], v[0:1]
	v_fma_f64 v[13:14], -v[4:5], v[13:14], v[2:3]
	s_delay_alu instid0(VALU_DEP_2) | instskip(NEXT) | instid1(VALU_DEP_2)
	v_fma_f64 v[19:20], v[4:5], v[15:16], v[17:18]
	v_fma_f64 v[17:18], -v[6:7], v[15:16], v[13:14]
.LBB36_45:                              ;   in Loop: Header=BB36_14 Depth=1
	s_or_b32 exec_lo, exec_lo, s2
	v_dual_mov_b32 v14, v10 :: v_dual_mov_b32 v13, v9
	v_dual_mov_b32 v16, v12 :: v_dual_mov_b32 v15, v11
	s_mov_b32 s28, 0
	s_branch .LBB36_36
.LBB36_46:                              ;   in Loop: Header=BB36_14 Depth=1
	s_and_not1_b32 vcc_lo, exec_lo, s23
	s_cbranch_vccnz .LBB36_48
; %bb.47:                               ;   in Loop: Header=BB36_14 Depth=1
	v_mul_f64 v[9:10], v[4:5], v[4:5]
	s_delay_alu instid0(VALU_DEP_1) | instskip(NEXT) | instid1(VALU_DEP_1)
	v_fma_f64 v[9:10], v[6:7], v[6:7], v[9:10]
	v_div_scale_f64 v[11:12], null, v[9:10], v[9:10], 1.0
	v_div_scale_f64 v[17:18], vcc_lo, 1.0, v[9:10], 1.0
	s_delay_alu instid0(VALU_DEP_2) | instskip(SKIP_2) | instid1(VALU_DEP_1)
	v_rcp_f64_e32 v[13:14], v[11:12]
	s_waitcnt_depctr 0xfff
	v_fma_f64 v[15:16], -v[11:12], v[13:14], 1.0
	v_fma_f64 v[13:14], v[13:14], v[15:16], v[13:14]
	s_delay_alu instid0(VALU_DEP_1) | instskip(NEXT) | instid1(VALU_DEP_1)
	v_fma_f64 v[15:16], -v[11:12], v[13:14], 1.0
	v_fma_f64 v[13:14], v[13:14], v[15:16], v[13:14]
	s_delay_alu instid0(VALU_DEP_1) | instskip(NEXT) | instid1(VALU_DEP_1)
	v_mul_f64 v[15:16], v[17:18], v[13:14]
	v_fma_f64 v[11:12], -v[11:12], v[15:16], v[17:18]
	s_delay_alu instid0(VALU_DEP_1) | instskip(SKIP_2) | instid1(VALU_DEP_3)
	v_div_fmas_f64 v[11:12], v[11:12], v[13:14], v[15:16]
	v_fma_f64 v[13:14], v[4:5], 0, v[6:7]
	v_fma_f64 v[4:5], v[6:7], 0, -v[4:5]
	v_div_fixup_f64 v[9:10], v[11:12], v[9:10], 1.0
	s_delay_alu instid0(VALU_DEP_1) | instskip(NEXT) | instid1(VALU_DEP_3)
	v_mul_f64 v[11:12], v[13:14], v[9:10]
	v_mul_f64 v[9:10], v[4:5], v[9:10]
.LBB36_48:                              ;   in Loop: Header=BB36_14 Depth=1
	s_delay_alu instid0(VALU_DEP_2) | instskip(NEXT) | instid1(VALU_DEP_2)
	v_dual_mov_b32 v16, v12 :: v_dual_mov_b32 v15, v11
	v_dual_mov_b32 v14, v10 :: v_dual_mov_b32 v13, v9
	;; [unrolled: 1-line block ×4, first 2 shown]
	s_mov_b32 s28, 2
	s_delay_alu instid0(SALU_CYCLE_1)
	s_cmp_gt_i32 s28, 3
	s_mov_b32 s2, -1
	s_cbranch_scc0 .LBB36_37
.LBB36_49:                              ;   in Loop: Header=BB36_14 Depth=1
	s_branch .LBB36_12
.LBB36_50:                              ;   in Loop: Header=BB36_14 Depth=1
                                        ; implicit-def: $sgpr25
	s_branch .LBB36_13
.LBB36_51:                              ;   in Loop: Header=BB36_14 Depth=1
	s_mov_b32 s28, 0
	s_branch .LBB36_53
	.p2align	6
.LBB36_52:                              ;   in Loop: Header=BB36_53 Depth=2
	global_load_b32 v13, v8, s[2:3] glc
	s_cmpk_lt_u32 s28, 0xf43
	s_cselect_b32 s29, -1, 0
	s_delay_alu instid0(SALU_CYCLE_1)
	s_cmp_lg_u32 s29, 0
	s_addc_u32 s28, s28, 0
	s_waitcnt vmcnt(0)
	v_cmp_ne_u32_e32 vcc_lo, 0, v13
	s_cbranch_vccnz .LBB36_43
.LBB36_53:                              ;   Parent Loop BB36_14 Depth=1
                                        ; =>  This Loop Header: Depth=2
                                        ;       Child Loop BB36_54 Depth 3
	s_cmp_eq_u32 s28, 0
	s_mov_b32 s29, s28
	s_cbranch_scc1 .LBB36_52
.LBB36_54:                              ;   Parent Loop BB36_14 Depth=1
                                        ;     Parent Loop BB36_53 Depth=2
                                        ; =>    This Inner Loop Header: Depth=3
	s_add_i32 s29, s29, -1
	s_sleep 1
	s_cmp_eq_u32 s29, 0
	s_cbranch_scc0 .LBB36_54
	s_branch .LBB36_52
.LBB36_55:
	v_mov_b32_e32 v13, 0
	v_dual_mov_b32 v14, 0 :: v_dual_mov_b32 v15, 0
	v_mov_b32_e32 v16, 0x3ff00000
	s_cmp_lg_u32 s6, 0
	s_cbranch_scc1 .LBB36_58
	s_branch .LBB36_57
.LBB36_56:
	v_dual_mov_b32 v2, v17 :: v_dual_mov_b32 v3, v18
	v_dual_mov_b32 v0, v19 :: v_dual_mov_b32 v1, v20
	s_cmp_lg_u32 s6, 0
	s_cbranch_scc1 .LBB36_58
.LBB36_57:
	s_delay_alu instid0(VALU_DEP_2) | instskip(NEXT) | instid1(VALU_DEP_2)
	v_mul_f64 v[4:5], v[13:14], -v[2:3]
	v_mul_f64 v[6:7], v[13:14], v[0:1]
	s_delay_alu instid0(VALU_DEP_2) | instskip(NEXT) | instid1(VALU_DEP_2)
	v_fma_f64 v[0:1], v[0:1], v[15:16], v[4:5]
	v_fma_f64 v[2:3], v[2:3], v[15:16], v[6:7]
.LBB36_58:
	s_and_saveexec_b32 s1, s0
	s_cbranch_execz .LBB36_60
; %bb.59:
	s_lshl_b64 s[2:3], s[14:15], 4
	s_delay_alu instid0(SALU_CYCLE_1)
	v_add_co_u32 v4, vcc_lo, v22, s2
	v_add_co_ci_u32_e32 v5, vcc_lo, s3, v23, vcc_lo
	global_store_b128 v[4:5], v[0:3], off
.LBB36_60:
	s_or_b32 exec_lo, exec_lo, s1
	s_waitcnt_vscnt null, 0x0
	buffer_gl1_inv
	buffer_gl0_inv
	s_barrier
	buffer_gl0_inv
	s_mov_b32 s0, exec_lo
	v_cmpx_eq_u32_e32 0, v21
	s_cbranch_execz .LBB36_62
; %bb.61:
	s_add_i32 s0, s12, s7
	v_dual_mov_b32 v0, 0 :: v_dual_mov_b32 v1, 1
	s_ashr_i32 s1, s0, 31
	s_delay_alu instid0(SALU_CYCLE_1) | instskip(NEXT) | instid1(SALU_CYCLE_1)
	s_lshl_b64 s[0:1], s[0:1], 2
	s_add_u32 s0, s18, s0
	s_addc_u32 s1, s19, s1
	global_store_b32 v0, v1, s[0:1]
.LBB36_62:
	s_nop 0
	s_sendmsg sendmsg(MSG_DEALLOC_VGPRS)
	s_endpgm
	.section	.rodata,"a",@progbits
	.p2align	6, 0x0
	.amdhsa_kernel _ZN9rocsparseL5csrsmILj128ELj64ELb1Eii21rocsparse_complex_numIdEEEv20rocsparse_operation_T3_S4_NS_24const_host_device_scalarIT4_EEPKT2_PKS4_PKS6_PS6_lPiSC_PS4_21rocsparse_index_base_20rocsparse_fill_mode_20rocsparse_diag_type_b
		.amdhsa_group_segment_fixed_size 3584
		.amdhsa_private_segment_fixed_size 0
		.amdhsa_kernarg_size 112
		.amdhsa_user_sgpr_count 15
		.amdhsa_user_sgpr_dispatch_ptr 1
		.amdhsa_user_sgpr_queue_ptr 0
		.amdhsa_user_sgpr_kernarg_segment_ptr 1
		.amdhsa_user_sgpr_dispatch_id 0
		.amdhsa_user_sgpr_private_segment_size 0
		.amdhsa_wavefront_size32 1
		.amdhsa_uses_dynamic_stack 0
		.amdhsa_enable_private_segment 0
		.amdhsa_system_sgpr_workgroup_id_x 1
		.amdhsa_system_sgpr_workgroup_id_y 0
		.amdhsa_system_sgpr_workgroup_id_z 0
		.amdhsa_system_sgpr_workgroup_info 0
		.amdhsa_system_vgpr_workitem_id 2
		.amdhsa_next_free_vgpr 28
		.amdhsa_next_free_sgpr 30
		.amdhsa_reserve_vcc 1
		.amdhsa_float_round_mode_32 0
		.amdhsa_float_round_mode_16_64 0
		.amdhsa_float_denorm_mode_32 3
		.amdhsa_float_denorm_mode_16_64 3
		.amdhsa_dx10_clamp 1
		.amdhsa_ieee_mode 1
		.amdhsa_fp16_overflow 0
		.amdhsa_workgroup_processor_mode 1
		.amdhsa_memory_ordered 1
		.amdhsa_forward_progress 0
		.amdhsa_shared_vgpr_count 0
		.amdhsa_exception_fp_ieee_invalid_op 0
		.amdhsa_exception_fp_denorm_src 0
		.amdhsa_exception_fp_ieee_div_zero 0
		.amdhsa_exception_fp_ieee_overflow 0
		.amdhsa_exception_fp_ieee_underflow 0
		.amdhsa_exception_fp_ieee_inexact 0
		.amdhsa_exception_int_div_zero 0
	.end_amdhsa_kernel
	.section	.text._ZN9rocsparseL5csrsmILj128ELj64ELb1Eii21rocsparse_complex_numIdEEEv20rocsparse_operation_T3_S4_NS_24const_host_device_scalarIT4_EEPKT2_PKS4_PKS6_PS6_lPiSC_PS4_21rocsparse_index_base_20rocsparse_fill_mode_20rocsparse_diag_type_b,"axG",@progbits,_ZN9rocsparseL5csrsmILj128ELj64ELb1Eii21rocsparse_complex_numIdEEEv20rocsparse_operation_T3_S4_NS_24const_host_device_scalarIT4_EEPKT2_PKS4_PKS6_PS6_lPiSC_PS4_21rocsparse_index_base_20rocsparse_fill_mode_20rocsparse_diag_type_b,comdat
.Lfunc_end36:
	.size	_ZN9rocsparseL5csrsmILj128ELj64ELb1Eii21rocsparse_complex_numIdEEEv20rocsparse_operation_T3_S4_NS_24const_host_device_scalarIT4_EEPKT2_PKS4_PKS6_PS6_lPiSC_PS4_21rocsparse_index_base_20rocsparse_fill_mode_20rocsparse_diag_type_b, .Lfunc_end36-_ZN9rocsparseL5csrsmILj128ELj64ELb1Eii21rocsparse_complex_numIdEEEv20rocsparse_operation_T3_S4_NS_24const_host_device_scalarIT4_EEPKT2_PKS4_PKS6_PS6_lPiSC_PS4_21rocsparse_index_base_20rocsparse_fill_mode_20rocsparse_diag_type_b
                                        ; -- End function
	.section	.AMDGPU.csdata,"",@progbits
; Kernel info:
; codeLenInByte = 2524
; NumSgprs: 32
; NumVgprs: 28
; ScratchSize: 0
; MemoryBound: 0
; FloatMode: 240
; IeeeMode: 1
; LDSByteSize: 3584 bytes/workgroup (compile time only)
; SGPRBlocks: 3
; VGPRBlocks: 3
; NumSGPRsForWavesPerEU: 32
; NumVGPRsForWavesPerEU: 28
; Occupancy: 16
; WaveLimiterHint : 1
; COMPUTE_PGM_RSRC2:SCRATCH_EN: 0
; COMPUTE_PGM_RSRC2:USER_SGPR: 15
; COMPUTE_PGM_RSRC2:TRAP_HANDLER: 0
; COMPUTE_PGM_RSRC2:TGID_X_EN: 1
; COMPUTE_PGM_RSRC2:TGID_Y_EN: 0
; COMPUTE_PGM_RSRC2:TGID_Z_EN: 0
; COMPUTE_PGM_RSRC2:TIDIG_COMP_CNT: 2
	.section	.text._ZN9rocsparseL5csrsmILj128ELj64ELb0Eii21rocsparse_complex_numIdEEEv20rocsparse_operation_T3_S4_NS_24const_host_device_scalarIT4_EEPKT2_PKS4_PKS6_PS6_lPiSC_PS4_21rocsparse_index_base_20rocsparse_fill_mode_20rocsparse_diag_type_b,"axG",@progbits,_ZN9rocsparseL5csrsmILj128ELj64ELb0Eii21rocsparse_complex_numIdEEEv20rocsparse_operation_T3_S4_NS_24const_host_device_scalarIT4_EEPKT2_PKS4_PKS6_PS6_lPiSC_PS4_21rocsparse_index_base_20rocsparse_fill_mode_20rocsparse_diag_type_b,comdat
	.globl	_ZN9rocsparseL5csrsmILj128ELj64ELb0Eii21rocsparse_complex_numIdEEEv20rocsparse_operation_T3_S4_NS_24const_host_device_scalarIT4_EEPKT2_PKS4_PKS6_PS6_lPiSC_PS4_21rocsparse_index_base_20rocsparse_fill_mode_20rocsparse_diag_type_b ; -- Begin function _ZN9rocsparseL5csrsmILj128ELj64ELb0Eii21rocsparse_complex_numIdEEEv20rocsparse_operation_T3_S4_NS_24const_host_device_scalarIT4_EEPKT2_PKS4_PKS6_PS6_lPiSC_PS4_21rocsparse_index_base_20rocsparse_fill_mode_20rocsparse_diag_type_b
	.p2align	8
	.type	_ZN9rocsparseL5csrsmILj128ELj64ELb0Eii21rocsparse_complex_numIdEEEv20rocsparse_operation_T3_S4_NS_24const_host_device_scalarIT4_EEPKT2_PKS4_PKS6_PS6_lPiSC_PS4_21rocsparse_index_base_20rocsparse_fill_mode_20rocsparse_diag_type_b,@function
_ZN9rocsparseL5csrsmILj128ELj64ELb0Eii21rocsparse_complex_numIdEEEv20rocsparse_operation_T3_S4_NS_24const_host_device_scalarIT4_EEPKT2_PKS4_PKS6_PS6_lPiSC_PS4_21rocsparse_index_base_20rocsparse_fill_mode_20rocsparse_diag_type_b: ; @_ZN9rocsparseL5csrsmILj128ELj64ELb0Eii21rocsparse_complex_numIdEEEv20rocsparse_operation_T3_S4_NS_24const_host_device_scalarIT4_EEPKT2_PKS4_PKS6_PS6_lPiSC_PS4_21rocsparse_index_base_20rocsparse_fill_mode_20rocsparse_diag_type_b
; %bb.0:
	s_load_b64 s[0:1], s[0:1], 0x4
	s_load_b128 s[4:7], s[2:3], 0x60
	v_bfe_u32 v1, v0, 10, 10
	s_load_b128 s[8:11], s[2:3], 0x10
	v_and_b32_e32 v21, 0x3ff, v0
	v_bfe_u32 v0, v0, 20, 10
	s_mov_b64 s[12:13], src_shared_base
	s_waitcnt lgkmcnt(0)
	v_mul_u32_u24_e32 v1, s1, v1
	s_lshr_b32 s0, s0, 16
	s_delay_alu instid0(SALU_CYCLE_1)
	s_mul_i32 s0, s0, s1
	s_delay_alu instid0(VALU_DEP_1) | instid1(SALU_CYCLE_1)
	v_mad_u32_u24 v1, s0, v21, v1
	s_and_b32 s0, 1, s7
	s_delay_alu instid0(SALU_CYCLE_1)
	s_cmp_eq_u32 s0, 1
	s_load_b64 s[0:1], s[2:3], 0x20
	v_mov_b32_e32 v2, s8
	v_add_lshl_u32 v4, v1, v0, 3
	s_cselect_b32 vcc_lo, -1, 0
	v_dual_mov_b32 v3, s9 :: v_dual_mov_b32 v6, s10
	s_delay_alu instid0(VALU_DEP_2) | instskip(SKIP_4) | instid1(SALU_CYCLE_1)
	v_dual_mov_b32 v7, s11 :: v_dual_add_nc_u32 v0, 0xa00, v4
	ds_store_b64 v4, v[2:3] offset:2560
	v_cndmask_b32_e32 v0, s8, v0, vcc_lo
	s_and_b32 vcc_lo, vcc_lo, exec_lo
	s_cselect_b32 s7, s13, s9
	v_mov_b32_e32 v1, s7
	flat_load_b64 v[4:5], v[0:1]
	s_clause 0x1
	s_load_b64 s[12:13], s[2:3], 0x50
	s_load_b64 s[20:21], s[2:3], 0x38
	s_cbranch_vccnz .LBB37_2
; %bb.1:
	v_dual_mov_b32 v0, s8 :: v_dual_mov_b32 v1, s9
	flat_load_b64 v[6:7], v[0:1] offset:8
.LBB37_2:
	s_clause 0x1
	s_load_b128 s[8:11], s[2:3], 0x0
	s_load_b64 s[16:17], s[2:3], 0x40
	s_waitcnt lgkmcnt(0)
	v_cvt_f32_u32_e32 v0, s9
	s_sub_i32 s11, 0, s9
	s_delay_alu instid0(VALU_DEP_1) | instskip(SKIP_2) | instid1(VALU_DEP_1)
	v_rcp_iflag_f32_e32 v0, v0
	s_waitcnt_depctr 0xfff
	v_mul_f32_e32 v0, 0x4f7ffffe, v0
	v_cvt_u32_f32_e32 v0, v0
	s_delay_alu instid0(VALU_DEP_1) | instskip(NEXT) | instid1(VALU_DEP_1)
	v_readfirstlane_b32 s7, v0
	s_mul_i32 s11, s11, s7
	s_delay_alu instid0(SALU_CYCLE_1) | instskip(NEXT) | instid1(SALU_CYCLE_1)
	s_mul_hi_u32 s11, s7, s11
	s_add_i32 s7, s7, s11
	s_delay_alu instid0(SALU_CYCLE_1) | instskip(NEXT) | instid1(SALU_CYCLE_1)
	s_mul_hi_u32 s7, s15, s7
	s_mul_i32 s11, s7, s9
	s_add_i32 s14, s7, 1
	s_sub_i32 s11, s15, s11
	s_delay_alu instid0(SALU_CYCLE_1)
	s_sub_i32 s18, s11, s9
	s_cmp_ge_u32 s11, s9
	s_cselect_b32 s7, s14, s7
	s_cselect_b32 s11, s18, s11
	s_add_i32 s14, s7, 1
	s_cmp_ge_u32 s11, s9
	s_cselect_b32 s11, s14, s7
	s_delay_alu instid0(SALU_CYCLE_1) | instskip(SKIP_2) | instid1(SALU_CYCLE_1)
	s_mul_i32 s7, s11, s9
	v_lshl_or_b32 v8, s11, 7, v21
	s_sub_i32 s14, s15, s7
	s_ashr_i32 s15, s14, 31
	s_delay_alu instid0(VALU_DEP_1) | instskip(SKIP_1) | instid1(SALU_CYCLE_1)
	v_ashrrev_i32_e32 v9, 31, v8
	s_lshl_b64 s[14:15], s[14:15], 2
	s_add_u32 s12, s12, s14
	s_addc_u32 s13, s13, s15
	s_load_b32 s12, s[12:13], 0x0
	s_waitcnt lgkmcnt(0)
	s_ashr_i32 s13, s12, 31
	s_delay_alu instid0(SALU_CYCLE_1) | instskip(NEXT) | instid1(SALU_CYCLE_1)
	s_lshl_b64 s[14:15], s[12:13], 2
	s_add_u32 s0, s0, s14
	s_addc_u32 s1, s1, s15
	s_mul_i32 s14, s12, s16
	s_load_b64 s[22:23], s[0:1], 0x0
	s_mul_i32 s0, s12, s17
	s_mul_hi_u32 s1, s12, s16
	v_add_co_u32 v10, vcc_lo, s14, v8
	s_add_i32 s0, s1, s0
	s_mul_i32 s1, s13, s16
	s_delay_alu instid0(SALU_CYCLE_1)
	s_add_i32 s15, s0, s1
	v_cmp_gt_i32_e64 s0, s10, v8
	v_add_co_ci_u32_e32 v11, vcc_lo, s15, v9, vcc_lo
	s_cmpk_lg_i32 s8, 0x71
	s_cbranch_scc0 .LBB37_6
; %bb.3:
	v_mov_b32_e32 v2, 0
	v_mov_b32_e32 v3, 0
	s_delay_alu instid0(VALU_DEP_1)
	v_dual_mov_b32 v0, v2 :: v_dual_mov_b32 v1, v3
	s_and_saveexec_b32 s1, s0
	s_cbranch_execz .LBB37_5
; %bb.4:
	v_lshlrev_b64 v[0:1], 4, v[10:11]
	s_delay_alu instid0(VALU_DEP_1) | instskip(NEXT) | instid1(VALU_DEP_2)
	v_add_co_u32 v0, vcc_lo, s20, v0
	v_add_co_ci_u32_e32 v1, vcc_lo, s21, v1, vcc_lo
	global_load_b128 v[12:15], v[0:1], off
	s_waitcnt vmcnt(0)
	v_mul_f64 v[0:1], v[14:15], -v[6:7]
	v_mul_f64 v[2:3], v[4:5], v[14:15]
	s_delay_alu instid0(VALU_DEP_2) | instskip(NEXT) | instid1(VALU_DEP_2)
	v_fma_f64 v[0:1], v[4:5], v[12:13], v[0:1]
	v_fma_f64 v[2:3], v[6:7], v[12:13], v[2:3]
.LBB37_5:
	s_or_b32 exec_lo, exec_lo, s1
	s_load_b64 s[18:19], s[2:3], 0x48
	s_cbranch_execz .LBB37_7
	s_branch .LBB37_10
.LBB37_6:
                                        ; implicit-def: $vgpr2_vgpr3
	s_load_b64 s[18:19], s[2:3], 0x48
.LBB37_7:
	v_mov_b32_e32 v2, 0
	v_mov_b32_e32 v3, 0
	s_delay_alu instid0(VALU_DEP_1)
	v_dual_mov_b32 v0, v2 :: v_dual_mov_b32 v1, v3
	s_and_saveexec_b32 s1, s0
	s_cbranch_execz .LBB37_9
; %bb.8:
	v_lshlrev_b64 v[0:1], 4, v[10:11]
	s_delay_alu instid0(VALU_DEP_1) | instskip(NEXT) | instid1(VALU_DEP_2)
	v_add_co_u32 v0, vcc_lo, s20, v0
	v_add_co_ci_u32_e32 v1, vcc_lo, s21, v1, vcc_lo
	global_load_b128 v[10:13], v[0:1], off
	s_waitcnt vmcnt(0)
	v_mul_f64 v[0:1], v[6:7], v[12:13]
	v_mul_f64 v[2:3], v[4:5], -v[12:13]
	s_delay_alu instid0(VALU_DEP_2) | instskip(NEXT) | instid1(VALU_DEP_2)
	v_fma_f64 v[0:1], v[4:5], v[10:11], v[0:1]
	v_fma_f64 v[2:3], v[6:7], v[10:11], v[2:3]
.LBB37_9:
	s_or_b32 exec_lo, exec_lo, s1
.LBB37_10:
	s_waitcnt vmcnt(0)
	v_lshlrev_b64 v[4:5], 4, v[8:9]
	v_cmp_eq_u32_e64 s1, 0, v21
	s_waitcnt lgkmcnt(0)
	s_cmp_ge_i32 s22, s23
	s_delay_alu instid0(VALU_DEP_2) | instskip(NEXT) | instid1(VALU_DEP_3)
	v_add_co_u32 v22, vcc_lo, s20, v4
	v_add_co_ci_u32_e32 v23, vcc_lo, s21, v5, vcc_lo
	s_cbranch_scc1 .LBB37_52
; %bb.11:
	s_clause 0x1
	s_load_b64 s[20:21], s[2:3], 0x58
	s_load_b128 s[8:11], s[2:3], 0x28
	v_mov_b32_e32 v9, 0
	v_dual_mov_b32 v11, 0 :: v_dual_mov_b32 v8, 0
	s_sub_i32 s13, s22, s4
	s_sub_i32 s22, s23, s4
	v_lshl_or_b32 v24, v21, 2, 0x800
	v_dual_mov_b32 v10, 0 :: v_dual_lshlrev_b32 v25, 4, v21
	v_mov_b32_e32 v12, 0x3ff00000
	s_cmp_eq_u32 s6, 0
	s_mov_b32 s25, s13
	s_cselect_b32 s23, -1, 0
	s_add_i32 s24, s12, s4
	s_branch .LBB37_14
.LBB37_12:                              ;   in Loop: Header=BB37_14 Depth=1
	s_add_i32 s25, s25, 1
	s_delay_alu instid0(SALU_CYCLE_1)
	s_cmp_ge_i32 s25, s22
	s_cselect_b32 s2, -1, 0
.LBB37_13:                              ;   in Loop: Header=BB37_14 Depth=1
	s_delay_alu instid0(VALU_DEP_3) | instskip(NEXT) | instid1(VALU_DEP_4)
	v_dual_mov_b32 v2, v17 :: v_dual_mov_b32 v3, v18
	v_dual_mov_b32 v0, v19 :: v_dual_mov_b32 v1, v20
	s_delay_alu instid0(VALU_DEP_4) | instskip(NEXT) | instid1(VALU_DEP_4)
	v_dual_mov_b32 v9, v13 :: v_dual_mov_b32 v10, v14
	v_dual_mov_b32 v11, v15 :: v_dual_mov_b32 v12, v16
	s_and_not1_b32 vcc_lo, exec_lo, s2
	s_cbranch_vccz .LBB37_53
.LBB37_14:                              ; =>This Loop Header: Depth=1
                                        ;     Child Loop BB37_43 Depth 2
	s_sub_i32 s2, s25, s13
	s_delay_alu instid0(SALU_CYCLE_1) | instskip(NEXT) | instid1(SALU_CYCLE_1)
	s_and_b32 s3, s2, 0x7f
	s_cmp_lg_u32 s3, 0
	s_cbranch_scc1 .LBB37_18
; %bb.15:                               ;   in Loop: Header=BB37_14 Depth=1
	s_sub_i32 s2, s22, s25
	v_mov_b32_e32 v6, 0
	v_dual_mov_b32 v7, 0 :: v_dual_mov_b32 v4, 0
	v_cmp_gt_u32_e32 vcc_lo, s2, v21
	v_mov_b32_e32 v5, 0xbff00000
	v_mov_b32_e32 v13, -1
	s_and_saveexec_b32 s2, vcc_lo
	s_cbranch_execz .LBB37_17
; %bb.16:                               ;   in Loop: Header=BB37_14 Depth=1
	v_add_nc_u32_e32 v7, s25, v21
	s_delay_alu instid0(VALU_DEP_1) | instskip(SKIP_2) | instid1(VALU_DEP_2)
	v_lshlrev_b64 v[4:5], 2, v[7:8]
	v_lshlrev_b64 v[6:7], 4, v[7:8]
	s_waitcnt lgkmcnt(0)
	v_add_co_u32 v4, vcc_lo, s8, v4
	s_delay_alu instid0(VALU_DEP_3)
	v_add_co_ci_u32_e32 v5, vcc_lo, s9, v5, vcc_lo
	global_load_b32 v13, v[4:5], off
	v_add_co_u32 v4, vcc_lo, s10, v6
	v_add_co_ci_u32_e32 v5, vcc_lo, s11, v7, vcc_lo
	global_load_b128 v[4:7], v[4:5], off
	s_waitcnt vmcnt(1)
	v_subrev_nc_u32_e32 v13, s4, v13
.LBB37_17:                              ;   in Loop: Header=BB37_14 Depth=1
	s_or_b32 exec_lo, exec_lo, s2
	ds_store_b32 v24, v13
	s_waitcnt vmcnt(0)
	ds_store_b128 v25, v[4:7]
.LBB37_18:                              ;   in Loop: Header=BB37_14 Depth=1
	s_lshl_b32 s2, s3, 4
	s_waitcnt lgkmcnt(0)
	v_mov_b32_e32 v4, s2
	s_waitcnt_vscnt null, 0x0
	s_barrier
	buffer_gl0_inv
	s_lshl_b32 s3, s3, 2
	ds_load_b128 v[13:16], v4
	v_mov_b32_e32 v4, s3
	ds_load_b32 v4, v4 offset:2048
	s_waitcnt lgkmcnt(1)
	v_cmp_eq_f64_e32 vcc_lo, 0, v[13:14]
	v_cmp_eq_f64_e64 s2, 0, v[15:16]
	s_waitcnt lgkmcnt(0)
	v_readfirstlane_b32 s26, v4
	v_cmp_ne_u32_e64 s3, s12, v4
	s_delay_alu instid0(VALU_DEP_3) | instskip(NEXT) | instid1(VALU_DEP_2)
	s_and_b32 s2, vcc_lo, s2
	s_cmp_eq_u32 s26, s12
	s_cselect_b32 s28, -1, 0
	s_delay_alu instid0(SALU_CYCLE_1) | instskip(NEXT) | instid1(SALU_CYCLE_1)
	s_and_b32 s2, s2, s28
	s_and_b32 s2, s23, s2
	s_delay_alu instid0(SALU_CYCLE_1) | instskip(SKIP_4) | instid1(SALU_CYCLE_1)
	v_cndmask_b32_e64 v5, v16, 0, s2
	v_cndmask_b32_e64 v4, v15, 0, s2
	;; [unrolled: 1-line block ×4, first 2 shown]
	s_and_b32 s27, s1, s2
	s_and_saveexec_b32 s2, s27
	s_cbranch_execz .LBB37_22
; %bb.19:                               ;   in Loop: Header=BB37_14 Depth=1
	v_mbcnt_lo_u32_b32 v4, exec_lo, 0
	s_mov_b32 s27, exec_lo
	s_delay_alu instid0(VALU_DEP_1)
	v_cmpx_eq_u32_e32 0, v4
	s_cbranch_execz .LBB37_21
; %bb.20:                               ;   in Loop: Header=BB37_14 Depth=1
	v_mov_b32_e32 v4, s24
	global_atomic_min_i32 v8, v4, s[20:21]
.LBB37_21:                              ;   in Loop: Header=BB37_14 Depth=1
	s_or_b32 exec_lo, exec_lo, s27
	v_mov_b32_e32 v4, 0
	v_dual_mov_b32 v5, 0 :: v_dual_mov_b32 v6, 0
	v_mov_b32_e32 v7, 0x3ff00000
.LBB37_22:                              ;   in Loop: Header=BB37_14 Depth=1
	s_or_b32 exec_lo, exec_lo, s2
	s_cmp_lt_i32 s5, 1
	s_mov_b32 s2, 0
	s_cbranch_scc1 .LBB37_28
; %bb.23:                               ;   in Loop: Header=BB37_14 Depth=1
	s_cmp_eq_u32 s5, 1
	s_cbranch_scc0 .LBB37_29
; %bb.24:                               ;   in Loop: Header=BB37_14 Depth=1
	v_dual_mov_b32 v14, v10 :: v_dual_mov_b32 v13, v9
	v_dual_mov_b32 v16, v12 :: v_dual_mov_b32 v15, v11
	s_cmp_ge_i32 s26, s12
	s_mov_b32 s27, 0
	s_cbranch_scc0 .LBB37_31
; %bb.25:                               ;   in Loop: Header=BB37_14 Depth=1
	s_and_b32 vcc_lo, exec_lo, s28
	s_cbranch_vccz .LBB37_30
; %bb.26:                               ;   in Loop: Header=BB37_14 Depth=1
	v_dual_mov_b32 v14, v10 :: v_dual_mov_b32 v13, v9
	v_dual_mov_b32 v16, v12 :: v_dual_mov_b32 v15, v11
	s_and_not1_b32 vcc_lo, exec_lo, s23
	s_cbranch_vccnz .LBB37_31
; %bb.27:                               ;   in Loop: Header=BB37_14 Depth=1
	v_mul_f64 v[13:14], v[4:5], v[4:5]
	s_delay_alu instid0(VALU_DEP_1) | instskip(NEXT) | instid1(VALU_DEP_1)
	v_fma_f64 v[13:14], v[6:7], v[6:7], v[13:14]
	v_div_scale_f64 v[15:16], null, v[13:14], v[13:14], 1.0
	v_div_scale_f64 v[26:27], vcc_lo, 1.0, v[13:14], 1.0
	s_delay_alu instid0(VALU_DEP_2) | instskip(SKIP_2) | instid1(VALU_DEP_1)
	v_rcp_f64_e32 v[17:18], v[15:16]
	s_waitcnt_depctr 0xfff
	v_fma_f64 v[19:20], -v[15:16], v[17:18], 1.0
	v_fma_f64 v[17:18], v[17:18], v[19:20], v[17:18]
	s_delay_alu instid0(VALU_DEP_1) | instskip(NEXT) | instid1(VALU_DEP_1)
	v_fma_f64 v[19:20], -v[15:16], v[17:18], 1.0
	v_fma_f64 v[17:18], v[17:18], v[19:20], v[17:18]
	s_delay_alu instid0(VALU_DEP_1) | instskip(NEXT) | instid1(VALU_DEP_1)
	v_mul_f64 v[19:20], v[26:27], v[17:18]
	v_fma_f64 v[15:16], -v[15:16], v[19:20], v[26:27]
	s_delay_alu instid0(VALU_DEP_1) | instskip(SKIP_2) | instid1(VALU_DEP_3)
	v_div_fmas_f64 v[15:16], v[15:16], v[17:18], v[19:20]
	v_fma_f64 v[17:18], v[4:5], 0, v[6:7]
	v_fma_f64 v[19:20], v[6:7], 0, -v[4:5]
	v_div_fixup_f64 v[13:14], v[15:16], v[13:14], 1.0
	s_delay_alu instid0(VALU_DEP_1) | instskip(NEXT) | instid1(VALU_DEP_3)
	v_mul_f64 v[15:16], v[17:18], v[13:14]
	v_mul_f64 v[13:14], v[19:20], v[13:14]
	s_branch .LBB37_31
.LBB37_28:                              ;   in Loop: Header=BB37_14 Depth=1
	s_mov_b32 s27, 0
                                        ; implicit-def: $sgpr28
                                        ; implicit-def: $vgpr17_vgpr18
                                        ; implicit-def: $vgpr19_vgpr20
                                        ; implicit-def: $vgpr13_vgpr14
                                        ; implicit-def: $vgpr15_vgpr16
	s_cbranch_execnz .LBB37_32
	s_branch .LBB37_34
.LBB37_29:                              ;   in Loop: Header=BB37_14 Depth=1
	s_mov_b32 s27, -1
                                        ; implicit-def: $sgpr28
                                        ; implicit-def: $vgpr17_vgpr18
                                        ; implicit-def: $vgpr19_vgpr20
                                        ; implicit-def: $vgpr13_vgpr14
                                        ; implicit-def: $vgpr15_vgpr16
	s_branch .LBB37_34
.LBB37_30:                              ;   in Loop: Header=BB37_14 Depth=1
	s_mov_b32 s27, -1
                                        ; implicit-def: $vgpr13_vgpr14
                                        ; implicit-def: $vgpr15_vgpr16
.LBB37_31:                              ;   in Loop: Header=BB37_14 Depth=1
	v_dual_mov_b32 v18, v3 :: v_dual_mov_b32 v17, v2
	v_dual_mov_b32 v20, v1 :: v_dual_mov_b32 v19, v0
	s_mov_b32 s28, 4
	s_branch .LBB37_34
.LBB37_32:                              ;   in Loop: Header=BB37_14 Depth=1
	s_cmp_eq_u32 s5, 0
	s_cbranch_scc1 .LBB37_38
; %bb.33:                               ;   in Loop: Header=BB37_14 Depth=1
	s_mov_b32 s27, -1
                                        ; implicit-def: $sgpr28
                                        ; implicit-def: $vgpr17_vgpr18
                                        ; implicit-def: $vgpr19_vgpr20
                                        ; implicit-def: $vgpr13_vgpr14
                                        ; implicit-def: $vgpr15_vgpr16
.LBB37_34:                              ;   in Loop: Header=BB37_14 Depth=1
	s_delay_alu instid0(SALU_CYCLE_1)
	s_and_b32 vcc_lo, exec_lo, s27
	s_cbranch_vccnz .LBB37_41
.LBB37_35:                              ;   in Loop: Header=BB37_14 Depth=1
	s_and_b32 vcc_lo, exec_lo, s2
	s_cbranch_vccnz .LBB37_47
.LBB37_36:                              ;   in Loop: Header=BB37_14 Depth=1
	s_cmp_gt_i32 s28, 3
	s_mov_b32 s2, -1
	s_cbranch_scc1 .LBB37_50
.LBB37_37:                              ;   in Loop: Header=BB37_14 Depth=1
	s_cmp_eq_u32 s28, 0
	s_cselect_b32 s3, -1, 0
	s_delay_alu instid0(SALU_CYCLE_1)
	s_and_not1_b32 vcc_lo, exec_lo, s3
	s_cbranch_vccz .LBB37_12
	s_branch .LBB37_51
.LBB37_38:                              ;   in Loop: Header=BB37_14 Depth=1
	s_cmp_le_i32 s26, s12
	s_mov_b32 s27, 0
	s_cbranch_scc0 .LBB37_40
; %bb.39:                               ;   in Loop: Header=BB37_14 Depth=1
	s_mov_b32 s2, -1
	s_mov_b32 s27, s3
.LBB37_40:                              ;   in Loop: Header=BB37_14 Depth=1
	v_dual_mov_b32 v18, v3 :: v_dual_mov_b32 v17, v2
	v_dual_mov_b32 v20, v1 :: v_dual_mov_b32 v19, v0
	;; [unrolled: 1-line block ×4, first 2 shown]
	s_mov_b32 s28, 2
	s_and_b32 vcc_lo, exec_lo, s27
	s_cbranch_vccz .LBB37_35
.LBB37_41:                              ;   in Loop: Header=BB37_14 Depth=1
	s_and_saveexec_b32 s27, s1
	s_cbranch_execz .LBB37_44
; %bb.42:                               ;   in Loop: Header=BB37_14 Depth=1
	s_add_i32 s2, s26, s7
	s_delay_alu instid0(SALU_CYCLE_1) | instskip(NEXT) | instid1(SALU_CYCLE_1)
	s_ashr_i32 s3, s2, 31
	s_lshl_b64 s[2:3], s[2:3], 2
	s_delay_alu instid0(SALU_CYCLE_1)
	s_add_u32 s2, s18, s2
	s_addc_u32 s3, s19, s3
	global_load_b32 v13, v8, s[2:3] glc
	s_waitcnt vmcnt(0)
	v_cmp_ne_u32_e32 vcc_lo, 0, v13
	s_cbranch_vccnz .LBB37_44
.LBB37_43:                              ;   Parent Loop BB37_14 Depth=1
                                        ; =>  This Inner Loop Header: Depth=2
	global_load_b32 v13, v8, s[2:3] glc
	s_waitcnt vmcnt(0)
	v_cmp_eq_u32_e32 vcc_lo, 0, v13
	s_cbranch_vccnz .LBB37_43
.LBB37_44:                              ;   in Loop: Header=BB37_14 Depth=1
	s_or_b32 exec_lo, exec_lo, s27
	v_mov_b32_e32 v17, 0
	v_mov_b32_e32 v18, 0
	s_waitcnt_vscnt null, 0x0
	s_barrier
	buffer_gl0_inv
	buffer_gl1_inv
	buffer_gl0_inv
	v_dual_mov_b32 v20, v18 :: v_dual_mov_b32 v19, v17
	s_and_saveexec_b32 s2, s0
	s_cbranch_execz .LBB37_46
; %bb.45:                               ;   in Loop: Header=BB37_14 Depth=1
	s_mul_i32 s3, s26, s17
	s_mul_hi_u32 s27, s26, s16
	s_ashr_i32 s28, s26, 31
	s_add_i32 s3, s27, s3
	s_mul_i32 s28, s28, s16
	s_mul_i32 s26, s26, s16
	s_add_i32 s27, s3, s28
	s_delay_alu instid0(SALU_CYCLE_1) | instskip(NEXT) | instid1(SALU_CYCLE_1)
	s_lshl_b64 s[26:27], s[26:27], 4
	v_add_co_u32 v13, vcc_lo, v22, s26
	v_add_co_ci_u32_e32 v14, vcc_lo, s27, v23, vcc_lo
	global_load_b128 v[13:16], v[13:14], off
	s_waitcnt vmcnt(0)
	v_fma_f64 v[17:18], -v[6:7], v[13:14], v[0:1]
	v_fma_f64 v[13:14], -v[4:5], v[13:14], v[2:3]
	s_delay_alu instid0(VALU_DEP_2) | instskip(NEXT) | instid1(VALU_DEP_2)
	v_fma_f64 v[19:20], v[4:5], v[15:16], v[17:18]
	v_fma_f64 v[17:18], -v[6:7], v[15:16], v[13:14]
.LBB37_46:                              ;   in Loop: Header=BB37_14 Depth=1
	s_or_b32 exec_lo, exec_lo, s2
	v_dual_mov_b32 v14, v10 :: v_dual_mov_b32 v13, v9
	v_dual_mov_b32 v16, v12 :: v_dual_mov_b32 v15, v11
	s_mov_b32 s28, 0
	s_branch .LBB37_36
.LBB37_47:                              ;   in Loop: Header=BB37_14 Depth=1
	s_and_not1_b32 vcc_lo, exec_lo, s23
	s_cbranch_vccnz .LBB37_49
; %bb.48:                               ;   in Loop: Header=BB37_14 Depth=1
	v_mul_f64 v[9:10], v[4:5], v[4:5]
	s_delay_alu instid0(VALU_DEP_1) | instskip(NEXT) | instid1(VALU_DEP_1)
	v_fma_f64 v[9:10], v[6:7], v[6:7], v[9:10]
	v_div_scale_f64 v[11:12], null, v[9:10], v[9:10], 1.0
	v_div_scale_f64 v[17:18], vcc_lo, 1.0, v[9:10], 1.0
	s_delay_alu instid0(VALU_DEP_2) | instskip(SKIP_2) | instid1(VALU_DEP_1)
	v_rcp_f64_e32 v[13:14], v[11:12]
	s_waitcnt_depctr 0xfff
	v_fma_f64 v[15:16], -v[11:12], v[13:14], 1.0
	v_fma_f64 v[13:14], v[13:14], v[15:16], v[13:14]
	s_delay_alu instid0(VALU_DEP_1) | instskip(NEXT) | instid1(VALU_DEP_1)
	v_fma_f64 v[15:16], -v[11:12], v[13:14], 1.0
	v_fma_f64 v[13:14], v[13:14], v[15:16], v[13:14]
	s_delay_alu instid0(VALU_DEP_1) | instskip(NEXT) | instid1(VALU_DEP_1)
	v_mul_f64 v[15:16], v[17:18], v[13:14]
	v_fma_f64 v[11:12], -v[11:12], v[15:16], v[17:18]
	s_delay_alu instid0(VALU_DEP_1) | instskip(SKIP_2) | instid1(VALU_DEP_3)
	v_div_fmas_f64 v[11:12], v[11:12], v[13:14], v[15:16]
	v_fma_f64 v[13:14], v[4:5], 0, v[6:7]
	v_fma_f64 v[4:5], v[6:7], 0, -v[4:5]
	v_div_fixup_f64 v[9:10], v[11:12], v[9:10], 1.0
	s_delay_alu instid0(VALU_DEP_1) | instskip(NEXT) | instid1(VALU_DEP_3)
	v_mul_f64 v[11:12], v[13:14], v[9:10]
	v_mul_f64 v[9:10], v[4:5], v[9:10]
.LBB37_49:                              ;   in Loop: Header=BB37_14 Depth=1
	s_delay_alu instid0(VALU_DEP_2) | instskip(NEXT) | instid1(VALU_DEP_2)
	v_dual_mov_b32 v16, v12 :: v_dual_mov_b32 v15, v11
	v_dual_mov_b32 v14, v10 :: v_dual_mov_b32 v13, v9
	;; [unrolled: 1-line block ×4, first 2 shown]
	s_mov_b32 s28, 2
	s_delay_alu instid0(SALU_CYCLE_1)
	s_cmp_gt_i32 s28, 3
	s_mov_b32 s2, -1
	s_cbranch_scc0 .LBB37_37
.LBB37_50:                              ;   in Loop: Header=BB37_14 Depth=1
	s_branch .LBB37_12
.LBB37_51:                              ;   in Loop: Header=BB37_14 Depth=1
                                        ; implicit-def: $sgpr25
	s_branch .LBB37_13
.LBB37_52:
	v_mov_b32_e32 v13, 0
	v_dual_mov_b32 v14, 0 :: v_dual_mov_b32 v15, 0
	v_mov_b32_e32 v16, 0x3ff00000
	s_cmp_lg_u32 s6, 0
	s_cbranch_scc1 .LBB37_55
	s_branch .LBB37_54
.LBB37_53:
	v_dual_mov_b32 v2, v17 :: v_dual_mov_b32 v3, v18
	v_dual_mov_b32 v0, v19 :: v_dual_mov_b32 v1, v20
	s_cmp_lg_u32 s6, 0
	s_cbranch_scc1 .LBB37_55
.LBB37_54:
	s_delay_alu instid0(VALU_DEP_2) | instskip(NEXT) | instid1(VALU_DEP_2)
	v_mul_f64 v[4:5], v[13:14], -v[2:3]
	v_mul_f64 v[6:7], v[13:14], v[0:1]
	s_delay_alu instid0(VALU_DEP_2) | instskip(NEXT) | instid1(VALU_DEP_2)
	v_fma_f64 v[0:1], v[0:1], v[15:16], v[4:5]
	v_fma_f64 v[2:3], v[2:3], v[15:16], v[6:7]
.LBB37_55:
	s_and_saveexec_b32 s1, s0
	s_cbranch_execz .LBB37_57
; %bb.56:
	s_lshl_b64 s[2:3], s[14:15], 4
	s_delay_alu instid0(SALU_CYCLE_1)
	v_add_co_u32 v4, vcc_lo, v22, s2
	v_add_co_ci_u32_e32 v5, vcc_lo, s3, v23, vcc_lo
	global_store_b128 v[4:5], v[0:3], off
.LBB37_57:
	s_or_b32 exec_lo, exec_lo, s1
	s_waitcnt_vscnt null, 0x0
	buffer_gl1_inv
	buffer_gl0_inv
	s_barrier
	buffer_gl0_inv
	s_mov_b32 s0, exec_lo
	v_cmpx_eq_u32_e32 0, v21
	s_cbranch_execz .LBB37_59
; %bb.58:
	s_add_i32 s0, s12, s7
	v_dual_mov_b32 v0, 0 :: v_dual_mov_b32 v1, 1
	s_ashr_i32 s1, s0, 31
	s_delay_alu instid0(SALU_CYCLE_1) | instskip(NEXT) | instid1(SALU_CYCLE_1)
	s_lshl_b64 s[0:1], s[0:1], 2
	s_add_u32 s0, s18, s0
	s_addc_u32 s1, s19, s1
	global_store_b32 v0, v1, s[0:1]
.LBB37_59:
	s_nop 0
	s_sendmsg sendmsg(MSG_DEALLOC_VGPRS)
	s_endpgm
	.section	.rodata,"a",@progbits
	.p2align	6, 0x0
	.amdhsa_kernel _ZN9rocsparseL5csrsmILj128ELj64ELb0Eii21rocsparse_complex_numIdEEEv20rocsparse_operation_T3_S4_NS_24const_host_device_scalarIT4_EEPKT2_PKS4_PKS6_PS6_lPiSC_PS4_21rocsparse_index_base_20rocsparse_fill_mode_20rocsparse_diag_type_b
		.amdhsa_group_segment_fixed_size 3584
		.amdhsa_private_segment_fixed_size 0
		.amdhsa_kernarg_size 112
		.amdhsa_user_sgpr_count 15
		.amdhsa_user_sgpr_dispatch_ptr 1
		.amdhsa_user_sgpr_queue_ptr 0
		.amdhsa_user_sgpr_kernarg_segment_ptr 1
		.amdhsa_user_sgpr_dispatch_id 0
		.amdhsa_user_sgpr_private_segment_size 0
		.amdhsa_wavefront_size32 1
		.amdhsa_uses_dynamic_stack 0
		.amdhsa_enable_private_segment 0
		.amdhsa_system_sgpr_workgroup_id_x 1
		.amdhsa_system_sgpr_workgroup_id_y 0
		.amdhsa_system_sgpr_workgroup_id_z 0
		.amdhsa_system_sgpr_workgroup_info 0
		.amdhsa_system_vgpr_workitem_id 2
		.amdhsa_next_free_vgpr 28
		.amdhsa_next_free_sgpr 29
		.amdhsa_reserve_vcc 1
		.amdhsa_float_round_mode_32 0
		.amdhsa_float_round_mode_16_64 0
		.amdhsa_float_denorm_mode_32 3
		.amdhsa_float_denorm_mode_16_64 3
		.amdhsa_dx10_clamp 1
		.amdhsa_ieee_mode 1
		.amdhsa_fp16_overflow 0
		.amdhsa_workgroup_processor_mode 1
		.amdhsa_memory_ordered 1
		.amdhsa_forward_progress 0
		.amdhsa_shared_vgpr_count 0
		.amdhsa_exception_fp_ieee_invalid_op 0
		.amdhsa_exception_fp_denorm_src 0
		.amdhsa_exception_fp_ieee_div_zero 0
		.amdhsa_exception_fp_ieee_overflow 0
		.amdhsa_exception_fp_ieee_underflow 0
		.amdhsa_exception_fp_ieee_inexact 0
		.amdhsa_exception_int_div_zero 0
	.end_amdhsa_kernel
	.section	.text._ZN9rocsparseL5csrsmILj128ELj64ELb0Eii21rocsparse_complex_numIdEEEv20rocsparse_operation_T3_S4_NS_24const_host_device_scalarIT4_EEPKT2_PKS4_PKS6_PS6_lPiSC_PS4_21rocsparse_index_base_20rocsparse_fill_mode_20rocsparse_diag_type_b,"axG",@progbits,_ZN9rocsparseL5csrsmILj128ELj64ELb0Eii21rocsparse_complex_numIdEEEv20rocsparse_operation_T3_S4_NS_24const_host_device_scalarIT4_EEPKT2_PKS4_PKS6_PS6_lPiSC_PS4_21rocsparse_index_base_20rocsparse_fill_mode_20rocsparse_diag_type_b,comdat
.Lfunc_end37:
	.size	_ZN9rocsparseL5csrsmILj128ELj64ELb0Eii21rocsparse_complex_numIdEEEv20rocsparse_operation_T3_S4_NS_24const_host_device_scalarIT4_EEPKT2_PKS4_PKS6_PS6_lPiSC_PS4_21rocsparse_index_base_20rocsparse_fill_mode_20rocsparse_diag_type_b, .Lfunc_end37-_ZN9rocsparseL5csrsmILj128ELj64ELb0Eii21rocsparse_complex_numIdEEEv20rocsparse_operation_T3_S4_NS_24const_host_device_scalarIT4_EEPKT2_PKS4_PKS6_PS6_lPiSC_PS4_21rocsparse_index_base_20rocsparse_fill_mode_20rocsparse_diag_type_b
                                        ; -- End function
	.section	.AMDGPU.csdata,"",@progbits
; Kernel info:
; codeLenInByte = 2464
; NumSgprs: 31
; NumVgprs: 28
; ScratchSize: 0
; MemoryBound: 0
; FloatMode: 240
; IeeeMode: 1
; LDSByteSize: 3584 bytes/workgroup (compile time only)
; SGPRBlocks: 3
; VGPRBlocks: 3
; NumSGPRsForWavesPerEU: 31
; NumVGPRsForWavesPerEU: 28
; Occupancy: 16
; WaveLimiterHint : 1
; COMPUTE_PGM_RSRC2:SCRATCH_EN: 0
; COMPUTE_PGM_RSRC2:USER_SGPR: 15
; COMPUTE_PGM_RSRC2:TRAP_HANDLER: 0
; COMPUTE_PGM_RSRC2:TGID_X_EN: 1
; COMPUTE_PGM_RSRC2:TGID_Y_EN: 0
; COMPUTE_PGM_RSRC2:TGID_Z_EN: 0
; COMPUTE_PGM_RSRC2:TIDIG_COMP_CNT: 2
	.section	.text._ZN9rocsparseL5csrsmILj256ELj64ELb1Eii21rocsparse_complex_numIdEEEv20rocsparse_operation_T3_S4_NS_24const_host_device_scalarIT4_EEPKT2_PKS4_PKS6_PS6_lPiSC_PS4_21rocsparse_index_base_20rocsparse_fill_mode_20rocsparse_diag_type_b,"axG",@progbits,_ZN9rocsparseL5csrsmILj256ELj64ELb1Eii21rocsparse_complex_numIdEEEv20rocsparse_operation_T3_S4_NS_24const_host_device_scalarIT4_EEPKT2_PKS4_PKS6_PS6_lPiSC_PS4_21rocsparse_index_base_20rocsparse_fill_mode_20rocsparse_diag_type_b,comdat
	.globl	_ZN9rocsparseL5csrsmILj256ELj64ELb1Eii21rocsparse_complex_numIdEEEv20rocsparse_operation_T3_S4_NS_24const_host_device_scalarIT4_EEPKT2_PKS4_PKS6_PS6_lPiSC_PS4_21rocsparse_index_base_20rocsparse_fill_mode_20rocsparse_diag_type_b ; -- Begin function _ZN9rocsparseL5csrsmILj256ELj64ELb1Eii21rocsparse_complex_numIdEEEv20rocsparse_operation_T3_S4_NS_24const_host_device_scalarIT4_EEPKT2_PKS4_PKS6_PS6_lPiSC_PS4_21rocsparse_index_base_20rocsparse_fill_mode_20rocsparse_diag_type_b
	.p2align	8
	.type	_ZN9rocsparseL5csrsmILj256ELj64ELb1Eii21rocsparse_complex_numIdEEEv20rocsparse_operation_T3_S4_NS_24const_host_device_scalarIT4_EEPKT2_PKS4_PKS6_PS6_lPiSC_PS4_21rocsparse_index_base_20rocsparse_fill_mode_20rocsparse_diag_type_b,@function
_ZN9rocsparseL5csrsmILj256ELj64ELb1Eii21rocsparse_complex_numIdEEEv20rocsparse_operation_T3_S4_NS_24const_host_device_scalarIT4_EEPKT2_PKS4_PKS6_PS6_lPiSC_PS4_21rocsparse_index_base_20rocsparse_fill_mode_20rocsparse_diag_type_b: ; @_ZN9rocsparseL5csrsmILj256ELj64ELb1Eii21rocsparse_complex_numIdEEEv20rocsparse_operation_T3_S4_NS_24const_host_device_scalarIT4_EEPKT2_PKS4_PKS6_PS6_lPiSC_PS4_21rocsparse_index_base_20rocsparse_fill_mode_20rocsparse_diag_type_b
; %bb.0:
	s_load_b64 s[0:1], s[0:1], 0x4
	s_load_b128 s[8:11], s[2:3], 0x10
	v_and_b32_e32 v21, 0x3ff, v0
	s_load_b128 s[4:7], s[2:3], 0x60
	v_bfe_u32 v2, v0, 10, 10
	v_bfe_u32 v0, v0, 20, 10
	s_mov_b64 s[12:13], src_shared_base
	s_waitcnt lgkmcnt(0)
	s_lshr_b32 s0, s0, 16
	s_delay_alu instid0(SALU_CYCLE_1) | instskip(NEXT) | instid1(SALU_CYCLE_1)
	s_mul_i32 s0, s0, s1
	v_mul_lo_u32 v1, s0, v21
	s_and_b32 s0, 1, s7
	s_delay_alu instid0(SALU_CYCLE_1) | instskip(SKIP_1) | instid1(VALU_DEP_1)
	s_cmp_eq_u32 s0, 1
	s_cselect_b32 vcc_lo, -1, 0
	v_mad_u32_u24 v1, v2, s1, v1
	s_load_b64 s[0:1], s[2:3], 0x20
	v_dual_mov_b32 v2, s8 :: v_dual_mov_b32 v3, s9
	v_mov_b32_e32 v6, s10
	s_delay_alu instid0(VALU_DEP_3) | instskip(NEXT) | instid1(VALU_DEP_1)
	v_add_lshl_u32 v4, v1, v0, 3
	v_dual_mov_b32 v7, s11 :: v_dual_add_nc_u32 v0, 0x1400, v4
	ds_store_b64 v4, v[2:3] offset:5120
	v_cndmask_b32_e32 v0, s8, v0, vcc_lo
	s_and_b32 vcc_lo, vcc_lo, exec_lo
	s_cselect_b32 s7, s13, s9
	s_delay_alu instid0(SALU_CYCLE_1)
	v_mov_b32_e32 v1, s7
	flat_load_b64 v[4:5], v[0:1]
	s_clause 0x1
	s_load_b64 s[12:13], s[2:3], 0x50
	s_load_b64 s[20:21], s[2:3], 0x38
	s_cbranch_vccnz .LBB38_2
; %bb.1:
	v_dual_mov_b32 v0, s8 :: v_dual_mov_b32 v1, s9
	flat_load_b64 v[6:7], v[0:1] offset:8
.LBB38_2:
	s_clause 0x1
	s_load_b128 s[8:11], s[2:3], 0x0
	s_load_b64 s[16:17], s[2:3], 0x40
	s_waitcnt lgkmcnt(0)
	v_cvt_f32_u32_e32 v0, s9
	s_sub_i32 s11, 0, s9
	s_delay_alu instid0(VALU_DEP_1) | instskip(SKIP_2) | instid1(VALU_DEP_1)
	v_rcp_iflag_f32_e32 v0, v0
	s_waitcnt_depctr 0xfff
	v_mul_f32_e32 v0, 0x4f7ffffe, v0
	v_cvt_u32_f32_e32 v0, v0
	s_delay_alu instid0(VALU_DEP_1) | instskip(NEXT) | instid1(VALU_DEP_1)
	v_readfirstlane_b32 s7, v0
	s_mul_i32 s11, s11, s7
	s_delay_alu instid0(SALU_CYCLE_1) | instskip(NEXT) | instid1(SALU_CYCLE_1)
	s_mul_hi_u32 s11, s7, s11
	s_add_i32 s7, s7, s11
	s_delay_alu instid0(SALU_CYCLE_1) | instskip(NEXT) | instid1(SALU_CYCLE_1)
	s_mul_hi_u32 s7, s15, s7
	s_mul_i32 s11, s7, s9
	s_add_i32 s14, s7, 1
	s_sub_i32 s11, s15, s11
	s_delay_alu instid0(SALU_CYCLE_1)
	s_sub_i32 s18, s11, s9
	s_cmp_ge_u32 s11, s9
	s_cselect_b32 s7, s14, s7
	s_cselect_b32 s11, s18, s11
	s_add_i32 s14, s7, 1
	s_cmp_ge_u32 s11, s9
	s_cselect_b32 s11, s14, s7
	s_delay_alu instid0(SALU_CYCLE_1) | instskip(SKIP_2) | instid1(SALU_CYCLE_1)
	s_mul_i32 s7, s11, s9
	v_lshl_or_b32 v8, s11, 8, v21
	s_sub_i32 s14, s15, s7
	s_ashr_i32 s15, s14, 31
	s_delay_alu instid0(VALU_DEP_1) | instskip(SKIP_1) | instid1(SALU_CYCLE_1)
	v_ashrrev_i32_e32 v9, 31, v8
	s_lshl_b64 s[14:15], s[14:15], 2
	s_add_u32 s12, s12, s14
	s_addc_u32 s13, s13, s15
	s_load_b32 s12, s[12:13], 0x0
	s_waitcnt lgkmcnt(0)
	s_ashr_i32 s13, s12, 31
	s_delay_alu instid0(SALU_CYCLE_1) | instskip(NEXT) | instid1(SALU_CYCLE_1)
	s_lshl_b64 s[14:15], s[12:13], 2
	s_add_u32 s0, s0, s14
	s_addc_u32 s1, s1, s15
	s_mul_i32 s14, s12, s16
	s_load_b64 s[22:23], s[0:1], 0x0
	s_mul_i32 s0, s12, s17
	s_mul_hi_u32 s1, s12, s16
	v_add_co_u32 v10, vcc_lo, s14, v8
	s_add_i32 s0, s1, s0
	s_mul_i32 s1, s13, s16
	s_delay_alu instid0(SALU_CYCLE_1)
	s_add_i32 s15, s0, s1
	v_cmp_gt_i32_e64 s0, s10, v8
	v_add_co_ci_u32_e32 v11, vcc_lo, s15, v9, vcc_lo
	s_cmpk_lg_i32 s8, 0x71
	s_cbranch_scc0 .LBB38_6
; %bb.3:
	v_mov_b32_e32 v2, 0
	v_mov_b32_e32 v3, 0
	s_delay_alu instid0(VALU_DEP_1)
	v_dual_mov_b32 v0, v2 :: v_dual_mov_b32 v1, v3
	s_and_saveexec_b32 s1, s0
	s_cbranch_execz .LBB38_5
; %bb.4:
	v_lshlrev_b64 v[0:1], 4, v[10:11]
	s_delay_alu instid0(VALU_DEP_1) | instskip(NEXT) | instid1(VALU_DEP_2)
	v_add_co_u32 v0, vcc_lo, s20, v0
	v_add_co_ci_u32_e32 v1, vcc_lo, s21, v1, vcc_lo
	global_load_b128 v[12:15], v[0:1], off
	s_waitcnt vmcnt(0)
	v_mul_f64 v[0:1], v[14:15], -v[6:7]
	v_mul_f64 v[2:3], v[4:5], v[14:15]
	s_delay_alu instid0(VALU_DEP_2) | instskip(NEXT) | instid1(VALU_DEP_2)
	v_fma_f64 v[0:1], v[4:5], v[12:13], v[0:1]
	v_fma_f64 v[2:3], v[6:7], v[12:13], v[2:3]
.LBB38_5:
	s_or_b32 exec_lo, exec_lo, s1
	s_load_b64 s[18:19], s[2:3], 0x48
	s_cbranch_execz .LBB38_7
	s_branch .LBB38_10
.LBB38_6:
                                        ; implicit-def: $vgpr2_vgpr3
	s_load_b64 s[18:19], s[2:3], 0x48
.LBB38_7:
	v_mov_b32_e32 v2, 0
	v_mov_b32_e32 v3, 0
	s_delay_alu instid0(VALU_DEP_1)
	v_dual_mov_b32 v0, v2 :: v_dual_mov_b32 v1, v3
	s_and_saveexec_b32 s1, s0
	s_cbranch_execz .LBB38_9
; %bb.8:
	v_lshlrev_b64 v[0:1], 4, v[10:11]
	s_delay_alu instid0(VALU_DEP_1) | instskip(NEXT) | instid1(VALU_DEP_2)
	v_add_co_u32 v0, vcc_lo, s20, v0
	v_add_co_ci_u32_e32 v1, vcc_lo, s21, v1, vcc_lo
	global_load_b128 v[10:13], v[0:1], off
	s_waitcnt vmcnt(0)
	v_mul_f64 v[0:1], v[6:7], v[12:13]
	v_mul_f64 v[2:3], v[4:5], -v[12:13]
	s_delay_alu instid0(VALU_DEP_2) | instskip(NEXT) | instid1(VALU_DEP_2)
	v_fma_f64 v[0:1], v[4:5], v[10:11], v[0:1]
	v_fma_f64 v[2:3], v[6:7], v[10:11], v[2:3]
.LBB38_9:
	s_or_b32 exec_lo, exec_lo, s1
.LBB38_10:
	s_waitcnt vmcnt(0)
	v_lshlrev_b64 v[4:5], 4, v[8:9]
	v_cmp_eq_u32_e64 s1, 0, v21
	s_waitcnt lgkmcnt(0)
	s_cmp_ge_i32 s22, s23
	s_delay_alu instid0(VALU_DEP_2) | instskip(NEXT) | instid1(VALU_DEP_3)
	v_add_co_u32 v22, vcc_lo, s20, v4
	v_add_co_ci_u32_e32 v23, vcc_lo, s21, v5, vcc_lo
	s_cbranch_scc1 .LBB38_55
; %bb.11:
	s_clause 0x1
	s_load_b64 s[20:21], s[2:3], 0x58
	s_load_b128 s[8:11], s[2:3], 0x28
	v_mov_b32_e32 v9, 0
	v_dual_mov_b32 v11, 0 :: v_dual_mov_b32 v8, 0
	s_sub_i32 s13, s22, s4
	s_sub_i32 s22, s23, s4
	v_lshl_or_b32 v24, v21, 2, 0x1000
	v_dual_mov_b32 v10, 0 :: v_dual_lshlrev_b32 v25, 4, v21
	v_mov_b32_e32 v12, 0x3ff00000
	s_cmp_eq_u32 s6, 0
	s_mov_b32 s25, s13
	s_cselect_b32 s23, -1, 0
	s_add_i32 s24, s12, s4
	s_branch .LBB38_14
.LBB38_12:                              ;   in Loop: Header=BB38_14 Depth=1
	s_add_i32 s25, s25, 1
	s_delay_alu instid0(SALU_CYCLE_1)
	s_cmp_ge_i32 s25, s22
	s_cselect_b32 s2, -1, 0
.LBB38_13:                              ;   in Loop: Header=BB38_14 Depth=1
	s_delay_alu instid0(VALU_DEP_3) | instskip(NEXT) | instid1(VALU_DEP_4)
	v_dual_mov_b32 v2, v17 :: v_dual_mov_b32 v3, v18
	v_dual_mov_b32 v0, v19 :: v_dual_mov_b32 v1, v20
	s_delay_alu instid0(VALU_DEP_4) | instskip(NEXT) | instid1(VALU_DEP_4)
	v_dual_mov_b32 v9, v13 :: v_dual_mov_b32 v10, v14
	v_dual_mov_b32 v11, v15 :: v_dual_mov_b32 v12, v16
	s_and_not1_b32 vcc_lo, exec_lo, s2
	s_cbranch_vccz .LBB38_56
.LBB38_14:                              ; =>This Loop Header: Depth=1
                                        ;     Child Loop BB38_53 Depth 2
                                        ;       Child Loop BB38_54 Depth 3
	s_sub_i32 s2, s25, s13
	s_delay_alu instid0(SALU_CYCLE_1) | instskip(NEXT) | instid1(SALU_CYCLE_1)
	s_and_b32 s3, s2, 0xff
	s_cmp_lg_u32 s3, 0
	s_cbranch_scc1 .LBB38_18
; %bb.15:                               ;   in Loop: Header=BB38_14 Depth=1
	s_sub_i32 s2, s22, s25
	v_mov_b32_e32 v6, 0
	v_dual_mov_b32 v7, 0 :: v_dual_mov_b32 v4, 0
	v_cmp_gt_u32_e32 vcc_lo, s2, v21
	v_mov_b32_e32 v5, 0xbff00000
	v_mov_b32_e32 v13, -1
	s_and_saveexec_b32 s2, vcc_lo
	s_cbranch_execz .LBB38_17
; %bb.16:                               ;   in Loop: Header=BB38_14 Depth=1
	v_add_nc_u32_e32 v7, s25, v21
	s_delay_alu instid0(VALU_DEP_1) | instskip(SKIP_2) | instid1(VALU_DEP_2)
	v_lshlrev_b64 v[4:5], 2, v[7:8]
	v_lshlrev_b64 v[6:7], 4, v[7:8]
	s_waitcnt lgkmcnt(0)
	v_add_co_u32 v4, vcc_lo, s8, v4
	s_delay_alu instid0(VALU_DEP_3)
	v_add_co_ci_u32_e32 v5, vcc_lo, s9, v5, vcc_lo
	global_load_b32 v13, v[4:5], off
	v_add_co_u32 v4, vcc_lo, s10, v6
	v_add_co_ci_u32_e32 v5, vcc_lo, s11, v7, vcc_lo
	global_load_b128 v[4:7], v[4:5], off
	s_waitcnt vmcnt(1)
	v_subrev_nc_u32_e32 v13, s4, v13
.LBB38_17:                              ;   in Loop: Header=BB38_14 Depth=1
	s_or_b32 exec_lo, exec_lo, s2
	ds_store_b32 v24, v13
	s_waitcnt vmcnt(0)
	ds_store_b128 v25, v[4:7]
.LBB38_18:                              ;   in Loop: Header=BB38_14 Depth=1
	s_lshl_b32 s2, s3, 4
	s_waitcnt lgkmcnt(0)
	v_mov_b32_e32 v4, s2
	s_waitcnt_vscnt null, 0x0
	s_barrier
	buffer_gl0_inv
	s_lshl_b32 s3, s3, 2
	ds_load_b128 v[13:16], v4
	v_mov_b32_e32 v4, s3
	ds_load_b32 v4, v4 offset:4096
	s_waitcnt lgkmcnt(1)
	v_cmp_eq_f64_e32 vcc_lo, 0, v[13:14]
	v_cmp_eq_f64_e64 s2, 0, v[15:16]
	s_waitcnt lgkmcnt(0)
	v_readfirstlane_b32 s26, v4
	v_cmp_ne_u32_e64 s3, s12, v4
	s_delay_alu instid0(VALU_DEP_3) | instskip(NEXT) | instid1(VALU_DEP_2)
	s_and_b32 s2, vcc_lo, s2
	s_cmp_eq_u32 s26, s12
	s_cselect_b32 s28, -1, 0
	s_delay_alu instid0(SALU_CYCLE_1) | instskip(NEXT) | instid1(SALU_CYCLE_1)
	s_and_b32 s2, s2, s28
	s_and_b32 s2, s23, s2
	s_delay_alu instid0(SALU_CYCLE_1) | instskip(SKIP_4) | instid1(SALU_CYCLE_1)
	v_cndmask_b32_e64 v5, v16, 0, s2
	v_cndmask_b32_e64 v4, v15, 0, s2
	;; [unrolled: 1-line block ×4, first 2 shown]
	s_and_b32 s27, s1, s2
	s_and_saveexec_b32 s2, s27
	s_cbranch_execz .LBB38_22
; %bb.19:                               ;   in Loop: Header=BB38_14 Depth=1
	v_mbcnt_lo_u32_b32 v4, exec_lo, 0
	s_mov_b32 s27, exec_lo
	s_delay_alu instid0(VALU_DEP_1)
	v_cmpx_eq_u32_e32 0, v4
	s_cbranch_execz .LBB38_21
; %bb.20:                               ;   in Loop: Header=BB38_14 Depth=1
	v_mov_b32_e32 v4, s24
	global_atomic_min_i32 v8, v4, s[20:21]
.LBB38_21:                              ;   in Loop: Header=BB38_14 Depth=1
	s_or_b32 exec_lo, exec_lo, s27
	v_mov_b32_e32 v4, 0
	v_dual_mov_b32 v5, 0 :: v_dual_mov_b32 v6, 0
	v_mov_b32_e32 v7, 0x3ff00000
.LBB38_22:                              ;   in Loop: Header=BB38_14 Depth=1
	s_or_b32 exec_lo, exec_lo, s2
	s_cmp_lt_i32 s5, 1
	s_mov_b32 s2, 0
	s_cbranch_scc1 .LBB38_28
; %bb.23:                               ;   in Loop: Header=BB38_14 Depth=1
	s_cmp_eq_u32 s5, 1
	s_cbranch_scc0 .LBB38_29
; %bb.24:                               ;   in Loop: Header=BB38_14 Depth=1
	v_dual_mov_b32 v14, v10 :: v_dual_mov_b32 v13, v9
	v_dual_mov_b32 v16, v12 :: v_dual_mov_b32 v15, v11
	s_cmp_ge_i32 s26, s12
	s_mov_b32 s27, 0
	s_cbranch_scc0 .LBB38_31
; %bb.25:                               ;   in Loop: Header=BB38_14 Depth=1
	s_and_b32 vcc_lo, exec_lo, s28
	s_cbranch_vccz .LBB38_30
; %bb.26:                               ;   in Loop: Header=BB38_14 Depth=1
	v_dual_mov_b32 v14, v10 :: v_dual_mov_b32 v13, v9
	v_dual_mov_b32 v16, v12 :: v_dual_mov_b32 v15, v11
	s_and_not1_b32 vcc_lo, exec_lo, s23
	s_cbranch_vccnz .LBB38_31
; %bb.27:                               ;   in Loop: Header=BB38_14 Depth=1
	v_mul_f64 v[13:14], v[4:5], v[4:5]
	s_delay_alu instid0(VALU_DEP_1) | instskip(NEXT) | instid1(VALU_DEP_1)
	v_fma_f64 v[13:14], v[6:7], v[6:7], v[13:14]
	v_div_scale_f64 v[15:16], null, v[13:14], v[13:14], 1.0
	v_div_scale_f64 v[26:27], vcc_lo, 1.0, v[13:14], 1.0
	s_delay_alu instid0(VALU_DEP_2) | instskip(SKIP_2) | instid1(VALU_DEP_1)
	v_rcp_f64_e32 v[17:18], v[15:16]
	s_waitcnt_depctr 0xfff
	v_fma_f64 v[19:20], -v[15:16], v[17:18], 1.0
	v_fma_f64 v[17:18], v[17:18], v[19:20], v[17:18]
	s_delay_alu instid0(VALU_DEP_1) | instskip(NEXT) | instid1(VALU_DEP_1)
	v_fma_f64 v[19:20], -v[15:16], v[17:18], 1.0
	v_fma_f64 v[17:18], v[17:18], v[19:20], v[17:18]
	s_delay_alu instid0(VALU_DEP_1) | instskip(NEXT) | instid1(VALU_DEP_1)
	v_mul_f64 v[19:20], v[26:27], v[17:18]
	v_fma_f64 v[15:16], -v[15:16], v[19:20], v[26:27]
	s_delay_alu instid0(VALU_DEP_1) | instskip(SKIP_2) | instid1(VALU_DEP_3)
	v_div_fmas_f64 v[15:16], v[15:16], v[17:18], v[19:20]
	v_fma_f64 v[17:18], v[4:5], 0, v[6:7]
	v_fma_f64 v[19:20], v[6:7], 0, -v[4:5]
	v_div_fixup_f64 v[13:14], v[15:16], v[13:14], 1.0
	s_delay_alu instid0(VALU_DEP_1) | instskip(NEXT) | instid1(VALU_DEP_3)
	v_mul_f64 v[15:16], v[17:18], v[13:14]
	v_mul_f64 v[13:14], v[19:20], v[13:14]
	s_branch .LBB38_31
.LBB38_28:                              ;   in Loop: Header=BB38_14 Depth=1
	s_mov_b32 s27, 0
                                        ; implicit-def: $sgpr28
                                        ; implicit-def: $vgpr17_vgpr18
                                        ; implicit-def: $vgpr19_vgpr20
                                        ; implicit-def: $vgpr13_vgpr14
                                        ; implicit-def: $vgpr15_vgpr16
	s_cbranch_execnz .LBB38_32
	s_branch .LBB38_34
.LBB38_29:                              ;   in Loop: Header=BB38_14 Depth=1
	s_mov_b32 s27, -1
                                        ; implicit-def: $sgpr28
                                        ; implicit-def: $vgpr17_vgpr18
                                        ; implicit-def: $vgpr19_vgpr20
                                        ; implicit-def: $vgpr13_vgpr14
                                        ; implicit-def: $vgpr15_vgpr16
	s_branch .LBB38_34
.LBB38_30:                              ;   in Loop: Header=BB38_14 Depth=1
	s_mov_b32 s27, -1
                                        ; implicit-def: $vgpr13_vgpr14
                                        ; implicit-def: $vgpr15_vgpr16
.LBB38_31:                              ;   in Loop: Header=BB38_14 Depth=1
	v_dual_mov_b32 v18, v3 :: v_dual_mov_b32 v17, v2
	v_dual_mov_b32 v20, v1 :: v_dual_mov_b32 v19, v0
	s_mov_b32 s28, 4
	s_branch .LBB38_34
.LBB38_32:                              ;   in Loop: Header=BB38_14 Depth=1
	s_cmp_eq_u32 s5, 0
	s_cbranch_scc1 .LBB38_38
; %bb.33:                               ;   in Loop: Header=BB38_14 Depth=1
	s_mov_b32 s27, -1
                                        ; implicit-def: $sgpr28
                                        ; implicit-def: $vgpr17_vgpr18
                                        ; implicit-def: $vgpr19_vgpr20
                                        ; implicit-def: $vgpr13_vgpr14
                                        ; implicit-def: $vgpr15_vgpr16
.LBB38_34:                              ;   in Loop: Header=BB38_14 Depth=1
	s_delay_alu instid0(SALU_CYCLE_1)
	s_and_b32 vcc_lo, exec_lo, s27
	s_cbranch_vccnz .LBB38_41
.LBB38_35:                              ;   in Loop: Header=BB38_14 Depth=1
	s_and_b32 vcc_lo, exec_lo, s2
	s_cbranch_vccnz .LBB38_46
.LBB38_36:                              ;   in Loop: Header=BB38_14 Depth=1
	s_cmp_gt_i32 s28, 3
	s_mov_b32 s2, -1
	s_cbranch_scc1 .LBB38_49
.LBB38_37:                              ;   in Loop: Header=BB38_14 Depth=1
	s_cmp_eq_u32 s28, 0
	s_cselect_b32 s3, -1, 0
	s_delay_alu instid0(SALU_CYCLE_1)
	s_and_not1_b32 vcc_lo, exec_lo, s3
	s_cbranch_vccz .LBB38_12
	s_branch .LBB38_50
.LBB38_38:                              ;   in Loop: Header=BB38_14 Depth=1
	s_cmp_le_i32 s26, s12
	s_mov_b32 s27, 0
	s_cbranch_scc0 .LBB38_40
; %bb.39:                               ;   in Loop: Header=BB38_14 Depth=1
	s_mov_b32 s2, -1
	s_mov_b32 s27, s3
.LBB38_40:                              ;   in Loop: Header=BB38_14 Depth=1
	v_dual_mov_b32 v18, v3 :: v_dual_mov_b32 v17, v2
	v_dual_mov_b32 v20, v1 :: v_dual_mov_b32 v19, v0
	;; [unrolled: 1-line block ×4, first 2 shown]
	s_mov_b32 s28, 2
	s_and_b32 vcc_lo, exec_lo, s27
	s_cbranch_vccz .LBB38_35
.LBB38_41:                              ;   in Loop: Header=BB38_14 Depth=1
	s_and_saveexec_b32 s27, s1
	s_cbranch_execz .LBB38_43
; %bb.42:                               ;   in Loop: Header=BB38_14 Depth=1
	s_add_i32 s2, s26, s7
	s_delay_alu instid0(SALU_CYCLE_1) | instskip(NEXT) | instid1(SALU_CYCLE_1)
	s_ashr_i32 s3, s2, 31
	s_lshl_b64 s[2:3], s[2:3], 2
	s_delay_alu instid0(SALU_CYCLE_1)
	s_add_u32 s2, s18, s2
	s_addc_u32 s3, s19, s3
	global_load_b32 v13, v8, s[2:3] glc
	s_waitcnt vmcnt(0)
	v_cmp_ne_u32_e32 vcc_lo, 0, v13
	s_cbranch_vccz .LBB38_51
.LBB38_43:                              ;   in Loop: Header=BB38_14 Depth=1
	s_or_b32 exec_lo, exec_lo, s27
	v_mov_b32_e32 v17, 0
	v_mov_b32_e32 v18, 0
	s_waitcnt_vscnt null, 0x0
	s_barrier
	buffer_gl0_inv
	buffer_gl1_inv
	buffer_gl0_inv
	v_dual_mov_b32 v20, v18 :: v_dual_mov_b32 v19, v17
	s_and_saveexec_b32 s2, s0
	s_cbranch_execz .LBB38_45
; %bb.44:                               ;   in Loop: Header=BB38_14 Depth=1
	s_mul_i32 s3, s26, s17
	s_mul_hi_u32 s27, s26, s16
	s_ashr_i32 s28, s26, 31
	s_add_i32 s3, s27, s3
	s_mul_i32 s28, s28, s16
	s_mul_i32 s26, s26, s16
	s_add_i32 s27, s3, s28
	s_delay_alu instid0(SALU_CYCLE_1) | instskip(NEXT) | instid1(SALU_CYCLE_1)
	s_lshl_b64 s[26:27], s[26:27], 4
	v_add_co_u32 v13, vcc_lo, v22, s26
	v_add_co_ci_u32_e32 v14, vcc_lo, s27, v23, vcc_lo
	global_load_b128 v[13:16], v[13:14], off
	s_waitcnt vmcnt(0)
	v_fma_f64 v[17:18], -v[6:7], v[13:14], v[0:1]
	v_fma_f64 v[13:14], -v[4:5], v[13:14], v[2:3]
	s_delay_alu instid0(VALU_DEP_2) | instskip(NEXT) | instid1(VALU_DEP_2)
	v_fma_f64 v[19:20], v[4:5], v[15:16], v[17:18]
	v_fma_f64 v[17:18], -v[6:7], v[15:16], v[13:14]
.LBB38_45:                              ;   in Loop: Header=BB38_14 Depth=1
	s_or_b32 exec_lo, exec_lo, s2
	v_dual_mov_b32 v14, v10 :: v_dual_mov_b32 v13, v9
	v_dual_mov_b32 v16, v12 :: v_dual_mov_b32 v15, v11
	s_mov_b32 s28, 0
	s_branch .LBB38_36
.LBB38_46:                              ;   in Loop: Header=BB38_14 Depth=1
	s_and_not1_b32 vcc_lo, exec_lo, s23
	s_cbranch_vccnz .LBB38_48
; %bb.47:                               ;   in Loop: Header=BB38_14 Depth=1
	v_mul_f64 v[9:10], v[4:5], v[4:5]
	s_delay_alu instid0(VALU_DEP_1) | instskip(NEXT) | instid1(VALU_DEP_1)
	v_fma_f64 v[9:10], v[6:7], v[6:7], v[9:10]
	v_div_scale_f64 v[11:12], null, v[9:10], v[9:10], 1.0
	v_div_scale_f64 v[17:18], vcc_lo, 1.0, v[9:10], 1.0
	s_delay_alu instid0(VALU_DEP_2) | instskip(SKIP_2) | instid1(VALU_DEP_1)
	v_rcp_f64_e32 v[13:14], v[11:12]
	s_waitcnt_depctr 0xfff
	v_fma_f64 v[15:16], -v[11:12], v[13:14], 1.0
	v_fma_f64 v[13:14], v[13:14], v[15:16], v[13:14]
	s_delay_alu instid0(VALU_DEP_1) | instskip(NEXT) | instid1(VALU_DEP_1)
	v_fma_f64 v[15:16], -v[11:12], v[13:14], 1.0
	v_fma_f64 v[13:14], v[13:14], v[15:16], v[13:14]
	s_delay_alu instid0(VALU_DEP_1) | instskip(NEXT) | instid1(VALU_DEP_1)
	v_mul_f64 v[15:16], v[17:18], v[13:14]
	v_fma_f64 v[11:12], -v[11:12], v[15:16], v[17:18]
	s_delay_alu instid0(VALU_DEP_1) | instskip(SKIP_2) | instid1(VALU_DEP_3)
	v_div_fmas_f64 v[11:12], v[11:12], v[13:14], v[15:16]
	v_fma_f64 v[13:14], v[4:5], 0, v[6:7]
	v_fma_f64 v[4:5], v[6:7], 0, -v[4:5]
	v_div_fixup_f64 v[9:10], v[11:12], v[9:10], 1.0
	s_delay_alu instid0(VALU_DEP_1) | instskip(NEXT) | instid1(VALU_DEP_3)
	v_mul_f64 v[11:12], v[13:14], v[9:10]
	v_mul_f64 v[9:10], v[4:5], v[9:10]
.LBB38_48:                              ;   in Loop: Header=BB38_14 Depth=1
	s_delay_alu instid0(VALU_DEP_2) | instskip(NEXT) | instid1(VALU_DEP_2)
	v_dual_mov_b32 v16, v12 :: v_dual_mov_b32 v15, v11
	v_dual_mov_b32 v14, v10 :: v_dual_mov_b32 v13, v9
	;; [unrolled: 1-line block ×4, first 2 shown]
	s_mov_b32 s28, 2
	s_delay_alu instid0(SALU_CYCLE_1)
	s_cmp_gt_i32 s28, 3
	s_mov_b32 s2, -1
	s_cbranch_scc0 .LBB38_37
.LBB38_49:                              ;   in Loop: Header=BB38_14 Depth=1
	s_branch .LBB38_12
.LBB38_50:                              ;   in Loop: Header=BB38_14 Depth=1
                                        ; implicit-def: $sgpr25
	s_branch .LBB38_13
.LBB38_51:                              ;   in Loop: Header=BB38_14 Depth=1
	s_mov_b32 s28, 0
	s_branch .LBB38_53
	.p2align	6
.LBB38_52:                              ;   in Loop: Header=BB38_53 Depth=2
	global_load_b32 v13, v8, s[2:3] glc
	s_cmpk_lt_u32 s28, 0xf43
	s_cselect_b32 s29, -1, 0
	s_delay_alu instid0(SALU_CYCLE_1)
	s_cmp_lg_u32 s29, 0
	s_addc_u32 s28, s28, 0
	s_waitcnt vmcnt(0)
	v_cmp_ne_u32_e32 vcc_lo, 0, v13
	s_cbranch_vccnz .LBB38_43
.LBB38_53:                              ;   Parent Loop BB38_14 Depth=1
                                        ; =>  This Loop Header: Depth=2
                                        ;       Child Loop BB38_54 Depth 3
	s_cmp_eq_u32 s28, 0
	s_mov_b32 s29, s28
	s_cbranch_scc1 .LBB38_52
.LBB38_54:                              ;   Parent Loop BB38_14 Depth=1
                                        ;     Parent Loop BB38_53 Depth=2
                                        ; =>    This Inner Loop Header: Depth=3
	s_add_i32 s29, s29, -1
	s_sleep 1
	s_cmp_eq_u32 s29, 0
	s_cbranch_scc0 .LBB38_54
	s_branch .LBB38_52
.LBB38_55:
	v_mov_b32_e32 v13, 0
	v_dual_mov_b32 v14, 0 :: v_dual_mov_b32 v15, 0
	v_mov_b32_e32 v16, 0x3ff00000
	s_cmp_lg_u32 s6, 0
	s_cbranch_scc1 .LBB38_58
	s_branch .LBB38_57
.LBB38_56:
	v_dual_mov_b32 v2, v17 :: v_dual_mov_b32 v3, v18
	v_dual_mov_b32 v0, v19 :: v_dual_mov_b32 v1, v20
	s_cmp_lg_u32 s6, 0
	s_cbranch_scc1 .LBB38_58
.LBB38_57:
	s_delay_alu instid0(VALU_DEP_2) | instskip(NEXT) | instid1(VALU_DEP_2)
	v_mul_f64 v[4:5], v[13:14], -v[2:3]
	v_mul_f64 v[6:7], v[13:14], v[0:1]
	s_delay_alu instid0(VALU_DEP_2) | instskip(NEXT) | instid1(VALU_DEP_2)
	v_fma_f64 v[0:1], v[0:1], v[15:16], v[4:5]
	v_fma_f64 v[2:3], v[2:3], v[15:16], v[6:7]
.LBB38_58:
	s_and_saveexec_b32 s1, s0
	s_cbranch_execz .LBB38_60
; %bb.59:
	s_lshl_b64 s[2:3], s[14:15], 4
	s_delay_alu instid0(SALU_CYCLE_1)
	v_add_co_u32 v4, vcc_lo, v22, s2
	v_add_co_ci_u32_e32 v5, vcc_lo, s3, v23, vcc_lo
	global_store_b128 v[4:5], v[0:3], off
.LBB38_60:
	s_or_b32 exec_lo, exec_lo, s1
	s_waitcnt_vscnt null, 0x0
	buffer_gl1_inv
	buffer_gl0_inv
	s_barrier
	buffer_gl0_inv
	s_mov_b32 s0, exec_lo
	v_cmpx_eq_u32_e32 0, v21
	s_cbranch_execz .LBB38_62
; %bb.61:
	s_add_i32 s0, s12, s7
	v_dual_mov_b32 v0, 0 :: v_dual_mov_b32 v1, 1
	s_ashr_i32 s1, s0, 31
	s_delay_alu instid0(SALU_CYCLE_1) | instskip(NEXT) | instid1(SALU_CYCLE_1)
	s_lshl_b64 s[0:1], s[0:1], 2
	s_add_u32 s0, s18, s0
	s_addc_u32 s1, s19, s1
	global_store_b32 v0, v1, s[0:1]
.LBB38_62:
	s_nop 0
	s_sendmsg sendmsg(MSG_DEALLOC_VGPRS)
	s_endpgm
	.section	.rodata,"a",@progbits
	.p2align	6, 0x0
	.amdhsa_kernel _ZN9rocsparseL5csrsmILj256ELj64ELb1Eii21rocsparse_complex_numIdEEEv20rocsparse_operation_T3_S4_NS_24const_host_device_scalarIT4_EEPKT2_PKS4_PKS6_PS6_lPiSC_PS4_21rocsparse_index_base_20rocsparse_fill_mode_20rocsparse_diag_type_b
		.amdhsa_group_segment_fixed_size 7168
		.amdhsa_private_segment_fixed_size 0
		.amdhsa_kernarg_size 112
		.amdhsa_user_sgpr_count 15
		.amdhsa_user_sgpr_dispatch_ptr 1
		.amdhsa_user_sgpr_queue_ptr 0
		.amdhsa_user_sgpr_kernarg_segment_ptr 1
		.amdhsa_user_sgpr_dispatch_id 0
		.amdhsa_user_sgpr_private_segment_size 0
		.amdhsa_wavefront_size32 1
		.amdhsa_uses_dynamic_stack 0
		.amdhsa_enable_private_segment 0
		.amdhsa_system_sgpr_workgroup_id_x 1
		.amdhsa_system_sgpr_workgroup_id_y 0
		.amdhsa_system_sgpr_workgroup_id_z 0
		.amdhsa_system_sgpr_workgroup_info 0
		.amdhsa_system_vgpr_workitem_id 2
		.amdhsa_next_free_vgpr 28
		.amdhsa_next_free_sgpr 30
		.amdhsa_reserve_vcc 1
		.amdhsa_float_round_mode_32 0
		.amdhsa_float_round_mode_16_64 0
		.amdhsa_float_denorm_mode_32 3
		.amdhsa_float_denorm_mode_16_64 3
		.amdhsa_dx10_clamp 1
		.amdhsa_ieee_mode 1
		.amdhsa_fp16_overflow 0
		.amdhsa_workgroup_processor_mode 1
		.amdhsa_memory_ordered 1
		.amdhsa_forward_progress 0
		.amdhsa_shared_vgpr_count 0
		.amdhsa_exception_fp_ieee_invalid_op 0
		.amdhsa_exception_fp_denorm_src 0
		.amdhsa_exception_fp_ieee_div_zero 0
		.amdhsa_exception_fp_ieee_overflow 0
		.amdhsa_exception_fp_ieee_underflow 0
		.amdhsa_exception_fp_ieee_inexact 0
		.amdhsa_exception_int_div_zero 0
	.end_amdhsa_kernel
	.section	.text._ZN9rocsparseL5csrsmILj256ELj64ELb1Eii21rocsparse_complex_numIdEEEv20rocsparse_operation_T3_S4_NS_24const_host_device_scalarIT4_EEPKT2_PKS4_PKS6_PS6_lPiSC_PS4_21rocsparse_index_base_20rocsparse_fill_mode_20rocsparse_diag_type_b,"axG",@progbits,_ZN9rocsparseL5csrsmILj256ELj64ELb1Eii21rocsparse_complex_numIdEEEv20rocsparse_operation_T3_S4_NS_24const_host_device_scalarIT4_EEPKT2_PKS4_PKS6_PS6_lPiSC_PS4_21rocsparse_index_base_20rocsparse_fill_mode_20rocsparse_diag_type_b,comdat
.Lfunc_end38:
	.size	_ZN9rocsparseL5csrsmILj256ELj64ELb1Eii21rocsparse_complex_numIdEEEv20rocsparse_operation_T3_S4_NS_24const_host_device_scalarIT4_EEPKT2_PKS4_PKS6_PS6_lPiSC_PS4_21rocsparse_index_base_20rocsparse_fill_mode_20rocsparse_diag_type_b, .Lfunc_end38-_ZN9rocsparseL5csrsmILj256ELj64ELb1Eii21rocsparse_complex_numIdEEEv20rocsparse_operation_T3_S4_NS_24const_host_device_scalarIT4_EEPKT2_PKS4_PKS6_PS6_lPiSC_PS4_21rocsparse_index_base_20rocsparse_fill_mode_20rocsparse_diag_type_b
                                        ; -- End function
	.section	.AMDGPU.csdata,"",@progbits
; Kernel info:
; codeLenInByte = 2528
; NumSgprs: 32
; NumVgprs: 28
; ScratchSize: 0
; MemoryBound: 0
; FloatMode: 240
; IeeeMode: 1
; LDSByteSize: 7168 bytes/workgroup (compile time only)
; SGPRBlocks: 3
; VGPRBlocks: 3
; NumSGPRsForWavesPerEU: 32
; NumVGPRsForWavesPerEU: 28
; Occupancy: 16
; WaveLimiterHint : 1
; COMPUTE_PGM_RSRC2:SCRATCH_EN: 0
; COMPUTE_PGM_RSRC2:USER_SGPR: 15
; COMPUTE_PGM_RSRC2:TRAP_HANDLER: 0
; COMPUTE_PGM_RSRC2:TGID_X_EN: 1
; COMPUTE_PGM_RSRC2:TGID_Y_EN: 0
; COMPUTE_PGM_RSRC2:TGID_Z_EN: 0
; COMPUTE_PGM_RSRC2:TIDIG_COMP_CNT: 2
	.section	.text._ZN9rocsparseL5csrsmILj256ELj64ELb0Eii21rocsparse_complex_numIdEEEv20rocsparse_operation_T3_S4_NS_24const_host_device_scalarIT4_EEPKT2_PKS4_PKS6_PS6_lPiSC_PS4_21rocsparse_index_base_20rocsparse_fill_mode_20rocsparse_diag_type_b,"axG",@progbits,_ZN9rocsparseL5csrsmILj256ELj64ELb0Eii21rocsparse_complex_numIdEEEv20rocsparse_operation_T3_S4_NS_24const_host_device_scalarIT4_EEPKT2_PKS4_PKS6_PS6_lPiSC_PS4_21rocsparse_index_base_20rocsparse_fill_mode_20rocsparse_diag_type_b,comdat
	.globl	_ZN9rocsparseL5csrsmILj256ELj64ELb0Eii21rocsparse_complex_numIdEEEv20rocsparse_operation_T3_S4_NS_24const_host_device_scalarIT4_EEPKT2_PKS4_PKS6_PS6_lPiSC_PS4_21rocsparse_index_base_20rocsparse_fill_mode_20rocsparse_diag_type_b ; -- Begin function _ZN9rocsparseL5csrsmILj256ELj64ELb0Eii21rocsparse_complex_numIdEEEv20rocsparse_operation_T3_S4_NS_24const_host_device_scalarIT4_EEPKT2_PKS4_PKS6_PS6_lPiSC_PS4_21rocsparse_index_base_20rocsparse_fill_mode_20rocsparse_diag_type_b
	.p2align	8
	.type	_ZN9rocsparseL5csrsmILj256ELj64ELb0Eii21rocsparse_complex_numIdEEEv20rocsparse_operation_T3_S4_NS_24const_host_device_scalarIT4_EEPKT2_PKS4_PKS6_PS6_lPiSC_PS4_21rocsparse_index_base_20rocsparse_fill_mode_20rocsparse_diag_type_b,@function
_ZN9rocsparseL5csrsmILj256ELj64ELb0Eii21rocsparse_complex_numIdEEEv20rocsparse_operation_T3_S4_NS_24const_host_device_scalarIT4_EEPKT2_PKS4_PKS6_PS6_lPiSC_PS4_21rocsparse_index_base_20rocsparse_fill_mode_20rocsparse_diag_type_b: ; @_ZN9rocsparseL5csrsmILj256ELj64ELb0Eii21rocsparse_complex_numIdEEEv20rocsparse_operation_T3_S4_NS_24const_host_device_scalarIT4_EEPKT2_PKS4_PKS6_PS6_lPiSC_PS4_21rocsparse_index_base_20rocsparse_fill_mode_20rocsparse_diag_type_b
; %bb.0:
	s_load_b64 s[0:1], s[0:1], 0x4
	s_load_b128 s[8:11], s[2:3], 0x10
	v_and_b32_e32 v21, 0x3ff, v0
	s_load_b128 s[4:7], s[2:3], 0x60
	v_bfe_u32 v2, v0, 10, 10
	v_bfe_u32 v0, v0, 20, 10
	s_mov_b64 s[12:13], src_shared_base
	s_waitcnt lgkmcnt(0)
	s_lshr_b32 s0, s0, 16
	s_delay_alu instid0(SALU_CYCLE_1) | instskip(NEXT) | instid1(SALU_CYCLE_1)
	s_mul_i32 s0, s0, s1
	v_mul_lo_u32 v1, s0, v21
	s_and_b32 s0, 1, s7
	s_delay_alu instid0(SALU_CYCLE_1) | instskip(SKIP_1) | instid1(VALU_DEP_1)
	s_cmp_eq_u32 s0, 1
	s_cselect_b32 vcc_lo, -1, 0
	v_mad_u32_u24 v1, v2, s1, v1
	s_load_b64 s[0:1], s[2:3], 0x20
	v_dual_mov_b32 v2, s8 :: v_dual_mov_b32 v3, s9
	v_mov_b32_e32 v6, s10
	s_delay_alu instid0(VALU_DEP_3) | instskip(NEXT) | instid1(VALU_DEP_1)
	v_add_lshl_u32 v4, v1, v0, 3
	v_dual_mov_b32 v7, s11 :: v_dual_add_nc_u32 v0, 0x1400, v4
	ds_store_b64 v4, v[2:3] offset:5120
	v_cndmask_b32_e32 v0, s8, v0, vcc_lo
	s_and_b32 vcc_lo, vcc_lo, exec_lo
	s_cselect_b32 s7, s13, s9
	s_delay_alu instid0(SALU_CYCLE_1)
	v_mov_b32_e32 v1, s7
	flat_load_b64 v[4:5], v[0:1]
	s_clause 0x1
	s_load_b64 s[12:13], s[2:3], 0x50
	s_load_b64 s[20:21], s[2:3], 0x38
	s_cbranch_vccnz .LBB39_2
; %bb.1:
	v_dual_mov_b32 v0, s8 :: v_dual_mov_b32 v1, s9
	flat_load_b64 v[6:7], v[0:1] offset:8
.LBB39_2:
	s_clause 0x1
	s_load_b128 s[8:11], s[2:3], 0x0
	s_load_b64 s[16:17], s[2:3], 0x40
	s_waitcnt lgkmcnt(0)
	v_cvt_f32_u32_e32 v0, s9
	s_sub_i32 s11, 0, s9
	s_delay_alu instid0(VALU_DEP_1) | instskip(SKIP_2) | instid1(VALU_DEP_1)
	v_rcp_iflag_f32_e32 v0, v0
	s_waitcnt_depctr 0xfff
	v_mul_f32_e32 v0, 0x4f7ffffe, v0
	v_cvt_u32_f32_e32 v0, v0
	s_delay_alu instid0(VALU_DEP_1) | instskip(NEXT) | instid1(VALU_DEP_1)
	v_readfirstlane_b32 s7, v0
	s_mul_i32 s11, s11, s7
	s_delay_alu instid0(SALU_CYCLE_1) | instskip(NEXT) | instid1(SALU_CYCLE_1)
	s_mul_hi_u32 s11, s7, s11
	s_add_i32 s7, s7, s11
	s_delay_alu instid0(SALU_CYCLE_1) | instskip(NEXT) | instid1(SALU_CYCLE_1)
	s_mul_hi_u32 s7, s15, s7
	s_mul_i32 s11, s7, s9
	s_add_i32 s14, s7, 1
	s_sub_i32 s11, s15, s11
	s_delay_alu instid0(SALU_CYCLE_1)
	s_sub_i32 s18, s11, s9
	s_cmp_ge_u32 s11, s9
	s_cselect_b32 s7, s14, s7
	s_cselect_b32 s11, s18, s11
	s_add_i32 s14, s7, 1
	s_cmp_ge_u32 s11, s9
	s_cselect_b32 s11, s14, s7
	s_delay_alu instid0(SALU_CYCLE_1) | instskip(SKIP_2) | instid1(SALU_CYCLE_1)
	s_mul_i32 s7, s11, s9
	v_lshl_or_b32 v8, s11, 8, v21
	s_sub_i32 s14, s15, s7
	s_ashr_i32 s15, s14, 31
	s_delay_alu instid0(VALU_DEP_1) | instskip(SKIP_1) | instid1(SALU_CYCLE_1)
	v_ashrrev_i32_e32 v9, 31, v8
	s_lshl_b64 s[14:15], s[14:15], 2
	s_add_u32 s12, s12, s14
	s_addc_u32 s13, s13, s15
	s_load_b32 s12, s[12:13], 0x0
	s_waitcnt lgkmcnt(0)
	s_ashr_i32 s13, s12, 31
	s_delay_alu instid0(SALU_CYCLE_1) | instskip(NEXT) | instid1(SALU_CYCLE_1)
	s_lshl_b64 s[14:15], s[12:13], 2
	s_add_u32 s0, s0, s14
	s_addc_u32 s1, s1, s15
	s_mul_i32 s14, s12, s16
	s_load_b64 s[22:23], s[0:1], 0x0
	s_mul_i32 s0, s12, s17
	s_mul_hi_u32 s1, s12, s16
	v_add_co_u32 v10, vcc_lo, s14, v8
	s_add_i32 s0, s1, s0
	s_mul_i32 s1, s13, s16
	s_delay_alu instid0(SALU_CYCLE_1)
	s_add_i32 s15, s0, s1
	v_cmp_gt_i32_e64 s0, s10, v8
	v_add_co_ci_u32_e32 v11, vcc_lo, s15, v9, vcc_lo
	s_cmpk_lg_i32 s8, 0x71
	s_cbranch_scc0 .LBB39_6
; %bb.3:
	v_mov_b32_e32 v2, 0
	v_mov_b32_e32 v3, 0
	s_delay_alu instid0(VALU_DEP_1)
	v_dual_mov_b32 v0, v2 :: v_dual_mov_b32 v1, v3
	s_and_saveexec_b32 s1, s0
	s_cbranch_execz .LBB39_5
; %bb.4:
	v_lshlrev_b64 v[0:1], 4, v[10:11]
	s_delay_alu instid0(VALU_DEP_1) | instskip(NEXT) | instid1(VALU_DEP_2)
	v_add_co_u32 v0, vcc_lo, s20, v0
	v_add_co_ci_u32_e32 v1, vcc_lo, s21, v1, vcc_lo
	global_load_b128 v[12:15], v[0:1], off
	s_waitcnt vmcnt(0)
	v_mul_f64 v[0:1], v[14:15], -v[6:7]
	v_mul_f64 v[2:3], v[4:5], v[14:15]
	s_delay_alu instid0(VALU_DEP_2) | instskip(NEXT) | instid1(VALU_DEP_2)
	v_fma_f64 v[0:1], v[4:5], v[12:13], v[0:1]
	v_fma_f64 v[2:3], v[6:7], v[12:13], v[2:3]
.LBB39_5:
	s_or_b32 exec_lo, exec_lo, s1
	s_load_b64 s[18:19], s[2:3], 0x48
	s_cbranch_execz .LBB39_7
	s_branch .LBB39_10
.LBB39_6:
                                        ; implicit-def: $vgpr2_vgpr3
	s_load_b64 s[18:19], s[2:3], 0x48
.LBB39_7:
	v_mov_b32_e32 v2, 0
	v_mov_b32_e32 v3, 0
	s_delay_alu instid0(VALU_DEP_1)
	v_dual_mov_b32 v0, v2 :: v_dual_mov_b32 v1, v3
	s_and_saveexec_b32 s1, s0
	s_cbranch_execz .LBB39_9
; %bb.8:
	v_lshlrev_b64 v[0:1], 4, v[10:11]
	s_delay_alu instid0(VALU_DEP_1) | instskip(NEXT) | instid1(VALU_DEP_2)
	v_add_co_u32 v0, vcc_lo, s20, v0
	v_add_co_ci_u32_e32 v1, vcc_lo, s21, v1, vcc_lo
	global_load_b128 v[10:13], v[0:1], off
	s_waitcnt vmcnt(0)
	v_mul_f64 v[0:1], v[6:7], v[12:13]
	v_mul_f64 v[2:3], v[4:5], -v[12:13]
	s_delay_alu instid0(VALU_DEP_2) | instskip(NEXT) | instid1(VALU_DEP_2)
	v_fma_f64 v[0:1], v[4:5], v[10:11], v[0:1]
	v_fma_f64 v[2:3], v[6:7], v[10:11], v[2:3]
.LBB39_9:
	s_or_b32 exec_lo, exec_lo, s1
.LBB39_10:
	s_waitcnt vmcnt(0)
	v_lshlrev_b64 v[4:5], 4, v[8:9]
	v_cmp_eq_u32_e64 s1, 0, v21
	s_waitcnt lgkmcnt(0)
	s_cmp_ge_i32 s22, s23
	s_delay_alu instid0(VALU_DEP_2) | instskip(NEXT) | instid1(VALU_DEP_3)
	v_add_co_u32 v22, vcc_lo, s20, v4
	v_add_co_ci_u32_e32 v23, vcc_lo, s21, v5, vcc_lo
	s_cbranch_scc1 .LBB39_52
; %bb.11:
	s_clause 0x1
	s_load_b64 s[20:21], s[2:3], 0x58
	s_load_b128 s[8:11], s[2:3], 0x28
	v_mov_b32_e32 v9, 0
	v_dual_mov_b32 v11, 0 :: v_dual_mov_b32 v8, 0
	s_sub_i32 s13, s22, s4
	s_sub_i32 s22, s23, s4
	v_lshl_or_b32 v24, v21, 2, 0x1000
	v_dual_mov_b32 v10, 0 :: v_dual_lshlrev_b32 v25, 4, v21
	v_mov_b32_e32 v12, 0x3ff00000
	s_cmp_eq_u32 s6, 0
	s_mov_b32 s25, s13
	s_cselect_b32 s23, -1, 0
	s_add_i32 s24, s12, s4
	s_branch .LBB39_14
.LBB39_12:                              ;   in Loop: Header=BB39_14 Depth=1
	s_add_i32 s25, s25, 1
	s_delay_alu instid0(SALU_CYCLE_1)
	s_cmp_ge_i32 s25, s22
	s_cselect_b32 s2, -1, 0
.LBB39_13:                              ;   in Loop: Header=BB39_14 Depth=1
	s_delay_alu instid0(VALU_DEP_3) | instskip(NEXT) | instid1(VALU_DEP_4)
	v_dual_mov_b32 v2, v17 :: v_dual_mov_b32 v3, v18
	v_dual_mov_b32 v0, v19 :: v_dual_mov_b32 v1, v20
	s_delay_alu instid0(VALU_DEP_4) | instskip(NEXT) | instid1(VALU_DEP_4)
	v_dual_mov_b32 v9, v13 :: v_dual_mov_b32 v10, v14
	v_dual_mov_b32 v11, v15 :: v_dual_mov_b32 v12, v16
	s_and_not1_b32 vcc_lo, exec_lo, s2
	s_cbranch_vccz .LBB39_53
.LBB39_14:                              ; =>This Loop Header: Depth=1
                                        ;     Child Loop BB39_43 Depth 2
	s_sub_i32 s2, s25, s13
	s_delay_alu instid0(SALU_CYCLE_1) | instskip(NEXT) | instid1(SALU_CYCLE_1)
	s_and_b32 s3, s2, 0xff
	s_cmp_lg_u32 s3, 0
	s_cbranch_scc1 .LBB39_18
; %bb.15:                               ;   in Loop: Header=BB39_14 Depth=1
	s_sub_i32 s2, s22, s25
	v_mov_b32_e32 v6, 0
	v_dual_mov_b32 v7, 0 :: v_dual_mov_b32 v4, 0
	v_cmp_gt_u32_e32 vcc_lo, s2, v21
	v_mov_b32_e32 v5, 0xbff00000
	v_mov_b32_e32 v13, -1
	s_and_saveexec_b32 s2, vcc_lo
	s_cbranch_execz .LBB39_17
; %bb.16:                               ;   in Loop: Header=BB39_14 Depth=1
	v_add_nc_u32_e32 v7, s25, v21
	s_delay_alu instid0(VALU_DEP_1) | instskip(SKIP_2) | instid1(VALU_DEP_2)
	v_lshlrev_b64 v[4:5], 2, v[7:8]
	v_lshlrev_b64 v[6:7], 4, v[7:8]
	s_waitcnt lgkmcnt(0)
	v_add_co_u32 v4, vcc_lo, s8, v4
	s_delay_alu instid0(VALU_DEP_3)
	v_add_co_ci_u32_e32 v5, vcc_lo, s9, v5, vcc_lo
	global_load_b32 v13, v[4:5], off
	v_add_co_u32 v4, vcc_lo, s10, v6
	v_add_co_ci_u32_e32 v5, vcc_lo, s11, v7, vcc_lo
	global_load_b128 v[4:7], v[4:5], off
	s_waitcnt vmcnt(1)
	v_subrev_nc_u32_e32 v13, s4, v13
.LBB39_17:                              ;   in Loop: Header=BB39_14 Depth=1
	s_or_b32 exec_lo, exec_lo, s2
	ds_store_b32 v24, v13
	s_waitcnt vmcnt(0)
	ds_store_b128 v25, v[4:7]
.LBB39_18:                              ;   in Loop: Header=BB39_14 Depth=1
	s_lshl_b32 s2, s3, 4
	s_waitcnt lgkmcnt(0)
	v_mov_b32_e32 v4, s2
	s_waitcnt_vscnt null, 0x0
	s_barrier
	buffer_gl0_inv
	s_lshl_b32 s3, s3, 2
	ds_load_b128 v[13:16], v4
	v_mov_b32_e32 v4, s3
	ds_load_b32 v4, v4 offset:4096
	s_waitcnt lgkmcnt(1)
	v_cmp_eq_f64_e32 vcc_lo, 0, v[13:14]
	v_cmp_eq_f64_e64 s2, 0, v[15:16]
	s_waitcnt lgkmcnt(0)
	v_readfirstlane_b32 s26, v4
	v_cmp_ne_u32_e64 s3, s12, v4
	s_delay_alu instid0(VALU_DEP_3) | instskip(NEXT) | instid1(VALU_DEP_2)
	s_and_b32 s2, vcc_lo, s2
	s_cmp_eq_u32 s26, s12
	s_cselect_b32 s28, -1, 0
	s_delay_alu instid0(SALU_CYCLE_1) | instskip(NEXT) | instid1(SALU_CYCLE_1)
	s_and_b32 s2, s2, s28
	s_and_b32 s2, s23, s2
	s_delay_alu instid0(SALU_CYCLE_1) | instskip(SKIP_4) | instid1(SALU_CYCLE_1)
	v_cndmask_b32_e64 v5, v16, 0, s2
	v_cndmask_b32_e64 v4, v15, 0, s2
	;; [unrolled: 1-line block ×4, first 2 shown]
	s_and_b32 s27, s1, s2
	s_and_saveexec_b32 s2, s27
	s_cbranch_execz .LBB39_22
; %bb.19:                               ;   in Loop: Header=BB39_14 Depth=1
	v_mbcnt_lo_u32_b32 v4, exec_lo, 0
	s_mov_b32 s27, exec_lo
	s_delay_alu instid0(VALU_DEP_1)
	v_cmpx_eq_u32_e32 0, v4
	s_cbranch_execz .LBB39_21
; %bb.20:                               ;   in Loop: Header=BB39_14 Depth=1
	v_mov_b32_e32 v4, s24
	global_atomic_min_i32 v8, v4, s[20:21]
.LBB39_21:                              ;   in Loop: Header=BB39_14 Depth=1
	s_or_b32 exec_lo, exec_lo, s27
	v_mov_b32_e32 v4, 0
	v_dual_mov_b32 v5, 0 :: v_dual_mov_b32 v6, 0
	v_mov_b32_e32 v7, 0x3ff00000
.LBB39_22:                              ;   in Loop: Header=BB39_14 Depth=1
	s_or_b32 exec_lo, exec_lo, s2
	s_cmp_lt_i32 s5, 1
	s_mov_b32 s2, 0
	s_cbranch_scc1 .LBB39_28
; %bb.23:                               ;   in Loop: Header=BB39_14 Depth=1
	s_cmp_eq_u32 s5, 1
	s_cbranch_scc0 .LBB39_29
; %bb.24:                               ;   in Loop: Header=BB39_14 Depth=1
	v_dual_mov_b32 v14, v10 :: v_dual_mov_b32 v13, v9
	v_dual_mov_b32 v16, v12 :: v_dual_mov_b32 v15, v11
	s_cmp_ge_i32 s26, s12
	s_mov_b32 s27, 0
	s_cbranch_scc0 .LBB39_31
; %bb.25:                               ;   in Loop: Header=BB39_14 Depth=1
	s_and_b32 vcc_lo, exec_lo, s28
	s_cbranch_vccz .LBB39_30
; %bb.26:                               ;   in Loop: Header=BB39_14 Depth=1
	v_dual_mov_b32 v14, v10 :: v_dual_mov_b32 v13, v9
	v_dual_mov_b32 v16, v12 :: v_dual_mov_b32 v15, v11
	s_and_not1_b32 vcc_lo, exec_lo, s23
	s_cbranch_vccnz .LBB39_31
; %bb.27:                               ;   in Loop: Header=BB39_14 Depth=1
	v_mul_f64 v[13:14], v[4:5], v[4:5]
	s_delay_alu instid0(VALU_DEP_1) | instskip(NEXT) | instid1(VALU_DEP_1)
	v_fma_f64 v[13:14], v[6:7], v[6:7], v[13:14]
	v_div_scale_f64 v[15:16], null, v[13:14], v[13:14], 1.0
	v_div_scale_f64 v[26:27], vcc_lo, 1.0, v[13:14], 1.0
	s_delay_alu instid0(VALU_DEP_2) | instskip(SKIP_2) | instid1(VALU_DEP_1)
	v_rcp_f64_e32 v[17:18], v[15:16]
	s_waitcnt_depctr 0xfff
	v_fma_f64 v[19:20], -v[15:16], v[17:18], 1.0
	v_fma_f64 v[17:18], v[17:18], v[19:20], v[17:18]
	s_delay_alu instid0(VALU_DEP_1) | instskip(NEXT) | instid1(VALU_DEP_1)
	v_fma_f64 v[19:20], -v[15:16], v[17:18], 1.0
	v_fma_f64 v[17:18], v[17:18], v[19:20], v[17:18]
	s_delay_alu instid0(VALU_DEP_1) | instskip(NEXT) | instid1(VALU_DEP_1)
	v_mul_f64 v[19:20], v[26:27], v[17:18]
	v_fma_f64 v[15:16], -v[15:16], v[19:20], v[26:27]
	s_delay_alu instid0(VALU_DEP_1) | instskip(SKIP_2) | instid1(VALU_DEP_3)
	v_div_fmas_f64 v[15:16], v[15:16], v[17:18], v[19:20]
	v_fma_f64 v[17:18], v[4:5], 0, v[6:7]
	v_fma_f64 v[19:20], v[6:7], 0, -v[4:5]
	v_div_fixup_f64 v[13:14], v[15:16], v[13:14], 1.0
	s_delay_alu instid0(VALU_DEP_1) | instskip(NEXT) | instid1(VALU_DEP_3)
	v_mul_f64 v[15:16], v[17:18], v[13:14]
	v_mul_f64 v[13:14], v[19:20], v[13:14]
	s_branch .LBB39_31
.LBB39_28:                              ;   in Loop: Header=BB39_14 Depth=1
	s_mov_b32 s27, 0
                                        ; implicit-def: $sgpr28
                                        ; implicit-def: $vgpr17_vgpr18
                                        ; implicit-def: $vgpr19_vgpr20
                                        ; implicit-def: $vgpr13_vgpr14
                                        ; implicit-def: $vgpr15_vgpr16
	s_cbranch_execnz .LBB39_32
	s_branch .LBB39_34
.LBB39_29:                              ;   in Loop: Header=BB39_14 Depth=1
	s_mov_b32 s27, -1
                                        ; implicit-def: $sgpr28
                                        ; implicit-def: $vgpr17_vgpr18
                                        ; implicit-def: $vgpr19_vgpr20
                                        ; implicit-def: $vgpr13_vgpr14
                                        ; implicit-def: $vgpr15_vgpr16
	s_branch .LBB39_34
.LBB39_30:                              ;   in Loop: Header=BB39_14 Depth=1
	s_mov_b32 s27, -1
                                        ; implicit-def: $vgpr13_vgpr14
                                        ; implicit-def: $vgpr15_vgpr16
.LBB39_31:                              ;   in Loop: Header=BB39_14 Depth=1
	v_dual_mov_b32 v18, v3 :: v_dual_mov_b32 v17, v2
	v_dual_mov_b32 v20, v1 :: v_dual_mov_b32 v19, v0
	s_mov_b32 s28, 4
	s_branch .LBB39_34
.LBB39_32:                              ;   in Loop: Header=BB39_14 Depth=1
	s_cmp_eq_u32 s5, 0
	s_cbranch_scc1 .LBB39_38
; %bb.33:                               ;   in Loop: Header=BB39_14 Depth=1
	s_mov_b32 s27, -1
                                        ; implicit-def: $sgpr28
                                        ; implicit-def: $vgpr17_vgpr18
                                        ; implicit-def: $vgpr19_vgpr20
                                        ; implicit-def: $vgpr13_vgpr14
                                        ; implicit-def: $vgpr15_vgpr16
.LBB39_34:                              ;   in Loop: Header=BB39_14 Depth=1
	s_delay_alu instid0(SALU_CYCLE_1)
	s_and_b32 vcc_lo, exec_lo, s27
	s_cbranch_vccnz .LBB39_41
.LBB39_35:                              ;   in Loop: Header=BB39_14 Depth=1
	s_and_b32 vcc_lo, exec_lo, s2
	s_cbranch_vccnz .LBB39_47
.LBB39_36:                              ;   in Loop: Header=BB39_14 Depth=1
	s_cmp_gt_i32 s28, 3
	s_mov_b32 s2, -1
	s_cbranch_scc1 .LBB39_50
.LBB39_37:                              ;   in Loop: Header=BB39_14 Depth=1
	s_cmp_eq_u32 s28, 0
	s_cselect_b32 s3, -1, 0
	s_delay_alu instid0(SALU_CYCLE_1)
	s_and_not1_b32 vcc_lo, exec_lo, s3
	s_cbranch_vccz .LBB39_12
	s_branch .LBB39_51
.LBB39_38:                              ;   in Loop: Header=BB39_14 Depth=1
	s_cmp_le_i32 s26, s12
	s_mov_b32 s27, 0
	s_cbranch_scc0 .LBB39_40
; %bb.39:                               ;   in Loop: Header=BB39_14 Depth=1
	s_mov_b32 s2, -1
	s_mov_b32 s27, s3
.LBB39_40:                              ;   in Loop: Header=BB39_14 Depth=1
	v_dual_mov_b32 v18, v3 :: v_dual_mov_b32 v17, v2
	v_dual_mov_b32 v20, v1 :: v_dual_mov_b32 v19, v0
	;; [unrolled: 1-line block ×4, first 2 shown]
	s_mov_b32 s28, 2
	s_and_b32 vcc_lo, exec_lo, s27
	s_cbranch_vccz .LBB39_35
.LBB39_41:                              ;   in Loop: Header=BB39_14 Depth=1
	s_and_saveexec_b32 s27, s1
	s_cbranch_execz .LBB39_44
; %bb.42:                               ;   in Loop: Header=BB39_14 Depth=1
	s_add_i32 s2, s26, s7
	s_delay_alu instid0(SALU_CYCLE_1) | instskip(NEXT) | instid1(SALU_CYCLE_1)
	s_ashr_i32 s3, s2, 31
	s_lshl_b64 s[2:3], s[2:3], 2
	s_delay_alu instid0(SALU_CYCLE_1)
	s_add_u32 s2, s18, s2
	s_addc_u32 s3, s19, s3
	global_load_b32 v13, v8, s[2:3] glc
	s_waitcnt vmcnt(0)
	v_cmp_ne_u32_e32 vcc_lo, 0, v13
	s_cbranch_vccnz .LBB39_44
.LBB39_43:                              ;   Parent Loop BB39_14 Depth=1
                                        ; =>  This Inner Loop Header: Depth=2
	global_load_b32 v13, v8, s[2:3] glc
	s_waitcnt vmcnt(0)
	v_cmp_eq_u32_e32 vcc_lo, 0, v13
	s_cbranch_vccnz .LBB39_43
.LBB39_44:                              ;   in Loop: Header=BB39_14 Depth=1
	s_or_b32 exec_lo, exec_lo, s27
	v_mov_b32_e32 v17, 0
	v_mov_b32_e32 v18, 0
	s_waitcnt_vscnt null, 0x0
	s_barrier
	buffer_gl0_inv
	buffer_gl1_inv
	buffer_gl0_inv
	v_dual_mov_b32 v20, v18 :: v_dual_mov_b32 v19, v17
	s_and_saveexec_b32 s2, s0
	s_cbranch_execz .LBB39_46
; %bb.45:                               ;   in Loop: Header=BB39_14 Depth=1
	s_mul_i32 s3, s26, s17
	s_mul_hi_u32 s27, s26, s16
	s_ashr_i32 s28, s26, 31
	s_add_i32 s3, s27, s3
	s_mul_i32 s28, s28, s16
	s_mul_i32 s26, s26, s16
	s_add_i32 s27, s3, s28
	s_delay_alu instid0(SALU_CYCLE_1) | instskip(NEXT) | instid1(SALU_CYCLE_1)
	s_lshl_b64 s[26:27], s[26:27], 4
	v_add_co_u32 v13, vcc_lo, v22, s26
	v_add_co_ci_u32_e32 v14, vcc_lo, s27, v23, vcc_lo
	global_load_b128 v[13:16], v[13:14], off
	s_waitcnt vmcnt(0)
	v_fma_f64 v[17:18], -v[6:7], v[13:14], v[0:1]
	v_fma_f64 v[13:14], -v[4:5], v[13:14], v[2:3]
	s_delay_alu instid0(VALU_DEP_2) | instskip(NEXT) | instid1(VALU_DEP_2)
	v_fma_f64 v[19:20], v[4:5], v[15:16], v[17:18]
	v_fma_f64 v[17:18], -v[6:7], v[15:16], v[13:14]
.LBB39_46:                              ;   in Loop: Header=BB39_14 Depth=1
	s_or_b32 exec_lo, exec_lo, s2
	v_dual_mov_b32 v14, v10 :: v_dual_mov_b32 v13, v9
	v_dual_mov_b32 v16, v12 :: v_dual_mov_b32 v15, v11
	s_mov_b32 s28, 0
	s_branch .LBB39_36
.LBB39_47:                              ;   in Loop: Header=BB39_14 Depth=1
	s_and_not1_b32 vcc_lo, exec_lo, s23
	s_cbranch_vccnz .LBB39_49
; %bb.48:                               ;   in Loop: Header=BB39_14 Depth=1
	v_mul_f64 v[9:10], v[4:5], v[4:5]
	s_delay_alu instid0(VALU_DEP_1) | instskip(NEXT) | instid1(VALU_DEP_1)
	v_fma_f64 v[9:10], v[6:7], v[6:7], v[9:10]
	v_div_scale_f64 v[11:12], null, v[9:10], v[9:10], 1.0
	v_div_scale_f64 v[17:18], vcc_lo, 1.0, v[9:10], 1.0
	s_delay_alu instid0(VALU_DEP_2) | instskip(SKIP_2) | instid1(VALU_DEP_1)
	v_rcp_f64_e32 v[13:14], v[11:12]
	s_waitcnt_depctr 0xfff
	v_fma_f64 v[15:16], -v[11:12], v[13:14], 1.0
	v_fma_f64 v[13:14], v[13:14], v[15:16], v[13:14]
	s_delay_alu instid0(VALU_DEP_1) | instskip(NEXT) | instid1(VALU_DEP_1)
	v_fma_f64 v[15:16], -v[11:12], v[13:14], 1.0
	v_fma_f64 v[13:14], v[13:14], v[15:16], v[13:14]
	s_delay_alu instid0(VALU_DEP_1) | instskip(NEXT) | instid1(VALU_DEP_1)
	v_mul_f64 v[15:16], v[17:18], v[13:14]
	v_fma_f64 v[11:12], -v[11:12], v[15:16], v[17:18]
	s_delay_alu instid0(VALU_DEP_1) | instskip(SKIP_2) | instid1(VALU_DEP_3)
	v_div_fmas_f64 v[11:12], v[11:12], v[13:14], v[15:16]
	v_fma_f64 v[13:14], v[4:5], 0, v[6:7]
	v_fma_f64 v[4:5], v[6:7], 0, -v[4:5]
	v_div_fixup_f64 v[9:10], v[11:12], v[9:10], 1.0
	s_delay_alu instid0(VALU_DEP_1) | instskip(NEXT) | instid1(VALU_DEP_3)
	v_mul_f64 v[11:12], v[13:14], v[9:10]
	v_mul_f64 v[9:10], v[4:5], v[9:10]
.LBB39_49:                              ;   in Loop: Header=BB39_14 Depth=1
	s_delay_alu instid0(VALU_DEP_2) | instskip(NEXT) | instid1(VALU_DEP_2)
	v_dual_mov_b32 v16, v12 :: v_dual_mov_b32 v15, v11
	v_dual_mov_b32 v14, v10 :: v_dual_mov_b32 v13, v9
	;; [unrolled: 1-line block ×4, first 2 shown]
	s_mov_b32 s28, 2
	s_delay_alu instid0(SALU_CYCLE_1)
	s_cmp_gt_i32 s28, 3
	s_mov_b32 s2, -1
	s_cbranch_scc0 .LBB39_37
.LBB39_50:                              ;   in Loop: Header=BB39_14 Depth=1
	s_branch .LBB39_12
.LBB39_51:                              ;   in Loop: Header=BB39_14 Depth=1
                                        ; implicit-def: $sgpr25
	s_branch .LBB39_13
.LBB39_52:
	v_mov_b32_e32 v13, 0
	v_dual_mov_b32 v14, 0 :: v_dual_mov_b32 v15, 0
	v_mov_b32_e32 v16, 0x3ff00000
	s_cmp_lg_u32 s6, 0
	s_cbranch_scc1 .LBB39_55
	s_branch .LBB39_54
.LBB39_53:
	v_dual_mov_b32 v2, v17 :: v_dual_mov_b32 v3, v18
	v_dual_mov_b32 v0, v19 :: v_dual_mov_b32 v1, v20
	s_cmp_lg_u32 s6, 0
	s_cbranch_scc1 .LBB39_55
.LBB39_54:
	s_delay_alu instid0(VALU_DEP_2) | instskip(NEXT) | instid1(VALU_DEP_2)
	v_mul_f64 v[4:5], v[13:14], -v[2:3]
	v_mul_f64 v[6:7], v[13:14], v[0:1]
	s_delay_alu instid0(VALU_DEP_2) | instskip(NEXT) | instid1(VALU_DEP_2)
	v_fma_f64 v[0:1], v[0:1], v[15:16], v[4:5]
	v_fma_f64 v[2:3], v[2:3], v[15:16], v[6:7]
.LBB39_55:
	s_and_saveexec_b32 s1, s0
	s_cbranch_execz .LBB39_57
; %bb.56:
	s_lshl_b64 s[2:3], s[14:15], 4
	s_delay_alu instid0(SALU_CYCLE_1)
	v_add_co_u32 v4, vcc_lo, v22, s2
	v_add_co_ci_u32_e32 v5, vcc_lo, s3, v23, vcc_lo
	global_store_b128 v[4:5], v[0:3], off
.LBB39_57:
	s_or_b32 exec_lo, exec_lo, s1
	s_waitcnt_vscnt null, 0x0
	buffer_gl1_inv
	buffer_gl0_inv
	s_barrier
	buffer_gl0_inv
	s_mov_b32 s0, exec_lo
	v_cmpx_eq_u32_e32 0, v21
	s_cbranch_execz .LBB39_59
; %bb.58:
	s_add_i32 s0, s12, s7
	v_dual_mov_b32 v0, 0 :: v_dual_mov_b32 v1, 1
	s_ashr_i32 s1, s0, 31
	s_delay_alu instid0(SALU_CYCLE_1) | instskip(NEXT) | instid1(SALU_CYCLE_1)
	s_lshl_b64 s[0:1], s[0:1], 2
	s_add_u32 s0, s18, s0
	s_addc_u32 s1, s19, s1
	global_store_b32 v0, v1, s[0:1]
.LBB39_59:
	s_nop 0
	s_sendmsg sendmsg(MSG_DEALLOC_VGPRS)
	s_endpgm
	.section	.rodata,"a",@progbits
	.p2align	6, 0x0
	.amdhsa_kernel _ZN9rocsparseL5csrsmILj256ELj64ELb0Eii21rocsparse_complex_numIdEEEv20rocsparse_operation_T3_S4_NS_24const_host_device_scalarIT4_EEPKT2_PKS4_PKS6_PS6_lPiSC_PS4_21rocsparse_index_base_20rocsparse_fill_mode_20rocsparse_diag_type_b
		.amdhsa_group_segment_fixed_size 7168
		.amdhsa_private_segment_fixed_size 0
		.amdhsa_kernarg_size 112
		.amdhsa_user_sgpr_count 15
		.amdhsa_user_sgpr_dispatch_ptr 1
		.amdhsa_user_sgpr_queue_ptr 0
		.amdhsa_user_sgpr_kernarg_segment_ptr 1
		.amdhsa_user_sgpr_dispatch_id 0
		.amdhsa_user_sgpr_private_segment_size 0
		.amdhsa_wavefront_size32 1
		.amdhsa_uses_dynamic_stack 0
		.amdhsa_enable_private_segment 0
		.amdhsa_system_sgpr_workgroup_id_x 1
		.amdhsa_system_sgpr_workgroup_id_y 0
		.amdhsa_system_sgpr_workgroup_id_z 0
		.amdhsa_system_sgpr_workgroup_info 0
		.amdhsa_system_vgpr_workitem_id 2
		.amdhsa_next_free_vgpr 28
		.amdhsa_next_free_sgpr 29
		.amdhsa_reserve_vcc 1
		.amdhsa_float_round_mode_32 0
		.amdhsa_float_round_mode_16_64 0
		.amdhsa_float_denorm_mode_32 3
		.amdhsa_float_denorm_mode_16_64 3
		.amdhsa_dx10_clamp 1
		.amdhsa_ieee_mode 1
		.amdhsa_fp16_overflow 0
		.amdhsa_workgroup_processor_mode 1
		.amdhsa_memory_ordered 1
		.amdhsa_forward_progress 0
		.amdhsa_shared_vgpr_count 0
		.amdhsa_exception_fp_ieee_invalid_op 0
		.amdhsa_exception_fp_denorm_src 0
		.amdhsa_exception_fp_ieee_div_zero 0
		.amdhsa_exception_fp_ieee_overflow 0
		.amdhsa_exception_fp_ieee_underflow 0
		.amdhsa_exception_fp_ieee_inexact 0
		.amdhsa_exception_int_div_zero 0
	.end_amdhsa_kernel
	.section	.text._ZN9rocsparseL5csrsmILj256ELj64ELb0Eii21rocsparse_complex_numIdEEEv20rocsparse_operation_T3_S4_NS_24const_host_device_scalarIT4_EEPKT2_PKS4_PKS6_PS6_lPiSC_PS4_21rocsparse_index_base_20rocsparse_fill_mode_20rocsparse_diag_type_b,"axG",@progbits,_ZN9rocsparseL5csrsmILj256ELj64ELb0Eii21rocsparse_complex_numIdEEEv20rocsparse_operation_T3_S4_NS_24const_host_device_scalarIT4_EEPKT2_PKS4_PKS6_PS6_lPiSC_PS4_21rocsparse_index_base_20rocsparse_fill_mode_20rocsparse_diag_type_b,comdat
.Lfunc_end39:
	.size	_ZN9rocsparseL5csrsmILj256ELj64ELb0Eii21rocsparse_complex_numIdEEEv20rocsparse_operation_T3_S4_NS_24const_host_device_scalarIT4_EEPKT2_PKS4_PKS6_PS6_lPiSC_PS4_21rocsparse_index_base_20rocsparse_fill_mode_20rocsparse_diag_type_b, .Lfunc_end39-_ZN9rocsparseL5csrsmILj256ELj64ELb0Eii21rocsparse_complex_numIdEEEv20rocsparse_operation_T3_S4_NS_24const_host_device_scalarIT4_EEPKT2_PKS4_PKS6_PS6_lPiSC_PS4_21rocsparse_index_base_20rocsparse_fill_mode_20rocsparse_diag_type_b
                                        ; -- End function
	.section	.AMDGPU.csdata,"",@progbits
; Kernel info:
; codeLenInByte = 2468
; NumSgprs: 31
; NumVgprs: 28
; ScratchSize: 0
; MemoryBound: 0
; FloatMode: 240
; IeeeMode: 1
; LDSByteSize: 7168 bytes/workgroup (compile time only)
; SGPRBlocks: 3
; VGPRBlocks: 3
; NumSGPRsForWavesPerEU: 31
; NumVGPRsForWavesPerEU: 28
; Occupancy: 16
; WaveLimiterHint : 1
; COMPUTE_PGM_RSRC2:SCRATCH_EN: 0
; COMPUTE_PGM_RSRC2:USER_SGPR: 15
; COMPUTE_PGM_RSRC2:TRAP_HANDLER: 0
; COMPUTE_PGM_RSRC2:TGID_X_EN: 1
; COMPUTE_PGM_RSRC2:TGID_Y_EN: 0
; COMPUTE_PGM_RSRC2:TGID_Z_EN: 0
; COMPUTE_PGM_RSRC2:TIDIG_COMP_CNT: 2
	.section	.text._ZN9rocsparseL5csrsmILj512ELj64ELb1Eii21rocsparse_complex_numIdEEEv20rocsparse_operation_T3_S4_NS_24const_host_device_scalarIT4_EEPKT2_PKS4_PKS6_PS6_lPiSC_PS4_21rocsparse_index_base_20rocsparse_fill_mode_20rocsparse_diag_type_b,"axG",@progbits,_ZN9rocsparseL5csrsmILj512ELj64ELb1Eii21rocsparse_complex_numIdEEEv20rocsparse_operation_T3_S4_NS_24const_host_device_scalarIT4_EEPKT2_PKS4_PKS6_PS6_lPiSC_PS4_21rocsparse_index_base_20rocsparse_fill_mode_20rocsparse_diag_type_b,comdat
	.globl	_ZN9rocsparseL5csrsmILj512ELj64ELb1Eii21rocsparse_complex_numIdEEEv20rocsparse_operation_T3_S4_NS_24const_host_device_scalarIT4_EEPKT2_PKS4_PKS6_PS6_lPiSC_PS4_21rocsparse_index_base_20rocsparse_fill_mode_20rocsparse_diag_type_b ; -- Begin function _ZN9rocsparseL5csrsmILj512ELj64ELb1Eii21rocsparse_complex_numIdEEEv20rocsparse_operation_T3_S4_NS_24const_host_device_scalarIT4_EEPKT2_PKS4_PKS6_PS6_lPiSC_PS4_21rocsparse_index_base_20rocsparse_fill_mode_20rocsparse_diag_type_b
	.p2align	8
	.type	_ZN9rocsparseL5csrsmILj512ELj64ELb1Eii21rocsparse_complex_numIdEEEv20rocsparse_operation_T3_S4_NS_24const_host_device_scalarIT4_EEPKT2_PKS4_PKS6_PS6_lPiSC_PS4_21rocsparse_index_base_20rocsparse_fill_mode_20rocsparse_diag_type_b,@function
_ZN9rocsparseL5csrsmILj512ELj64ELb1Eii21rocsparse_complex_numIdEEEv20rocsparse_operation_T3_S4_NS_24const_host_device_scalarIT4_EEPKT2_PKS4_PKS6_PS6_lPiSC_PS4_21rocsparse_index_base_20rocsparse_fill_mode_20rocsparse_diag_type_b: ; @_ZN9rocsparseL5csrsmILj512ELj64ELb1Eii21rocsparse_complex_numIdEEEv20rocsparse_operation_T3_S4_NS_24const_host_device_scalarIT4_EEPKT2_PKS4_PKS6_PS6_lPiSC_PS4_21rocsparse_index_base_20rocsparse_fill_mode_20rocsparse_diag_type_b
; %bb.0:
	s_load_b64 s[0:1], s[0:1], 0x4
	s_load_b128 s[8:11], s[2:3], 0x10
	v_and_b32_e32 v21, 0x3ff, v0
	s_load_b128 s[4:7], s[2:3], 0x60
	v_bfe_u32 v2, v0, 10, 10
	v_bfe_u32 v0, v0, 20, 10
	s_mov_b64 s[12:13], src_shared_base
	s_waitcnt lgkmcnt(0)
	s_lshr_b32 s0, s0, 16
	s_delay_alu instid0(SALU_CYCLE_1) | instskip(NEXT) | instid1(SALU_CYCLE_1)
	s_mul_i32 s0, s0, s1
	v_mul_lo_u32 v1, s0, v21
	s_and_b32 s0, 1, s7
	s_delay_alu instid0(SALU_CYCLE_1) | instskip(SKIP_1) | instid1(VALU_DEP_1)
	s_cmp_eq_u32 s0, 1
	s_cselect_b32 vcc_lo, -1, 0
	v_mad_u32_u24 v1, v2, s1, v1
	s_load_b64 s[0:1], s[2:3], 0x20
	v_dual_mov_b32 v2, s8 :: v_dual_mov_b32 v3, s9
	v_mov_b32_e32 v6, s10
	s_delay_alu instid0(VALU_DEP_3) | instskip(NEXT) | instid1(VALU_DEP_1)
	v_add_lshl_u32 v4, v1, v0, 3
	v_dual_mov_b32 v7, s11 :: v_dual_add_nc_u32 v0, 0x2800, v4
	ds_store_b64 v4, v[2:3] offset:10240
	v_cndmask_b32_e32 v0, s8, v0, vcc_lo
	s_and_b32 vcc_lo, vcc_lo, exec_lo
	s_cselect_b32 s7, s13, s9
	s_delay_alu instid0(SALU_CYCLE_1)
	v_mov_b32_e32 v1, s7
	flat_load_b64 v[4:5], v[0:1]
	s_clause 0x1
	s_load_b64 s[12:13], s[2:3], 0x50
	s_load_b64 s[20:21], s[2:3], 0x38
	s_cbranch_vccnz .LBB40_2
; %bb.1:
	v_dual_mov_b32 v0, s8 :: v_dual_mov_b32 v1, s9
	flat_load_b64 v[6:7], v[0:1] offset:8
.LBB40_2:
	s_clause 0x1
	s_load_b128 s[8:11], s[2:3], 0x0
	s_load_b64 s[16:17], s[2:3], 0x40
	s_waitcnt lgkmcnt(0)
	v_cvt_f32_u32_e32 v0, s9
	s_sub_i32 s11, 0, s9
	s_delay_alu instid0(VALU_DEP_1) | instskip(SKIP_2) | instid1(VALU_DEP_1)
	v_rcp_iflag_f32_e32 v0, v0
	s_waitcnt_depctr 0xfff
	v_mul_f32_e32 v0, 0x4f7ffffe, v0
	v_cvt_u32_f32_e32 v0, v0
	s_delay_alu instid0(VALU_DEP_1) | instskip(NEXT) | instid1(VALU_DEP_1)
	v_readfirstlane_b32 s7, v0
	s_mul_i32 s11, s11, s7
	s_delay_alu instid0(SALU_CYCLE_1) | instskip(NEXT) | instid1(SALU_CYCLE_1)
	s_mul_hi_u32 s11, s7, s11
	s_add_i32 s7, s7, s11
	s_delay_alu instid0(SALU_CYCLE_1) | instskip(NEXT) | instid1(SALU_CYCLE_1)
	s_mul_hi_u32 s7, s15, s7
	s_mul_i32 s11, s7, s9
	s_add_i32 s14, s7, 1
	s_sub_i32 s11, s15, s11
	s_delay_alu instid0(SALU_CYCLE_1)
	s_sub_i32 s18, s11, s9
	s_cmp_ge_u32 s11, s9
	s_cselect_b32 s7, s14, s7
	s_cselect_b32 s11, s18, s11
	s_add_i32 s14, s7, 1
	s_cmp_ge_u32 s11, s9
	s_cselect_b32 s11, s14, s7
	s_delay_alu instid0(SALU_CYCLE_1) | instskip(SKIP_2) | instid1(SALU_CYCLE_1)
	s_mul_i32 s7, s11, s9
	v_lshl_or_b32 v8, s11, 9, v21
	s_sub_i32 s14, s15, s7
	s_ashr_i32 s15, s14, 31
	s_delay_alu instid0(VALU_DEP_1) | instskip(SKIP_1) | instid1(SALU_CYCLE_1)
	v_ashrrev_i32_e32 v9, 31, v8
	s_lshl_b64 s[14:15], s[14:15], 2
	s_add_u32 s12, s12, s14
	s_addc_u32 s13, s13, s15
	s_load_b32 s12, s[12:13], 0x0
	s_waitcnt lgkmcnt(0)
	s_ashr_i32 s13, s12, 31
	s_delay_alu instid0(SALU_CYCLE_1) | instskip(NEXT) | instid1(SALU_CYCLE_1)
	s_lshl_b64 s[14:15], s[12:13], 2
	s_add_u32 s0, s0, s14
	s_addc_u32 s1, s1, s15
	s_mul_i32 s14, s12, s16
	s_load_b64 s[22:23], s[0:1], 0x0
	s_mul_i32 s0, s12, s17
	s_mul_hi_u32 s1, s12, s16
	v_add_co_u32 v10, vcc_lo, s14, v8
	s_add_i32 s0, s1, s0
	s_mul_i32 s1, s13, s16
	s_delay_alu instid0(SALU_CYCLE_1)
	s_add_i32 s15, s0, s1
	v_cmp_gt_i32_e64 s0, s10, v8
	v_add_co_ci_u32_e32 v11, vcc_lo, s15, v9, vcc_lo
	s_cmpk_lg_i32 s8, 0x71
	s_cbranch_scc0 .LBB40_6
; %bb.3:
	v_mov_b32_e32 v2, 0
	v_mov_b32_e32 v3, 0
	s_delay_alu instid0(VALU_DEP_1)
	v_dual_mov_b32 v0, v2 :: v_dual_mov_b32 v1, v3
	s_and_saveexec_b32 s1, s0
	s_cbranch_execz .LBB40_5
; %bb.4:
	v_lshlrev_b64 v[0:1], 4, v[10:11]
	s_delay_alu instid0(VALU_DEP_1) | instskip(NEXT) | instid1(VALU_DEP_2)
	v_add_co_u32 v0, vcc_lo, s20, v0
	v_add_co_ci_u32_e32 v1, vcc_lo, s21, v1, vcc_lo
	global_load_b128 v[12:15], v[0:1], off
	s_waitcnt vmcnt(0)
	v_mul_f64 v[0:1], v[14:15], -v[6:7]
	v_mul_f64 v[2:3], v[4:5], v[14:15]
	s_delay_alu instid0(VALU_DEP_2) | instskip(NEXT) | instid1(VALU_DEP_2)
	v_fma_f64 v[0:1], v[4:5], v[12:13], v[0:1]
	v_fma_f64 v[2:3], v[6:7], v[12:13], v[2:3]
.LBB40_5:
	s_or_b32 exec_lo, exec_lo, s1
	s_load_b64 s[18:19], s[2:3], 0x48
	s_cbranch_execz .LBB40_7
	s_branch .LBB40_10
.LBB40_6:
                                        ; implicit-def: $vgpr2_vgpr3
	s_load_b64 s[18:19], s[2:3], 0x48
.LBB40_7:
	v_mov_b32_e32 v2, 0
	v_mov_b32_e32 v3, 0
	s_delay_alu instid0(VALU_DEP_1)
	v_dual_mov_b32 v0, v2 :: v_dual_mov_b32 v1, v3
	s_and_saveexec_b32 s1, s0
	s_cbranch_execz .LBB40_9
; %bb.8:
	v_lshlrev_b64 v[0:1], 4, v[10:11]
	s_delay_alu instid0(VALU_DEP_1) | instskip(NEXT) | instid1(VALU_DEP_2)
	v_add_co_u32 v0, vcc_lo, s20, v0
	v_add_co_ci_u32_e32 v1, vcc_lo, s21, v1, vcc_lo
	global_load_b128 v[10:13], v[0:1], off
	s_waitcnt vmcnt(0)
	v_mul_f64 v[0:1], v[6:7], v[12:13]
	v_mul_f64 v[2:3], v[4:5], -v[12:13]
	s_delay_alu instid0(VALU_DEP_2) | instskip(NEXT) | instid1(VALU_DEP_2)
	v_fma_f64 v[0:1], v[4:5], v[10:11], v[0:1]
	v_fma_f64 v[2:3], v[6:7], v[10:11], v[2:3]
.LBB40_9:
	s_or_b32 exec_lo, exec_lo, s1
.LBB40_10:
	s_waitcnt vmcnt(0)
	v_lshlrev_b64 v[4:5], 4, v[8:9]
	v_cmp_eq_u32_e64 s1, 0, v21
	s_waitcnt lgkmcnt(0)
	s_cmp_ge_i32 s22, s23
	s_delay_alu instid0(VALU_DEP_2) | instskip(NEXT) | instid1(VALU_DEP_3)
	v_add_co_u32 v22, vcc_lo, s20, v4
	v_add_co_ci_u32_e32 v23, vcc_lo, s21, v5, vcc_lo
	s_cbranch_scc1 .LBB40_55
; %bb.11:
	s_clause 0x1
	s_load_b64 s[20:21], s[2:3], 0x58
	s_load_b128 s[8:11], s[2:3], 0x28
	v_mov_b32_e32 v9, 0
	v_dual_mov_b32 v11, 0 :: v_dual_mov_b32 v8, 0
	s_sub_i32 s13, s22, s4
	s_sub_i32 s22, s23, s4
	v_lshl_or_b32 v24, v21, 2, 0x2000
	v_dual_mov_b32 v10, 0 :: v_dual_lshlrev_b32 v25, 4, v21
	v_mov_b32_e32 v12, 0x3ff00000
	s_cmp_eq_u32 s6, 0
	s_mov_b32 s25, s13
	s_cselect_b32 s23, -1, 0
	s_add_i32 s24, s12, s4
	s_branch .LBB40_14
.LBB40_12:                              ;   in Loop: Header=BB40_14 Depth=1
	s_add_i32 s25, s25, 1
	s_delay_alu instid0(SALU_CYCLE_1)
	s_cmp_ge_i32 s25, s22
	s_cselect_b32 s2, -1, 0
.LBB40_13:                              ;   in Loop: Header=BB40_14 Depth=1
	s_delay_alu instid0(VALU_DEP_3) | instskip(NEXT) | instid1(VALU_DEP_4)
	v_dual_mov_b32 v2, v17 :: v_dual_mov_b32 v3, v18
	v_dual_mov_b32 v0, v19 :: v_dual_mov_b32 v1, v20
	s_delay_alu instid0(VALU_DEP_4) | instskip(NEXT) | instid1(VALU_DEP_4)
	v_dual_mov_b32 v9, v13 :: v_dual_mov_b32 v10, v14
	v_dual_mov_b32 v11, v15 :: v_dual_mov_b32 v12, v16
	s_and_not1_b32 vcc_lo, exec_lo, s2
	s_cbranch_vccz .LBB40_56
.LBB40_14:                              ; =>This Loop Header: Depth=1
                                        ;     Child Loop BB40_53 Depth 2
                                        ;       Child Loop BB40_54 Depth 3
	s_sub_i32 s2, s25, s13
	s_delay_alu instid0(SALU_CYCLE_1) | instskip(NEXT) | instid1(SALU_CYCLE_1)
	s_and_b32 s3, s2, 0x1ff
	s_cmp_lg_u32 s3, 0
	s_cbranch_scc1 .LBB40_18
; %bb.15:                               ;   in Loop: Header=BB40_14 Depth=1
	s_sub_i32 s2, s22, s25
	v_mov_b32_e32 v6, 0
	v_dual_mov_b32 v7, 0 :: v_dual_mov_b32 v4, 0
	v_cmp_gt_u32_e32 vcc_lo, s2, v21
	v_mov_b32_e32 v5, 0xbff00000
	v_mov_b32_e32 v13, -1
	s_and_saveexec_b32 s2, vcc_lo
	s_cbranch_execz .LBB40_17
; %bb.16:                               ;   in Loop: Header=BB40_14 Depth=1
	v_add_nc_u32_e32 v7, s25, v21
	s_delay_alu instid0(VALU_DEP_1) | instskip(SKIP_2) | instid1(VALU_DEP_2)
	v_lshlrev_b64 v[4:5], 2, v[7:8]
	v_lshlrev_b64 v[6:7], 4, v[7:8]
	s_waitcnt lgkmcnt(0)
	v_add_co_u32 v4, vcc_lo, s8, v4
	s_delay_alu instid0(VALU_DEP_3)
	v_add_co_ci_u32_e32 v5, vcc_lo, s9, v5, vcc_lo
	global_load_b32 v13, v[4:5], off
	v_add_co_u32 v4, vcc_lo, s10, v6
	v_add_co_ci_u32_e32 v5, vcc_lo, s11, v7, vcc_lo
	global_load_b128 v[4:7], v[4:5], off
	s_waitcnt vmcnt(1)
	v_subrev_nc_u32_e32 v13, s4, v13
.LBB40_17:                              ;   in Loop: Header=BB40_14 Depth=1
	s_or_b32 exec_lo, exec_lo, s2
	ds_store_b32 v24, v13
	s_waitcnt vmcnt(0)
	ds_store_b128 v25, v[4:7]
.LBB40_18:                              ;   in Loop: Header=BB40_14 Depth=1
	s_lshl_b32 s2, s3, 4
	s_waitcnt lgkmcnt(0)
	v_mov_b32_e32 v4, s2
	s_waitcnt_vscnt null, 0x0
	s_barrier
	buffer_gl0_inv
	s_lshl_b32 s3, s3, 2
	ds_load_b128 v[13:16], v4
	v_mov_b32_e32 v4, s3
	ds_load_b32 v4, v4 offset:8192
	s_waitcnt lgkmcnt(1)
	v_cmp_eq_f64_e32 vcc_lo, 0, v[13:14]
	v_cmp_eq_f64_e64 s2, 0, v[15:16]
	s_waitcnt lgkmcnt(0)
	v_readfirstlane_b32 s26, v4
	v_cmp_ne_u32_e64 s3, s12, v4
	s_delay_alu instid0(VALU_DEP_3) | instskip(NEXT) | instid1(VALU_DEP_2)
	s_and_b32 s2, vcc_lo, s2
	s_cmp_eq_u32 s26, s12
	s_cselect_b32 s28, -1, 0
	s_delay_alu instid0(SALU_CYCLE_1) | instskip(NEXT) | instid1(SALU_CYCLE_1)
	s_and_b32 s2, s2, s28
	s_and_b32 s2, s23, s2
	s_delay_alu instid0(SALU_CYCLE_1) | instskip(SKIP_4) | instid1(SALU_CYCLE_1)
	v_cndmask_b32_e64 v5, v16, 0, s2
	v_cndmask_b32_e64 v4, v15, 0, s2
	;; [unrolled: 1-line block ×4, first 2 shown]
	s_and_b32 s27, s1, s2
	s_and_saveexec_b32 s2, s27
	s_cbranch_execz .LBB40_22
; %bb.19:                               ;   in Loop: Header=BB40_14 Depth=1
	v_mbcnt_lo_u32_b32 v4, exec_lo, 0
	s_mov_b32 s27, exec_lo
	s_delay_alu instid0(VALU_DEP_1)
	v_cmpx_eq_u32_e32 0, v4
	s_cbranch_execz .LBB40_21
; %bb.20:                               ;   in Loop: Header=BB40_14 Depth=1
	v_mov_b32_e32 v4, s24
	global_atomic_min_i32 v8, v4, s[20:21]
.LBB40_21:                              ;   in Loop: Header=BB40_14 Depth=1
	s_or_b32 exec_lo, exec_lo, s27
	v_mov_b32_e32 v4, 0
	v_dual_mov_b32 v5, 0 :: v_dual_mov_b32 v6, 0
	v_mov_b32_e32 v7, 0x3ff00000
.LBB40_22:                              ;   in Loop: Header=BB40_14 Depth=1
	s_or_b32 exec_lo, exec_lo, s2
	s_cmp_lt_i32 s5, 1
	s_mov_b32 s2, 0
	s_cbranch_scc1 .LBB40_28
; %bb.23:                               ;   in Loop: Header=BB40_14 Depth=1
	s_cmp_eq_u32 s5, 1
	s_cbranch_scc0 .LBB40_29
; %bb.24:                               ;   in Loop: Header=BB40_14 Depth=1
	v_dual_mov_b32 v14, v10 :: v_dual_mov_b32 v13, v9
	v_dual_mov_b32 v16, v12 :: v_dual_mov_b32 v15, v11
	s_cmp_ge_i32 s26, s12
	s_mov_b32 s27, 0
	s_cbranch_scc0 .LBB40_31
; %bb.25:                               ;   in Loop: Header=BB40_14 Depth=1
	s_and_b32 vcc_lo, exec_lo, s28
	s_cbranch_vccz .LBB40_30
; %bb.26:                               ;   in Loop: Header=BB40_14 Depth=1
	v_dual_mov_b32 v14, v10 :: v_dual_mov_b32 v13, v9
	v_dual_mov_b32 v16, v12 :: v_dual_mov_b32 v15, v11
	s_and_not1_b32 vcc_lo, exec_lo, s23
	s_cbranch_vccnz .LBB40_31
; %bb.27:                               ;   in Loop: Header=BB40_14 Depth=1
	v_mul_f64 v[13:14], v[4:5], v[4:5]
	s_delay_alu instid0(VALU_DEP_1) | instskip(NEXT) | instid1(VALU_DEP_1)
	v_fma_f64 v[13:14], v[6:7], v[6:7], v[13:14]
	v_div_scale_f64 v[15:16], null, v[13:14], v[13:14], 1.0
	v_div_scale_f64 v[26:27], vcc_lo, 1.0, v[13:14], 1.0
	s_delay_alu instid0(VALU_DEP_2) | instskip(SKIP_2) | instid1(VALU_DEP_1)
	v_rcp_f64_e32 v[17:18], v[15:16]
	s_waitcnt_depctr 0xfff
	v_fma_f64 v[19:20], -v[15:16], v[17:18], 1.0
	v_fma_f64 v[17:18], v[17:18], v[19:20], v[17:18]
	s_delay_alu instid0(VALU_DEP_1) | instskip(NEXT) | instid1(VALU_DEP_1)
	v_fma_f64 v[19:20], -v[15:16], v[17:18], 1.0
	v_fma_f64 v[17:18], v[17:18], v[19:20], v[17:18]
	s_delay_alu instid0(VALU_DEP_1) | instskip(NEXT) | instid1(VALU_DEP_1)
	v_mul_f64 v[19:20], v[26:27], v[17:18]
	v_fma_f64 v[15:16], -v[15:16], v[19:20], v[26:27]
	s_delay_alu instid0(VALU_DEP_1) | instskip(SKIP_2) | instid1(VALU_DEP_3)
	v_div_fmas_f64 v[15:16], v[15:16], v[17:18], v[19:20]
	v_fma_f64 v[17:18], v[4:5], 0, v[6:7]
	v_fma_f64 v[19:20], v[6:7], 0, -v[4:5]
	v_div_fixup_f64 v[13:14], v[15:16], v[13:14], 1.0
	s_delay_alu instid0(VALU_DEP_1) | instskip(NEXT) | instid1(VALU_DEP_3)
	v_mul_f64 v[15:16], v[17:18], v[13:14]
	v_mul_f64 v[13:14], v[19:20], v[13:14]
	s_branch .LBB40_31
.LBB40_28:                              ;   in Loop: Header=BB40_14 Depth=1
	s_mov_b32 s27, 0
                                        ; implicit-def: $sgpr28
                                        ; implicit-def: $vgpr17_vgpr18
                                        ; implicit-def: $vgpr19_vgpr20
                                        ; implicit-def: $vgpr13_vgpr14
                                        ; implicit-def: $vgpr15_vgpr16
	s_cbranch_execnz .LBB40_32
	s_branch .LBB40_34
.LBB40_29:                              ;   in Loop: Header=BB40_14 Depth=1
	s_mov_b32 s27, -1
                                        ; implicit-def: $sgpr28
                                        ; implicit-def: $vgpr17_vgpr18
                                        ; implicit-def: $vgpr19_vgpr20
                                        ; implicit-def: $vgpr13_vgpr14
                                        ; implicit-def: $vgpr15_vgpr16
	s_branch .LBB40_34
.LBB40_30:                              ;   in Loop: Header=BB40_14 Depth=1
	s_mov_b32 s27, -1
                                        ; implicit-def: $vgpr13_vgpr14
                                        ; implicit-def: $vgpr15_vgpr16
.LBB40_31:                              ;   in Loop: Header=BB40_14 Depth=1
	v_dual_mov_b32 v18, v3 :: v_dual_mov_b32 v17, v2
	v_dual_mov_b32 v20, v1 :: v_dual_mov_b32 v19, v0
	s_mov_b32 s28, 4
	s_branch .LBB40_34
.LBB40_32:                              ;   in Loop: Header=BB40_14 Depth=1
	s_cmp_eq_u32 s5, 0
	s_cbranch_scc1 .LBB40_38
; %bb.33:                               ;   in Loop: Header=BB40_14 Depth=1
	s_mov_b32 s27, -1
                                        ; implicit-def: $sgpr28
                                        ; implicit-def: $vgpr17_vgpr18
                                        ; implicit-def: $vgpr19_vgpr20
                                        ; implicit-def: $vgpr13_vgpr14
                                        ; implicit-def: $vgpr15_vgpr16
.LBB40_34:                              ;   in Loop: Header=BB40_14 Depth=1
	s_delay_alu instid0(SALU_CYCLE_1)
	s_and_b32 vcc_lo, exec_lo, s27
	s_cbranch_vccnz .LBB40_41
.LBB40_35:                              ;   in Loop: Header=BB40_14 Depth=1
	s_and_b32 vcc_lo, exec_lo, s2
	s_cbranch_vccnz .LBB40_46
.LBB40_36:                              ;   in Loop: Header=BB40_14 Depth=1
	s_cmp_gt_i32 s28, 3
	s_mov_b32 s2, -1
	s_cbranch_scc1 .LBB40_49
.LBB40_37:                              ;   in Loop: Header=BB40_14 Depth=1
	s_cmp_eq_u32 s28, 0
	s_cselect_b32 s3, -1, 0
	s_delay_alu instid0(SALU_CYCLE_1)
	s_and_not1_b32 vcc_lo, exec_lo, s3
	s_cbranch_vccz .LBB40_12
	s_branch .LBB40_50
.LBB40_38:                              ;   in Loop: Header=BB40_14 Depth=1
	s_cmp_le_i32 s26, s12
	s_mov_b32 s27, 0
	s_cbranch_scc0 .LBB40_40
; %bb.39:                               ;   in Loop: Header=BB40_14 Depth=1
	s_mov_b32 s2, -1
	s_mov_b32 s27, s3
.LBB40_40:                              ;   in Loop: Header=BB40_14 Depth=1
	v_dual_mov_b32 v18, v3 :: v_dual_mov_b32 v17, v2
	v_dual_mov_b32 v20, v1 :: v_dual_mov_b32 v19, v0
	;; [unrolled: 1-line block ×4, first 2 shown]
	s_mov_b32 s28, 2
	s_and_b32 vcc_lo, exec_lo, s27
	s_cbranch_vccz .LBB40_35
.LBB40_41:                              ;   in Loop: Header=BB40_14 Depth=1
	s_and_saveexec_b32 s27, s1
	s_cbranch_execz .LBB40_43
; %bb.42:                               ;   in Loop: Header=BB40_14 Depth=1
	s_add_i32 s2, s26, s7
	s_delay_alu instid0(SALU_CYCLE_1) | instskip(NEXT) | instid1(SALU_CYCLE_1)
	s_ashr_i32 s3, s2, 31
	s_lshl_b64 s[2:3], s[2:3], 2
	s_delay_alu instid0(SALU_CYCLE_1)
	s_add_u32 s2, s18, s2
	s_addc_u32 s3, s19, s3
	global_load_b32 v13, v8, s[2:3] glc
	s_waitcnt vmcnt(0)
	v_cmp_ne_u32_e32 vcc_lo, 0, v13
	s_cbranch_vccz .LBB40_51
.LBB40_43:                              ;   in Loop: Header=BB40_14 Depth=1
	s_or_b32 exec_lo, exec_lo, s27
	v_mov_b32_e32 v17, 0
	v_mov_b32_e32 v18, 0
	s_waitcnt_vscnt null, 0x0
	s_barrier
	buffer_gl0_inv
	buffer_gl1_inv
	buffer_gl0_inv
	v_dual_mov_b32 v20, v18 :: v_dual_mov_b32 v19, v17
	s_and_saveexec_b32 s2, s0
	s_cbranch_execz .LBB40_45
; %bb.44:                               ;   in Loop: Header=BB40_14 Depth=1
	s_mul_i32 s3, s26, s17
	s_mul_hi_u32 s27, s26, s16
	s_ashr_i32 s28, s26, 31
	s_add_i32 s3, s27, s3
	s_mul_i32 s28, s28, s16
	s_mul_i32 s26, s26, s16
	s_add_i32 s27, s3, s28
	s_delay_alu instid0(SALU_CYCLE_1) | instskip(NEXT) | instid1(SALU_CYCLE_1)
	s_lshl_b64 s[26:27], s[26:27], 4
	v_add_co_u32 v13, vcc_lo, v22, s26
	v_add_co_ci_u32_e32 v14, vcc_lo, s27, v23, vcc_lo
	global_load_b128 v[13:16], v[13:14], off
	s_waitcnt vmcnt(0)
	v_fma_f64 v[17:18], -v[6:7], v[13:14], v[0:1]
	v_fma_f64 v[13:14], -v[4:5], v[13:14], v[2:3]
	s_delay_alu instid0(VALU_DEP_2) | instskip(NEXT) | instid1(VALU_DEP_2)
	v_fma_f64 v[19:20], v[4:5], v[15:16], v[17:18]
	v_fma_f64 v[17:18], -v[6:7], v[15:16], v[13:14]
.LBB40_45:                              ;   in Loop: Header=BB40_14 Depth=1
	s_or_b32 exec_lo, exec_lo, s2
	v_dual_mov_b32 v14, v10 :: v_dual_mov_b32 v13, v9
	v_dual_mov_b32 v16, v12 :: v_dual_mov_b32 v15, v11
	s_mov_b32 s28, 0
	s_branch .LBB40_36
.LBB40_46:                              ;   in Loop: Header=BB40_14 Depth=1
	s_and_not1_b32 vcc_lo, exec_lo, s23
	s_cbranch_vccnz .LBB40_48
; %bb.47:                               ;   in Loop: Header=BB40_14 Depth=1
	v_mul_f64 v[9:10], v[4:5], v[4:5]
	s_delay_alu instid0(VALU_DEP_1) | instskip(NEXT) | instid1(VALU_DEP_1)
	v_fma_f64 v[9:10], v[6:7], v[6:7], v[9:10]
	v_div_scale_f64 v[11:12], null, v[9:10], v[9:10], 1.0
	v_div_scale_f64 v[17:18], vcc_lo, 1.0, v[9:10], 1.0
	s_delay_alu instid0(VALU_DEP_2) | instskip(SKIP_2) | instid1(VALU_DEP_1)
	v_rcp_f64_e32 v[13:14], v[11:12]
	s_waitcnt_depctr 0xfff
	v_fma_f64 v[15:16], -v[11:12], v[13:14], 1.0
	v_fma_f64 v[13:14], v[13:14], v[15:16], v[13:14]
	s_delay_alu instid0(VALU_DEP_1) | instskip(NEXT) | instid1(VALU_DEP_1)
	v_fma_f64 v[15:16], -v[11:12], v[13:14], 1.0
	v_fma_f64 v[13:14], v[13:14], v[15:16], v[13:14]
	s_delay_alu instid0(VALU_DEP_1) | instskip(NEXT) | instid1(VALU_DEP_1)
	v_mul_f64 v[15:16], v[17:18], v[13:14]
	v_fma_f64 v[11:12], -v[11:12], v[15:16], v[17:18]
	s_delay_alu instid0(VALU_DEP_1) | instskip(SKIP_2) | instid1(VALU_DEP_3)
	v_div_fmas_f64 v[11:12], v[11:12], v[13:14], v[15:16]
	v_fma_f64 v[13:14], v[4:5], 0, v[6:7]
	v_fma_f64 v[4:5], v[6:7], 0, -v[4:5]
	v_div_fixup_f64 v[9:10], v[11:12], v[9:10], 1.0
	s_delay_alu instid0(VALU_DEP_1) | instskip(NEXT) | instid1(VALU_DEP_3)
	v_mul_f64 v[11:12], v[13:14], v[9:10]
	v_mul_f64 v[9:10], v[4:5], v[9:10]
.LBB40_48:                              ;   in Loop: Header=BB40_14 Depth=1
	s_delay_alu instid0(VALU_DEP_2) | instskip(NEXT) | instid1(VALU_DEP_2)
	v_dual_mov_b32 v16, v12 :: v_dual_mov_b32 v15, v11
	v_dual_mov_b32 v14, v10 :: v_dual_mov_b32 v13, v9
	;; [unrolled: 1-line block ×4, first 2 shown]
	s_mov_b32 s28, 2
	s_delay_alu instid0(SALU_CYCLE_1)
	s_cmp_gt_i32 s28, 3
	s_mov_b32 s2, -1
	s_cbranch_scc0 .LBB40_37
.LBB40_49:                              ;   in Loop: Header=BB40_14 Depth=1
	s_branch .LBB40_12
.LBB40_50:                              ;   in Loop: Header=BB40_14 Depth=1
                                        ; implicit-def: $sgpr25
	s_branch .LBB40_13
.LBB40_51:                              ;   in Loop: Header=BB40_14 Depth=1
	s_mov_b32 s28, 0
	s_branch .LBB40_53
	.p2align	6
.LBB40_52:                              ;   in Loop: Header=BB40_53 Depth=2
	global_load_b32 v13, v8, s[2:3] glc
	s_cmpk_lt_u32 s28, 0xf43
	s_cselect_b32 s29, -1, 0
	s_delay_alu instid0(SALU_CYCLE_1)
	s_cmp_lg_u32 s29, 0
	s_addc_u32 s28, s28, 0
	s_waitcnt vmcnt(0)
	v_cmp_ne_u32_e32 vcc_lo, 0, v13
	s_cbranch_vccnz .LBB40_43
.LBB40_53:                              ;   Parent Loop BB40_14 Depth=1
                                        ; =>  This Loop Header: Depth=2
                                        ;       Child Loop BB40_54 Depth 3
	s_cmp_eq_u32 s28, 0
	s_mov_b32 s29, s28
	s_cbranch_scc1 .LBB40_52
.LBB40_54:                              ;   Parent Loop BB40_14 Depth=1
                                        ;     Parent Loop BB40_53 Depth=2
                                        ; =>    This Inner Loop Header: Depth=3
	s_add_i32 s29, s29, -1
	s_sleep 1
	s_cmp_eq_u32 s29, 0
	s_cbranch_scc0 .LBB40_54
	s_branch .LBB40_52
.LBB40_55:
	v_mov_b32_e32 v13, 0
	v_dual_mov_b32 v14, 0 :: v_dual_mov_b32 v15, 0
	v_mov_b32_e32 v16, 0x3ff00000
	s_cmp_lg_u32 s6, 0
	s_cbranch_scc1 .LBB40_58
	s_branch .LBB40_57
.LBB40_56:
	v_dual_mov_b32 v2, v17 :: v_dual_mov_b32 v3, v18
	v_dual_mov_b32 v0, v19 :: v_dual_mov_b32 v1, v20
	s_cmp_lg_u32 s6, 0
	s_cbranch_scc1 .LBB40_58
.LBB40_57:
	s_delay_alu instid0(VALU_DEP_2) | instskip(NEXT) | instid1(VALU_DEP_2)
	v_mul_f64 v[4:5], v[13:14], -v[2:3]
	v_mul_f64 v[6:7], v[13:14], v[0:1]
	s_delay_alu instid0(VALU_DEP_2) | instskip(NEXT) | instid1(VALU_DEP_2)
	v_fma_f64 v[0:1], v[0:1], v[15:16], v[4:5]
	v_fma_f64 v[2:3], v[2:3], v[15:16], v[6:7]
.LBB40_58:
	s_and_saveexec_b32 s1, s0
	s_cbranch_execz .LBB40_60
; %bb.59:
	s_lshl_b64 s[2:3], s[14:15], 4
	s_delay_alu instid0(SALU_CYCLE_1)
	v_add_co_u32 v4, vcc_lo, v22, s2
	v_add_co_ci_u32_e32 v5, vcc_lo, s3, v23, vcc_lo
	global_store_b128 v[4:5], v[0:3], off
.LBB40_60:
	s_or_b32 exec_lo, exec_lo, s1
	s_waitcnt_vscnt null, 0x0
	buffer_gl1_inv
	buffer_gl0_inv
	s_barrier
	buffer_gl0_inv
	s_mov_b32 s0, exec_lo
	v_cmpx_eq_u32_e32 0, v21
	s_cbranch_execz .LBB40_62
; %bb.61:
	s_add_i32 s0, s12, s7
	v_dual_mov_b32 v0, 0 :: v_dual_mov_b32 v1, 1
	s_ashr_i32 s1, s0, 31
	s_delay_alu instid0(SALU_CYCLE_1) | instskip(NEXT) | instid1(SALU_CYCLE_1)
	s_lshl_b64 s[0:1], s[0:1], 2
	s_add_u32 s0, s18, s0
	s_addc_u32 s1, s19, s1
	global_store_b32 v0, v1, s[0:1]
.LBB40_62:
	s_nop 0
	s_sendmsg sendmsg(MSG_DEALLOC_VGPRS)
	s_endpgm
	.section	.rodata,"a",@progbits
	.p2align	6, 0x0
	.amdhsa_kernel _ZN9rocsparseL5csrsmILj512ELj64ELb1Eii21rocsparse_complex_numIdEEEv20rocsparse_operation_T3_S4_NS_24const_host_device_scalarIT4_EEPKT2_PKS4_PKS6_PS6_lPiSC_PS4_21rocsparse_index_base_20rocsparse_fill_mode_20rocsparse_diag_type_b
		.amdhsa_group_segment_fixed_size 14336
		.amdhsa_private_segment_fixed_size 0
		.amdhsa_kernarg_size 112
		.amdhsa_user_sgpr_count 15
		.amdhsa_user_sgpr_dispatch_ptr 1
		.amdhsa_user_sgpr_queue_ptr 0
		.amdhsa_user_sgpr_kernarg_segment_ptr 1
		.amdhsa_user_sgpr_dispatch_id 0
		.amdhsa_user_sgpr_private_segment_size 0
		.amdhsa_wavefront_size32 1
		.amdhsa_uses_dynamic_stack 0
		.amdhsa_enable_private_segment 0
		.amdhsa_system_sgpr_workgroup_id_x 1
		.amdhsa_system_sgpr_workgroup_id_y 0
		.amdhsa_system_sgpr_workgroup_id_z 0
		.amdhsa_system_sgpr_workgroup_info 0
		.amdhsa_system_vgpr_workitem_id 2
		.amdhsa_next_free_vgpr 28
		.amdhsa_next_free_sgpr 30
		.amdhsa_reserve_vcc 1
		.amdhsa_float_round_mode_32 0
		.amdhsa_float_round_mode_16_64 0
		.amdhsa_float_denorm_mode_32 3
		.amdhsa_float_denorm_mode_16_64 3
		.amdhsa_dx10_clamp 1
		.amdhsa_ieee_mode 1
		.amdhsa_fp16_overflow 0
		.amdhsa_workgroup_processor_mode 1
		.amdhsa_memory_ordered 1
		.amdhsa_forward_progress 0
		.amdhsa_shared_vgpr_count 0
		.amdhsa_exception_fp_ieee_invalid_op 0
		.amdhsa_exception_fp_denorm_src 0
		.amdhsa_exception_fp_ieee_div_zero 0
		.amdhsa_exception_fp_ieee_overflow 0
		.amdhsa_exception_fp_ieee_underflow 0
		.amdhsa_exception_fp_ieee_inexact 0
		.amdhsa_exception_int_div_zero 0
	.end_amdhsa_kernel
	.section	.text._ZN9rocsparseL5csrsmILj512ELj64ELb1Eii21rocsparse_complex_numIdEEEv20rocsparse_operation_T3_S4_NS_24const_host_device_scalarIT4_EEPKT2_PKS4_PKS6_PS6_lPiSC_PS4_21rocsparse_index_base_20rocsparse_fill_mode_20rocsparse_diag_type_b,"axG",@progbits,_ZN9rocsparseL5csrsmILj512ELj64ELb1Eii21rocsparse_complex_numIdEEEv20rocsparse_operation_T3_S4_NS_24const_host_device_scalarIT4_EEPKT2_PKS4_PKS6_PS6_lPiSC_PS4_21rocsparse_index_base_20rocsparse_fill_mode_20rocsparse_diag_type_b,comdat
.Lfunc_end40:
	.size	_ZN9rocsparseL5csrsmILj512ELj64ELb1Eii21rocsparse_complex_numIdEEEv20rocsparse_operation_T3_S4_NS_24const_host_device_scalarIT4_EEPKT2_PKS4_PKS6_PS6_lPiSC_PS4_21rocsparse_index_base_20rocsparse_fill_mode_20rocsparse_diag_type_b, .Lfunc_end40-_ZN9rocsparseL5csrsmILj512ELj64ELb1Eii21rocsparse_complex_numIdEEEv20rocsparse_operation_T3_S4_NS_24const_host_device_scalarIT4_EEPKT2_PKS4_PKS6_PS6_lPiSC_PS4_21rocsparse_index_base_20rocsparse_fill_mode_20rocsparse_diag_type_b
                                        ; -- End function
	.section	.AMDGPU.csdata,"",@progbits
; Kernel info:
; codeLenInByte = 2528
; NumSgprs: 32
; NumVgprs: 28
; ScratchSize: 0
; MemoryBound: 0
; FloatMode: 240
; IeeeMode: 1
; LDSByteSize: 14336 bytes/workgroup (compile time only)
; SGPRBlocks: 3
; VGPRBlocks: 3
; NumSGPRsForWavesPerEU: 32
; NumVGPRsForWavesPerEU: 28
; Occupancy: 16
; WaveLimiterHint : 1
; COMPUTE_PGM_RSRC2:SCRATCH_EN: 0
; COMPUTE_PGM_RSRC2:USER_SGPR: 15
; COMPUTE_PGM_RSRC2:TRAP_HANDLER: 0
; COMPUTE_PGM_RSRC2:TGID_X_EN: 1
; COMPUTE_PGM_RSRC2:TGID_Y_EN: 0
; COMPUTE_PGM_RSRC2:TGID_Z_EN: 0
; COMPUTE_PGM_RSRC2:TIDIG_COMP_CNT: 2
	.section	.text._ZN9rocsparseL5csrsmILj512ELj64ELb0Eii21rocsparse_complex_numIdEEEv20rocsparse_operation_T3_S4_NS_24const_host_device_scalarIT4_EEPKT2_PKS4_PKS6_PS6_lPiSC_PS4_21rocsparse_index_base_20rocsparse_fill_mode_20rocsparse_diag_type_b,"axG",@progbits,_ZN9rocsparseL5csrsmILj512ELj64ELb0Eii21rocsparse_complex_numIdEEEv20rocsparse_operation_T3_S4_NS_24const_host_device_scalarIT4_EEPKT2_PKS4_PKS6_PS6_lPiSC_PS4_21rocsparse_index_base_20rocsparse_fill_mode_20rocsparse_diag_type_b,comdat
	.globl	_ZN9rocsparseL5csrsmILj512ELj64ELb0Eii21rocsparse_complex_numIdEEEv20rocsparse_operation_T3_S4_NS_24const_host_device_scalarIT4_EEPKT2_PKS4_PKS6_PS6_lPiSC_PS4_21rocsparse_index_base_20rocsparse_fill_mode_20rocsparse_diag_type_b ; -- Begin function _ZN9rocsparseL5csrsmILj512ELj64ELb0Eii21rocsparse_complex_numIdEEEv20rocsparse_operation_T3_S4_NS_24const_host_device_scalarIT4_EEPKT2_PKS4_PKS6_PS6_lPiSC_PS4_21rocsparse_index_base_20rocsparse_fill_mode_20rocsparse_diag_type_b
	.p2align	8
	.type	_ZN9rocsparseL5csrsmILj512ELj64ELb0Eii21rocsparse_complex_numIdEEEv20rocsparse_operation_T3_S4_NS_24const_host_device_scalarIT4_EEPKT2_PKS4_PKS6_PS6_lPiSC_PS4_21rocsparse_index_base_20rocsparse_fill_mode_20rocsparse_diag_type_b,@function
_ZN9rocsparseL5csrsmILj512ELj64ELb0Eii21rocsparse_complex_numIdEEEv20rocsparse_operation_T3_S4_NS_24const_host_device_scalarIT4_EEPKT2_PKS4_PKS6_PS6_lPiSC_PS4_21rocsparse_index_base_20rocsparse_fill_mode_20rocsparse_diag_type_b: ; @_ZN9rocsparseL5csrsmILj512ELj64ELb0Eii21rocsparse_complex_numIdEEEv20rocsparse_operation_T3_S4_NS_24const_host_device_scalarIT4_EEPKT2_PKS4_PKS6_PS6_lPiSC_PS4_21rocsparse_index_base_20rocsparse_fill_mode_20rocsparse_diag_type_b
; %bb.0:
	s_load_b64 s[0:1], s[0:1], 0x4
	s_load_b128 s[8:11], s[2:3], 0x10
	v_and_b32_e32 v21, 0x3ff, v0
	s_load_b128 s[4:7], s[2:3], 0x60
	v_bfe_u32 v2, v0, 10, 10
	v_bfe_u32 v0, v0, 20, 10
	s_mov_b64 s[12:13], src_shared_base
	s_waitcnt lgkmcnt(0)
	s_lshr_b32 s0, s0, 16
	s_delay_alu instid0(SALU_CYCLE_1) | instskip(NEXT) | instid1(SALU_CYCLE_1)
	s_mul_i32 s0, s0, s1
	v_mul_lo_u32 v1, s0, v21
	s_and_b32 s0, 1, s7
	s_delay_alu instid0(SALU_CYCLE_1) | instskip(SKIP_1) | instid1(VALU_DEP_1)
	s_cmp_eq_u32 s0, 1
	s_cselect_b32 vcc_lo, -1, 0
	v_mad_u32_u24 v1, v2, s1, v1
	s_load_b64 s[0:1], s[2:3], 0x20
	v_dual_mov_b32 v2, s8 :: v_dual_mov_b32 v3, s9
	v_mov_b32_e32 v6, s10
	s_delay_alu instid0(VALU_DEP_3) | instskip(NEXT) | instid1(VALU_DEP_1)
	v_add_lshl_u32 v4, v1, v0, 3
	v_dual_mov_b32 v7, s11 :: v_dual_add_nc_u32 v0, 0x2800, v4
	ds_store_b64 v4, v[2:3] offset:10240
	v_cndmask_b32_e32 v0, s8, v0, vcc_lo
	s_and_b32 vcc_lo, vcc_lo, exec_lo
	s_cselect_b32 s7, s13, s9
	s_delay_alu instid0(SALU_CYCLE_1)
	v_mov_b32_e32 v1, s7
	flat_load_b64 v[4:5], v[0:1]
	s_clause 0x1
	s_load_b64 s[12:13], s[2:3], 0x50
	s_load_b64 s[20:21], s[2:3], 0x38
	s_cbranch_vccnz .LBB41_2
; %bb.1:
	v_dual_mov_b32 v0, s8 :: v_dual_mov_b32 v1, s9
	flat_load_b64 v[6:7], v[0:1] offset:8
.LBB41_2:
	s_clause 0x1
	s_load_b128 s[8:11], s[2:3], 0x0
	s_load_b64 s[16:17], s[2:3], 0x40
	s_waitcnt lgkmcnt(0)
	v_cvt_f32_u32_e32 v0, s9
	s_sub_i32 s11, 0, s9
	s_delay_alu instid0(VALU_DEP_1) | instskip(SKIP_2) | instid1(VALU_DEP_1)
	v_rcp_iflag_f32_e32 v0, v0
	s_waitcnt_depctr 0xfff
	v_mul_f32_e32 v0, 0x4f7ffffe, v0
	v_cvt_u32_f32_e32 v0, v0
	s_delay_alu instid0(VALU_DEP_1) | instskip(NEXT) | instid1(VALU_DEP_1)
	v_readfirstlane_b32 s7, v0
	s_mul_i32 s11, s11, s7
	s_delay_alu instid0(SALU_CYCLE_1) | instskip(NEXT) | instid1(SALU_CYCLE_1)
	s_mul_hi_u32 s11, s7, s11
	s_add_i32 s7, s7, s11
	s_delay_alu instid0(SALU_CYCLE_1) | instskip(NEXT) | instid1(SALU_CYCLE_1)
	s_mul_hi_u32 s7, s15, s7
	s_mul_i32 s11, s7, s9
	s_add_i32 s14, s7, 1
	s_sub_i32 s11, s15, s11
	s_delay_alu instid0(SALU_CYCLE_1)
	s_sub_i32 s18, s11, s9
	s_cmp_ge_u32 s11, s9
	s_cselect_b32 s7, s14, s7
	s_cselect_b32 s11, s18, s11
	s_add_i32 s14, s7, 1
	s_cmp_ge_u32 s11, s9
	s_cselect_b32 s11, s14, s7
	s_delay_alu instid0(SALU_CYCLE_1) | instskip(SKIP_2) | instid1(SALU_CYCLE_1)
	s_mul_i32 s7, s11, s9
	v_lshl_or_b32 v8, s11, 9, v21
	s_sub_i32 s14, s15, s7
	s_ashr_i32 s15, s14, 31
	s_delay_alu instid0(VALU_DEP_1) | instskip(SKIP_1) | instid1(SALU_CYCLE_1)
	v_ashrrev_i32_e32 v9, 31, v8
	s_lshl_b64 s[14:15], s[14:15], 2
	s_add_u32 s12, s12, s14
	s_addc_u32 s13, s13, s15
	s_load_b32 s12, s[12:13], 0x0
	s_waitcnt lgkmcnt(0)
	s_ashr_i32 s13, s12, 31
	s_delay_alu instid0(SALU_CYCLE_1) | instskip(NEXT) | instid1(SALU_CYCLE_1)
	s_lshl_b64 s[14:15], s[12:13], 2
	s_add_u32 s0, s0, s14
	s_addc_u32 s1, s1, s15
	s_mul_i32 s14, s12, s16
	s_load_b64 s[22:23], s[0:1], 0x0
	s_mul_i32 s0, s12, s17
	s_mul_hi_u32 s1, s12, s16
	v_add_co_u32 v10, vcc_lo, s14, v8
	s_add_i32 s0, s1, s0
	s_mul_i32 s1, s13, s16
	s_delay_alu instid0(SALU_CYCLE_1)
	s_add_i32 s15, s0, s1
	v_cmp_gt_i32_e64 s0, s10, v8
	v_add_co_ci_u32_e32 v11, vcc_lo, s15, v9, vcc_lo
	s_cmpk_lg_i32 s8, 0x71
	s_cbranch_scc0 .LBB41_6
; %bb.3:
	v_mov_b32_e32 v2, 0
	v_mov_b32_e32 v3, 0
	s_delay_alu instid0(VALU_DEP_1)
	v_dual_mov_b32 v0, v2 :: v_dual_mov_b32 v1, v3
	s_and_saveexec_b32 s1, s0
	s_cbranch_execz .LBB41_5
; %bb.4:
	v_lshlrev_b64 v[0:1], 4, v[10:11]
	s_delay_alu instid0(VALU_DEP_1) | instskip(NEXT) | instid1(VALU_DEP_2)
	v_add_co_u32 v0, vcc_lo, s20, v0
	v_add_co_ci_u32_e32 v1, vcc_lo, s21, v1, vcc_lo
	global_load_b128 v[12:15], v[0:1], off
	s_waitcnt vmcnt(0)
	v_mul_f64 v[0:1], v[14:15], -v[6:7]
	v_mul_f64 v[2:3], v[4:5], v[14:15]
	s_delay_alu instid0(VALU_DEP_2) | instskip(NEXT) | instid1(VALU_DEP_2)
	v_fma_f64 v[0:1], v[4:5], v[12:13], v[0:1]
	v_fma_f64 v[2:3], v[6:7], v[12:13], v[2:3]
.LBB41_5:
	s_or_b32 exec_lo, exec_lo, s1
	s_load_b64 s[18:19], s[2:3], 0x48
	s_cbranch_execz .LBB41_7
	s_branch .LBB41_10
.LBB41_6:
                                        ; implicit-def: $vgpr2_vgpr3
	s_load_b64 s[18:19], s[2:3], 0x48
.LBB41_7:
	v_mov_b32_e32 v2, 0
	v_mov_b32_e32 v3, 0
	s_delay_alu instid0(VALU_DEP_1)
	v_dual_mov_b32 v0, v2 :: v_dual_mov_b32 v1, v3
	s_and_saveexec_b32 s1, s0
	s_cbranch_execz .LBB41_9
; %bb.8:
	v_lshlrev_b64 v[0:1], 4, v[10:11]
	s_delay_alu instid0(VALU_DEP_1) | instskip(NEXT) | instid1(VALU_DEP_2)
	v_add_co_u32 v0, vcc_lo, s20, v0
	v_add_co_ci_u32_e32 v1, vcc_lo, s21, v1, vcc_lo
	global_load_b128 v[10:13], v[0:1], off
	s_waitcnt vmcnt(0)
	v_mul_f64 v[0:1], v[6:7], v[12:13]
	v_mul_f64 v[2:3], v[4:5], -v[12:13]
	s_delay_alu instid0(VALU_DEP_2) | instskip(NEXT) | instid1(VALU_DEP_2)
	v_fma_f64 v[0:1], v[4:5], v[10:11], v[0:1]
	v_fma_f64 v[2:3], v[6:7], v[10:11], v[2:3]
.LBB41_9:
	s_or_b32 exec_lo, exec_lo, s1
.LBB41_10:
	s_waitcnt vmcnt(0)
	v_lshlrev_b64 v[4:5], 4, v[8:9]
	v_cmp_eq_u32_e64 s1, 0, v21
	s_waitcnt lgkmcnt(0)
	s_cmp_ge_i32 s22, s23
	s_delay_alu instid0(VALU_DEP_2) | instskip(NEXT) | instid1(VALU_DEP_3)
	v_add_co_u32 v22, vcc_lo, s20, v4
	v_add_co_ci_u32_e32 v23, vcc_lo, s21, v5, vcc_lo
	s_cbranch_scc1 .LBB41_52
; %bb.11:
	s_clause 0x1
	s_load_b64 s[20:21], s[2:3], 0x58
	s_load_b128 s[8:11], s[2:3], 0x28
	v_mov_b32_e32 v9, 0
	v_dual_mov_b32 v11, 0 :: v_dual_mov_b32 v8, 0
	s_sub_i32 s13, s22, s4
	s_sub_i32 s22, s23, s4
	v_lshl_or_b32 v24, v21, 2, 0x2000
	v_dual_mov_b32 v10, 0 :: v_dual_lshlrev_b32 v25, 4, v21
	v_mov_b32_e32 v12, 0x3ff00000
	s_cmp_eq_u32 s6, 0
	s_mov_b32 s25, s13
	s_cselect_b32 s23, -1, 0
	s_add_i32 s24, s12, s4
	s_branch .LBB41_14
.LBB41_12:                              ;   in Loop: Header=BB41_14 Depth=1
	s_add_i32 s25, s25, 1
	s_delay_alu instid0(SALU_CYCLE_1)
	s_cmp_ge_i32 s25, s22
	s_cselect_b32 s2, -1, 0
.LBB41_13:                              ;   in Loop: Header=BB41_14 Depth=1
	s_delay_alu instid0(VALU_DEP_3) | instskip(NEXT) | instid1(VALU_DEP_4)
	v_dual_mov_b32 v2, v17 :: v_dual_mov_b32 v3, v18
	v_dual_mov_b32 v0, v19 :: v_dual_mov_b32 v1, v20
	s_delay_alu instid0(VALU_DEP_4) | instskip(NEXT) | instid1(VALU_DEP_4)
	v_dual_mov_b32 v9, v13 :: v_dual_mov_b32 v10, v14
	v_dual_mov_b32 v11, v15 :: v_dual_mov_b32 v12, v16
	s_and_not1_b32 vcc_lo, exec_lo, s2
	s_cbranch_vccz .LBB41_53
.LBB41_14:                              ; =>This Loop Header: Depth=1
                                        ;     Child Loop BB41_43 Depth 2
	s_sub_i32 s2, s25, s13
	s_delay_alu instid0(SALU_CYCLE_1) | instskip(NEXT) | instid1(SALU_CYCLE_1)
	s_and_b32 s3, s2, 0x1ff
	s_cmp_lg_u32 s3, 0
	s_cbranch_scc1 .LBB41_18
; %bb.15:                               ;   in Loop: Header=BB41_14 Depth=1
	s_sub_i32 s2, s22, s25
	v_mov_b32_e32 v6, 0
	v_dual_mov_b32 v7, 0 :: v_dual_mov_b32 v4, 0
	v_cmp_gt_u32_e32 vcc_lo, s2, v21
	v_mov_b32_e32 v5, 0xbff00000
	v_mov_b32_e32 v13, -1
	s_and_saveexec_b32 s2, vcc_lo
	s_cbranch_execz .LBB41_17
; %bb.16:                               ;   in Loop: Header=BB41_14 Depth=1
	v_add_nc_u32_e32 v7, s25, v21
	s_delay_alu instid0(VALU_DEP_1) | instskip(SKIP_2) | instid1(VALU_DEP_2)
	v_lshlrev_b64 v[4:5], 2, v[7:8]
	v_lshlrev_b64 v[6:7], 4, v[7:8]
	s_waitcnt lgkmcnt(0)
	v_add_co_u32 v4, vcc_lo, s8, v4
	s_delay_alu instid0(VALU_DEP_3)
	v_add_co_ci_u32_e32 v5, vcc_lo, s9, v5, vcc_lo
	global_load_b32 v13, v[4:5], off
	v_add_co_u32 v4, vcc_lo, s10, v6
	v_add_co_ci_u32_e32 v5, vcc_lo, s11, v7, vcc_lo
	global_load_b128 v[4:7], v[4:5], off
	s_waitcnt vmcnt(1)
	v_subrev_nc_u32_e32 v13, s4, v13
.LBB41_17:                              ;   in Loop: Header=BB41_14 Depth=1
	s_or_b32 exec_lo, exec_lo, s2
	ds_store_b32 v24, v13
	s_waitcnt vmcnt(0)
	ds_store_b128 v25, v[4:7]
.LBB41_18:                              ;   in Loop: Header=BB41_14 Depth=1
	s_lshl_b32 s2, s3, 4
	s_waitcnt lgkmcnt(0)
	v_mov_b32_e32 v4, s2
	s_waitcnt_vscnt null, 0x0
	s_barrier
	buffer_gl0_inv
	s_lshl_b32 s3, s3, 2
	ds_load_b128 v[13:16], v4
	v_mov_b32_e32 v4, s3
	ds_load_b32 v4, v4 offset:8192
	s_waitcnt lgkmcnt(1)
	v_cmp_eq_f64_e32 vcc_lo, 0, v[13:14]
	v_cmp_eq_f64_e64 s2, 0, v[15:16]
	s_waitcnt lgkmcnt(0)
	v_readfirstlane_b32 s26, v4
	v_cmp_ne_u32_e64 s3, s12, v4
	s_delay_alu instid0(VALU_DEP_3) | instskip(NEXT) | instid1(VALU_DEP_2)
	s_and_b32 s2, vcc_lo, s2
	s_cmp_eq_u32 s26, s12
	s_cselect_b32 s28, -1, 0
	s_delay_alu instid0(SALU_CYCLE_1) | instskip(NEXT) | instid1(SALU_CYCLE_1)
	s_and_b32 s2, s2, s28
	s_and_b32 s2, s23, s2
	s_delay_alu instid0(SALU_CYCLE_1) | instskip(SKIP_4) | instid1(SALU_CYCLE_1)
	v_cndmask_b32_e64 v5, v16, 0, s2
	v_cndmask_b32_e64 v4, v15, 0, s2
	;; [unrolled: 1-line block ×4, first 2 shown]
	s_and_b32 s27, s1, s2
	s_and_saveexec_b32 s2, s27
	s_cbranch_execz .LBB41_22
; %bb.19:                               ;   in Loop: Header=BB41_14 Depth=1
	v_mbcnt_lo_u32_b32 v4, exec_lo, 0
	s_mov_b32 s27, exec_lo
	s_delay_alu instid0(VALU_DEP_1)
	v_cmpx_eq_u32_e32 0, v4
	s_cbranch_execz .LBB41_21
; %bb.20:                               ;   in Loop: Header=BB41_14 Depth=1
	v_mov_b32_e32 v4, s24
	global_atomic_min_i32 v8, v4, s[20:21]
.LBB41_21:                              ;   in Loop: Header=BB41_14 Depth=1
	s_or_b32 exec_lo, exec_lo, s27
	v_mov_b32_e32 v4, 0
	v_dual_mov_b32 v5, 0 :: v_dual_mov_b32 v6, 0
	v_mov_b32_e32 v7, 0x3ff00000
.LBB41_22:                              ;   in Loop: Header=BB41_14 Depth=1
	s_or_b32 exec_lo, exec_lo, s2
	s_cmp_lt_i32 s5, 1
	s_mov_b32 s2, 0
	s_cbranch_scc1 .LBB41_28
; %bb.23:                               ;   in Loop: Header=BB41_14 Depth=1
	s_cmp_eq_u32 s5, 1
	s_cbranch_scc0 .LBB41_29
; %bb.24:                               ;   in Loop: Header=BB41_14 Depth=1
	v_dual_mov_b32 v14, v10 :: v_dual_mov_b32 v13, v9
	v_dual_mov_b32 v16, v12 :: v_dual_mov_b32 v15, v11
	s_cmp_ge_i32 s26, s12
	s_mov_b32 s27, 0
	s_cbranch_scc0 .LBB41_31
; %bb.25:                               ;   in Loop: Header=BB41_14 Depth=1
	s_and_b32 vcc_lo, exec_lo, s28
	s_cbranch_vccz .LBB41_30
; %bb.26:                               ;   in Loop: Header=BB41_14 Depth=1
	v_dual_mov_b32 v14, v10 :: v_dual_mov_b32 v13, v9
	v_dual_mov_b32 v16, v12 :: v_dual_mov_b32 v15, v11
	s_and_not1_b32 vcc_lo, exec_lo, s23
	s_cbranch_vccnz .LBB41_31
; %bb.27:                               ;   in Loop: Header=BB41_14 Depth=1
	v_mul_f64 v[13:14], v[4:5], v[4:5]
	s_delay_alu instid0(VALU_DEP_1) | instskip(NEXT) | instid1(VALU_DEP_1)
	v_fma_f64 v[13:14], v[6:7], v[6:7], v[13:14]
	v_div_scale_f64 v[15:16], null, v[13:14], v[13:14], 1.0
	v_div_scale_f64 v[26:27], vcc_lo, 1.0, v[13:14], 1.0
	s_delay_alu instid0(VALU_DEP_2) | instskip(SKIP_2) | instid1(VALU_DEP_1)
	v_rcp_f64_e32 v[17:18], v[15:16]
	s_waitcnt_depctr 0xfff
	v_fma_f64 v[19:20], -v[15:16], v[17:18], 1.0
	v_fma_f64 v[17:18], v[17:18], v[19:20], v[17:18]
	s_delay_alu instid0(VALU_DEP_1) | instskip(NEXT) | instid1(VALU_DEP_1)
	v_fma_f64 v[19:20], -v[15:16], v[17:18], 1.0
	v_fma_f64 v[17:18], v[17:18], v[19:20], v[17:18]
	s_delay_alu instid0(VALU_DEP_1) | instskip(NEXT) | instid1(VALU_DEP_1)
	v_mul_f64 v[19:20], v[26:27], v[17:18]
	v_fma_f64 v[15:16], -v[15:16], v[19:20], v[26:27]
	s_delay_alu instid0(VALU_DEP_1) | instskip(SKIP_2) | instid1(VALU_DEP_3)
	v_div_fmas_f64 v[15:16], v[15:16], v[17:18], v[19:20]
	v_fma_f64 v[17:18], v[4:5], 0, v[6:7]
	v_fma_f64 v[19:20], v[6:7], 0, -v[4:5]
	v_div_fixup_f64 v[13:14], v[15:16], v[13:14], 1.0
	s_delay_alu instid0(VALU_DEP_1) | instskip(NEXT) | instid1(VALU_DEP_3)
	v_mul_f64 v[15:16], v[17:18], v[13:14]
	v_mul_f64 v[13:14], v[19:20], v[13:14]
	s_branch .LBB41_31
.LBB41_28:                              ;   in Loop: Header=BB41_14 Depth=1
	s_mov_b32 s27, 0
                                        ; implicit-def: $sgpr28
                                        ; implicit-def: $vgpr17_vgpr18
                                        ; implicit-def: $vgpr19_vgpr20
                                        ; implicit-def: $vgpr13_vgpr14
                                        ; implicit-def: $vgpr15_vgpr16
	s_cbranch_execnz .LBB41_32
	s_branch .LBB41_34
.LBB41_29:                              ;   in Loop: Header=BB41_14 Depth=1
	s_mov_b32 s27, -1
                                        ; implicit-def: $sgpr28
                                        ; implicit-def: $vgpr17_vgpr18
                                        ; implicit-def: $vgpr19_vgpr20
                                        ; implicit-def: $vgpr13_vgpr14
                                        ; implicit-def: $vgpr15_vgpr16
	s_branch .LBB41_34
.LBB41_30:                              ;   in Loop: Header=BB41_14 Depth=1
	s_mov_b32 s27, -1
                                        ; implicit-def: $vgpr13_vgpr14
                                        ; implicit-def: $vgpr15_vgpr16
.LBB41_31:                              ;   in Loop: Header=BB41_14 Depth=1
	v_dual_mov_b32 v18, v3 :: v_dual_mov_b32 v17, v2
	v_dual_mov_b32 v20, v1 :: v_dual_mov_b32 v19, v0
	s_mov_b32 s28, 4
	s_branch .LBB41_34
.LBB41_32:                              ;   in Loop: Header=BB41_14 Depth=1
	s_cmp_eq_u32 s5, 0
	s_cbranch_scc1 .LBB41_38
; %bb.33:                               ;   in Loop: Header=BB41_14 Depth=1
	s_mov_b32 s27, -1
                                        ; implicit-def: $sgpr28
                                        ; implicit-def: $vgpr17_vgpr18
                                        ; implicit-def: $vgpr19_vgpr20
                                        ; implicit-def: $vgpr13_vgpr14
                                        ; implicit-def: $vgpr15_vgpr16
.LBB41_34:                              ;   in Loop: Header=BB41_14 Depth=1
	s_delay_alu instid0(SALU_CYCLE_1)
	s_and_b32 vcc_lo, exec_lo, s27
	s_cbranch_vccnz .LBB41_41
.LBB41_35:                              ;   in Loop: Header=BB41_14 Depth=1
	s_and_b32 vcc_lo, exec_lo, s2
	s_cbranch_vccnz .LBB41_47
.LBB41_36:                              ;   in Loop: Header=BB41_14 Depth=1
	s_cmp_gt_i32 s28, 3
	s_mov_b32 s2, -1
	s_cbranch_scc1 .LBB41_50
.LBB41_37:                              ;   in Loop: Header=BB41_14 Depth=1
	s_cmp_eq_u32 s28, 0
	s_cselect_b32 s3, -1, 0
	s_delay_alu instid0(SALU_CYCLE_1)
	s_and_not1_b32 vcc_lo, exec_lo, s3
	s_cbranch_vccz .LBB41_12
	s_branch .LBB41_51
.LBB41_38:                              ;   in Loop: Header=BB41_14 Depth=1
	s_cmp_le_i32 s26, s12
	s_mov_b32 s27, 0
	s_cbranch_scc0 .LBB41_40
; %bb.39:                               ;   in Loop: Header=BB41_14 Depth=1
	s_mov_b32 s2, -1
	s_mov_b32 s27, s3
.LBB41_40:                              ;   in Loop: Header=BB41_14 Depth=1
	v_dual_mov_b32 v18, v3 :: v_dual_mov_b32 v17, v2
	v_dual_mov_b32 v20, v1 :: v_dual_mov_b32 v19, v0
	;; [unrolled: 1-line block ×4, first 2 shown]
	s_mov_b32 s28, 2
	s_and_b32 vcc_lo, exec_lo, s27
	s_cbranch_vccz .LBB41_35
.LBB41_41:                              ;   in Loop: Header=BB41_14 Depth=1
	s_and_saveexec_b32 s27, s1
	s_cbranch_execz .LBB41_44
; %bb.42:                               ;   in Loop: Header=BB41_14 Depth=1
	s_add_i32 s2, s26, s7
	s_delay_alu instid0(SALU_CYCLE_1) | instskip(NEXT) | instid1(SALU_CYCLE_1)
	s_ashr_i32 s3, s2, 31
	s_lshl_b64 s[2:3], s[2:3], 2
	s_delay_alu instid0(SALU_CYCLE_1)
	s_add_u32 s2, s18, s2
	s_addc_u32 s3, s19, s3
	global_load_b32 v13, v8, s[2:3] glc
	s_waitcnt vmcnt(0)
	v_cmp_ne_u32_e32 vcc_lo, 0, v13
	s_cbranch_vccnz .LBB41_44
.LBB41_43:                              ;   Parent Loop BB41_14 Depth=1
                                        ; =>  This Inner Loop Header: Depth=2
	global_load_b32 v13, v8, s[2:3] glc
	s_waitcnt vmcnt(0)
	v_cmp_eq_u32_e32 vcc_lo, 0, v13
	s_cbranch_vccnz .LBB41_43
.LBB41_44:                              ;   in Loop: Header=BB41_14 Depth=1
	s_or_b32 exec_lo, exec_lo, s27
	v_mov_b32_e32 v17, 0
	v_mov_b32_e32 v18, 0
	s_waitcnt_vscnt null, 0x0
	s_barrier
	buffer_gl0_inv
	buffer_gl1_inv
	buffer_gl0_inv
	v_dual_mov_b32 v20, v18 :: v_dual_mov_b32 v19, v17
	s_and_saveexec_b32 s2, s0
	s_cbranch_execz .LBB41_46
; %bb.45:                               ;   in Loop: Header=BB41_14 Depth=1
	s_mul_i32 s3, s26, s17
	s_mul_hi_u32 s27, s26, s16
	s_ashr_i32 s28, s26, 31
	s_add_i32 s3, s27, s3
	s_mul_i32 s28, s28, s16
	s_mul_i32 s26, s26, s16
	s_add_i32 s27, s3, s28
	s_delay_alu instid0(SALU_CYCLE_1) | instskip(NEXT) | instid1(SALU_CYCLE_1)
	s_lshl_b64 s[26:27], s[26:27], 4
	v_add_co_u32 v13, vcc_lo, v22, s26
	v_add_co_ci_u32_e32 v14, vcc_lo, s27, v23, vcc_lo
	global_load_b128 v[13:16], v[13:14], off
	s_waitcnt vmcnt(0)
	v_fma_f64 v[17:18], -v[6:7], v[13:14], v[0:1]
	v_fma_f64 v[13:14], -v[4:5], v[13:14], v[2:3]
	s_delay_alu instid0(VALU_DEP_2) | instskip(NEXT) | instid1(VALU_DEP_2)
	v_fma_f64 v[19:20], v[4:5], v[15:16], v[17:18]
	v_fma_f64 v[17:18], -v[6:7], v[15:16], v[13:14]
.LBB41_46:                              ;   in Loop: Header=BB41_14 Depth=1
	s_or_b32 exec_lo, exec_lo, s2
	v_dual_mov_b32 v14, v10 :: v_dual_mov_b32 v13, v9
	v_dual_mov_b32 v16, v12 :: v_dual_mov_b32 v15, v11
	s_mov_b32 s28, 0
	s_branch .LBB41_36
.LBB41_47:                              ;   in Loop: Header=BB41_14 Depth=1
	s_and_not1_b32 vcc_lo, exec_lo, s23
	s_cbranch_vccnz .LBB41_49
; %bb.48:                               ;   in Loop: Header=BB41_14 Depth=1
	v_mul_f64 v[9:10], v[4:5], v[4:5]
	s_delay_alu instid0(VALU_DEP_1) | instskip(NEXT) | instid1(VALU_DEP_1)
	v_fma_f64 v[9:10], v[6:7], v[6:7], v[9:10]
	v_div_scale_f64 v[11:12], null, v[9:10], v[9:10], 1.0
	v_div_scale_f64 v[17:18], vcc_lo, 1.0, v[9:10], 1.0
	s_delay_alu instid0(VALU_DEP_2) | instskip(SKIP_2) | instid1(VALU_DEP_1)
	v_rcp_f64_e32 v[13:14], v[11:12]
	s_waitcnt_depctr 0xfff
	v_fma_f64 v[15:16], -v[11:12], v[13:14], 1.0
	v_fma_f64 v[13:14], v[13:14], v[15:16], v[13:14]
	s_delay_alu instid0(VALU_DEP_1) | instskip(NEXT) | instid1(VALU_DEP_1)
	v_fma_f64 v[15:16], -v[11:12], v[13:14], 1.0
	v_fma_f64 v[13:14], v[13:14], v[15:16], v[13:14]
	s_delay_alu instid0(VALU_DEP_1) | instskip(NEXT) | instid1(VALU_DEP_1)
	v_mul_f64 v[15:16], v[17:18], v[13:14]
	v_fma_f64 v[11:12], -v[11:12], v[15:16], v[17:18]
	s_delay_alu instid0(VALU_DEP_1) | instskip(SKIP_2) | instid1(VALU_DEP_3)
	v_div_fmas_f64 v[11:12], v[11:12], v[13:14], v[15:16]
	v_fma_f64 v[13:14], v[4:5], 0, v[6:7]
	v_fma_f64 v[4:5], v[6:7], 0, -v[4:5]
	v_div_fixup_f64 v[9:10], v[11:12], v[9:10], 1.0
	s_delay_alu instid0(VALU_DEP_1) | instskip(NEXT) | instid1(VALU_DEP_3)
	v_mul_f64 v[11:12], v[13:14], v[9:10]
	v_mul_f64 v[9:10], v[4:5], v[9:10]
.LBB41_49:                              ;   in Loop: Header=BB41_14 Depth=1
	s_delay_alu instid0(VALU_DEP_2) | instskip(NEXT) | instid1(VALU_DEP_2)
	v_dual_mov_b32 v16, v12 :: v_dual_mov_b32 v15, v11
	v_dual_mov_b32 v14, v10 :: v_dual_mov_b32 v13, v9
	;; [unrolled: 1-line block ×4, first 2 shown]
	s_mov_b32 s28, 2
	s_delay_alu instid0(SALU_CYCLE_1)
	s_cmp_gt_i32 s28, 3
	s_mov_b32 s2, -1
	s_cbranch_scc0 .LBB41_37
.LBB41_50:                              ;   in Loop: Header=BB41_14 Depth=1
	s_branch .LBB41_12
.LBB41_51:                              ;   in Loop: Header=BB41_14 Depth=1
                                        ; implicit-def: $sgpr25
	s_branch .LBB41_13
.LBB41_52:
	v_mov_b32_e32 v13, 0
	v_dual_mov_b32 v14, 0 :: v_dual_mov_b32 v15, 0
	v_mov_b32_e32 v16, 0x3ff00000
	s_cmp_lg_u32 s6, 0
	s_cbranch_scc1 .LBB41_55
	s_branch .LBB41_54
.LBB41_53:
	v_dual_mov_b32 v2, v17 :: v_dual_mov_b32 v3, v18
	v_dual_mov_b32 v0, v19 :: v_dual_mov_b32 v1, v20
	s_cmp_lg_u32 s6, 0
	s_cbranch_scc1 .LBB41_55
.LBB41_54:
	s_delay_alu instid0(VALU_DEP_2) | instskip(NEXT) | instid1(VALU_DEP_2)
	v_mul_f64 v[4:5], v[13:14], -v[2:3]
	v_mul_f64 v[6:7], v[13:14], v[0:1]
	s_delay_alu instid0(VALU_DEP_2) | instskip(NEXT) | instid1(VALU_DEP_2)
	v_fma_f64 v[0:1], v[0:1], v[15:16], v[4:5]
	v_fma_f64 v[2:3], v[2:3], v[15:16], v[6:7]
.LBB41_55:
	s_and_saveexec_b32 s1, s0
	s_cbranch_execz .LBB41_57
; %bb.56:
	s_lshl_b64 s[2:3], s[14:15], 4
	s_delay_alu instid0(SALU_CYCLE_1)
	v_add_co_u32 v4, vcc_lo, v22, s2
	v_add_co_ci_u32_e32 v5, vcc_lo, s3, v23, vcc_lo
	global_store_b128 v[4:5], v[0:3], off
.LBB41_57:
	s_or_b32 exec_lo, exec_lo, s1
	s_waitcnt_vscnt null, 0x0
	buffer_gl1_inv
	buffer_gl0_inv
	s_barrier
	buffer_gl0_inv
	s_mov_b32 s0, exec_lo
	v_cmpx_eq_u32_e32 0, v21
	s_cbranch_execz .LBB41_59
; %bb.58:
	s_add_i32 s0, s12, s7
	v_dual_mov_b32 v0, 0 :: v_dual_mov_b32 v1, 1
	s_ashr_i32 s1, s0, 31
	s_delay_alu instid0(SALU_CYCLE_1) | instskip(NEXT) | instid1(SALU_CYCLE_1)
	s_lshl_b64 s[0:1], s[0:1], 2
	s_add_u32 s0, s18, s0
	s_addc_u32 s1, s19, s1
	global_store_b32 v0, v1, s[0:1]
.LBB41_59:
	s_nop 0
	s_sendmsg sendmsg(MSG_DEALLOC_VGPRS)
	s_endpgm
	.section	.rodata,"a",@progbits
	.p2align	6, 0x0
	.amdhsa_kernel _ZN9rocsparseL5csrsmILj512ELj64ELb0Eii21rocsparse_complex_numIdEEEv20rocsparse_operation_T3_S4_NS_24const_host_device_scalarIT4_EEPKT2_PKS4_PKS6_PS6_lPiSC_PS4_21rocsparse_index_base_20rocsparse_fill_mode_20rocsparse_diag_type_b
		.amdhsa_group_segment_fixed_size 14336
		.amdhsa_private_segment_fixed_size 0
		.amdhsa_kernarg_size 112
		.amdhsa_user_sgpr_count 15
		.amdhsa_user_sgpr_dispatch_ptr 1
		.amdhsa_user_sgpr_queue_ptr 0
		.amdhsa_user_sgpr_kernarg_segment_ptr 1
		.amdhsa_user_sgpr_dispatch_id 0
		.amdhsa_user_sgpr_private_segment_size 0
		.amdhsa_wavefront_size32 1
		.amdhsa_uses_dynamic_stack 0
		.amdhsa_enable_private_segment 0
		.amdhsa_system_sgpr_workgroup_id_x 1
		.amdhsa_system_sgpr_workgroup_id_y 0
		.amdhsa_system_sgpr_workgroup_id_z 0
		.amdhsa_system_sgpr_workgroup_info 0
		.amdhsa_system_vgpr_workitem_id 2
		.amdhsa_next_free_vgpr 28
		.amdhsa_next_free_sgpr 29
		.amdhsa_reserve_vcc 1
		.amdhsa_float_round_mode_32 0
		.amdhsa_float_round_mode_16_64 0
		.amdhsa_float_denorm_mode_32 3
		.amdhsa_float_denorm_mode_16_64 3
		.amdhsa_dx10_clamp 1
		.amdhsa_ieee_mode 1
		.amdhsa_fp16_overflow 0
		.amdhsa_workgroup_processor_mode 1
		.amdhsa_memory_ordered 1
		.amdhsa_forward_progress 0
		.amdhsa_shared_vgpr_count 0
		.amdhsa_exception_fp_ieee_invalid_op 0
		.amdhsa_exception_fp_denorm_src 0
		.amdhsa_exception_fp_ieee_div_zero 0
		.amdhsa_exception_fp_ieee_overflow 0
		.amdhsa_exception_fp_ieee_underflow 0
		.amdhsa_exception_fp_ieee_inexact 0
		.amdhsa_exception_int_div_zero 0
	.end_amdhsa_kernel
	.section	.text._ZN9rocsparseL5csrsmILj512ELj64ELb0Eii21rocsparse_complex_numIdEEEv20rocsparse_operation_T3_S4_NS_24const_host_device_scalarIT4_EEPKT2_PKS4_PKS6_PS6_lPiSC_PS4_21rocsparse_index_base_20rocsparse_fill_mode_20rocsparse_diag_type_b,"axG",@progbits,_ZN9rocsparseL5csrsmILj512ELj64ELb0Eii21rocsparse_complex_numIdEEEv20rocsparse_operation_T3_S4_NS_24const_host_device_scalarIT4_EEPKT2_PKS4_PKS6_PS6_lPiSC_PS4_21rocsparse_index_base_20rocsparse_fill_mode_20rocsparse_diag_type_b,comdat
.Lfunc_end41:
	.size	_ZN9rocsparseL5csrsmILj512ELj64ELb0Eii21rocsparse_complex_numIdEEEv20rocsparse_operation_T3_S4_NS_24const_host_device_scalarIT4_EEPKT2_PKS4_PKS6_PS6_lPiSC_PS4_21rocsparse_index_base_20rocsparse_fill_mode_20rocsparse_diag_type_b, .Lfunc_end41-_ZN9rocsparseL5csrsmILj512ELj64ELb0Eii21rocsparse_complex_numIdEEEv20rocsparse_operation_T3_S4_NS_24const_host_device_scalarIT4_EEPKT2_PKS4_PKS6_PS6_lPiSC_PS4_21rocsparse_index_base_20rocsparse_fill_mode_20rocsparse_diag_type_b
                                        ; -- End function
	.section	.AMDGPU.csdata,"",@progbits
; Kernel info:
; codeLenInByte = 2468
; NumSgprs: 31
; NumVgprs: 28
; ScratchSize: 0
; MemoryBound: 0
; FloatMode: 240
; IeeeMode: 1
; LDSByteSize: 14336 bytes/workgroup (compile time only)
; SGPRBlocks: 3
; VGPRBlocks: 3
; NumSGPRsForWavesPerEU: 31
; NumVGPRsForWavesPerEU: 28
; Occupancy: 16
; WaveLimiterHint : 1
; COMPUTE_PGM_RSRC2:SCRATCH_EN: 0
; COMPUTE_PGM_RSRC2:USER_SGPR: 15
; COMPUTE_PGM_RSRC2:TRAP_HANDLER: 0
; COMPUTE_PGM_RSRC2:TGID_X_EN: 1
; COMPUTE_PGM_RSRC2:TGID_Y_EN: 0
; COMPUTE_PGM_RSRC2:TGID_Z_EN: 0
; COMPUTE_PGM_RSRC2:TIDIG_COMP_CNT: 2
	.section	.text._ZN9rocsparseL5csrsmILj1024ELj64ELb1Eii21rocsparse_complex_numIdEEEv20rocsparse_operation_T3_S4_NS_24const_host_device_scalarIT4_EEPKT2_PKS4_PKS6_PS6_lPiSC_PS4_21rocsparse_index_base_20rocsparse_fill_mode_20rocsparse_diag_type_b,"axG",@progbits,_ZN9rocsparseL5csrsmILj1024ELj64ELb1Eii21rocsparse_complex_numIdEEEv20rocsparse_operation_T3_S4_NS_24const_host_device_scalarIT4_EEPKT2_PKS4_PKS6_PS6_lPiSC_PS4_21rocsparse_index_base_20rocsparse_fill_mode_20rocsparse_diag_type_b,comdat
	.globl	_ZN9rocsparseL5csrsmILj1024ELj64ELb1Eii21rocsparse_complex_numIdEEEv20rocsparse_operation_T3_S4_NS_24const_host_device_scalarIT4_EEPKT2_PKS4_PKS6_PS6_lPiSC_PS4_21rocsparse_index_base_20rocsparse_fill_mode_20rocsparse_diag_type_b ; -- Begin function _ZN9rocsparseL5csrsmILj1024ELj64ELb1Eii21rocsparse_complex_numIdEEEv20rocsparse_operation_T3_S4_NS_24const_host_device_scalarIT4_EEPKT2_PKS4_PKS6_PS6_lPiSC_PS4_21rocsparse_index_base_20rocsparse_fill_mode_20rocsparse_diag_type_b
	.p2align	8
	.type	_ZN9rocsparseL5csrsmILj1024ELj64ELb1Eii21rocsparse_complex_numIdEEEv20rocsparse_operation_T3_S4_NS_24const_host_device_scalarIT4_EEPKT2_PKS4_PKS6_PS6_lPiSC_PS4_21rocsparse_index_base_20rocsparse_fill_mode_20rocsparse_diag_type_b,@function
_ZN9rocsparseL5csrsmILj1024ELj64ELb1Eii21rocsparse_complex_numIdEEEv20rocsparse_operation_T3_S4_NS_24const_host_device_scalarIT4_EEPKT2_PKS4_PKS6_PS6_lPiSC_PS4_21rocsparse_index_base_20rocsparse_fill_mode_20rocsparse_diag_type_b: ; @_ZN9rocsparseL5csrsmILj1024ELj64ELb1Eii21rocsparse_complex_numIdEEEv20rocsparse_operation_T3_S4_NS_24const_host_device_scalarIT4_EEPKT2_PKS4_PKS6_PS6_lPiSC_PS4_21rocsparse_index_base_20rocsparse_fill_mode_20rocsparse_diag_type_b
; %bb.0:
	s_load_b64 s[0:1], s[0:1], 0x4
	s_load_b128 s[8:11], s[2:3], 0x10
	v_and_b32_e32 v24, 0x3ff, v0
	s_load_b128 s[4:7], s[2:3], 0x60
	v_bfe_u32 v2, v0, 10, 10
	v_bfe_u32 v0, v0, 20, 10
	s_mov_b64 s[12:13], src_shared_base
	s_waitcnt lgkmcnt(0)
	s_lshr_b32 s0, s0, 16
	s_delay_alu instid0(SALU_CYCLE_1) | instskip(NEXT) | instid1(SALU_CYCLE_1)
	s_mul_i32 s0, s0, s1
	v_mul_lo_u32 v1, s0, v24
	s_and_b32 s0, 1, s7
	s_delay_alu instid0(SALU_CYCLE_1) | instskip(SKIP_1) | instid1(VALU_DEP_1)
	s_cmp_eq_u32 s0, 1
	s_cselect_b32 vcc_lo, -1, 0
	v_mad_u32_u24 v1, v2, s1, v1
	s_load_b64 s[0:1], s[2:3], 0x20
	v_dual_mov_b32 v2, s8 :: v_dual_mov_b32 v3, s9
	v_dual_mov_b32 v6, s10 :: v_dual_mov_b32 v7, s11
	s_delay_alu instid0(VALU_DEP_3) | instskip(NEXT) | instid1(VALU_DEP_1)
	v_add_lshl_u32 v4, v1, v0, 3
	v_add_nc_u32_e32 v0, 0x5000, v4
	ds_store_b64 v4, v[2:3] offset:20480
	v_cndmask_b32_e32 v0, s8, v0, vcc_lo
	s_and_b32 vcc_lo, vcc_lo, exec_lo
	s_cselect_b32 s7, s13, s9
	s_delay_alu instid0(SALU_CYCLE_1)
	v_mov_b32_e32 v1, s7
	flat_load_b64 v[4:5], v[0:1]
	s_clause 0x1
	s_load_b64 s[18:19], s[2:3], 0x50
	s_load_b64 s[12:13], s[2:3], 0x38
	s_cbranch_vccnz .LBB42_2
; %bb.1:
	v_dual_mov_b32 v0, s8 :: v_dual_mov_b32 v1, s9
	flat_load_b64 v[6:7], v[0:1] offset:8
.LBB42_2:
	s_clause 0x1
	s_load_b128 s[8:11], s[2:3], 0x0
	s_load_b64 s[16:17], s[2:3], 0x40
	s_waitcnt lgkmcnt(0)
	v_cvt_f32_u32_e32 v0, s9
	s_sub_i32 s11, 0, s9
	s_delay_alu instid0(VALU_DEP_1) | instskip(SKIP_2) | instid1(VALU_DEP_1)
	v_rcp_iflag_f32_e32 v0, v0
	s_waitcnt_depctr 0xfff
	v_mul_f32_e32 v0, 0x4f7ffffe, v0
	v_cvt_u32_f32_e32 v0, v0
	s_delay_alu instid0(VALU_DEP_1) | instskip(NEXT) | instid1(VALU_DEP_1)
	v_readfirstlane_b32 s7, v0
	s_mul_i32 s11, s11, s7
	s_delay_alu instid0(SALU_CYCLE_1) | instskip(NEXT) | instid1(SALU_CYCLE_1)
	s_mul_hi_u32 s11, s7, s11
	s_add_i32 s7, s7, s11
	s_delay_alu instid0(SALU_CYCLE_1) | instskip(NEXT) | instid1(SALU_CYCLE_1)
	s_mul_hi_u32 s7, s15, s7
	s_mul_i32 s11, s7, s9
	s_add_i32 s14, s7, 1
	s_sub_i32 s11, s15, s11
	s_delay_alu instid0(SALU_CYCLE_1)
	s_sub_i32 s20, s11, s9
	s_cmp_ge_u32 s11, s9
	s_cselect_b32 s7, s14, s7
	s_cselect_b32 s11, s20, s11
	s_add_i32 s14, s7, 1
	s_cmp_ge_u32 s11, s9
	s_cselect_b32 s11, s14, s7
	s_delay_alu instid0(SALU_CYCLE_1) | instskip(SKIP_2) | instid1(SALU_CYCLE_1)
	s_mul_i32 s7, s11, s9
	v_lshl_or_b32 v10, s11, 10, v24
	s_sub_i32 s14, s15, s7
	s_ashr_i32 s15, s14, 31
	s_delay_alu instid0(VALU_DEP_1) | instskip(SKIP_1) | instid1(SALU_CYCLE_1)
	v_ashrrev_i32_e32 v11, 31, v10
	s_lshl_b64 s[14:15], s[14:15], 2
	s_add_u32 s14, s18, s14
	s_addc_u32 s15, s19, s15
	s_load_b32 s14, s[14:15], 0x0
	s_waitcnt lgkmcnt(0)
	s_ashr_i32 s15, s14, 31
	v_mad_u64_u32 v[8:9], null, s14, s16, v[10:11]
	s_lshl_b64 s[18:19], s[14:15], 2
	s_delay_alu instid0(SALU_CYCLE_1)
	s_add_u32 s0, s0, s18
	s_addc_u32 s1, s1, s19
	s_cmpk_lg_i32 s8, 0x71
	s_load_b64 s[22:23], s[0:1], 0x0
	s_mul_i32 s0, s15, s16
	s_mul_i32 s1, s14, s17
	s_delay_alu instid0(SALU_CYCLE_1)
	v_add3_u32 v9, s1, s0, v9
	v_cmp_gt_i32_e64 s0, s10, v10
	s_cbranch_scc0 .LBB42_51
; %bb.3:
	v_mov_b32_e32 v2, 0
	v_mov_b32_e32 v3, 0
	s_delay_alu instid0(VALU_DEP_1)
	v_dual_mov_b32 v0, v2 :: v_dual_mov_b32 v1, v3
	s_and_saveexec_b32 s1, s0
	s_cbranch_execz .LBB42_5
; %bb.4:
	v_lshlrev_b64 v[0:1], 4, v[8:9]
	s_delay_alu instid0(VALU_DEP_1) | instskip(NEXT) | instid1(VALU_DEP_2)
	v_add_co_u32 v0, vcc_lo, s12, v0
	v_add_co_ci_u32_e32 v1, vcc_lo, s13, v1, vcc_lo
	global_load_b128 v[12:15], v[0:1], off
	s_waitcnt vmcnt(0)
	v_mul_f64 v[0:1], v[14:15], -v[6:7]
	v_mul_f64 v[2:3], v[4:5], v[14:15]
	s_delay_alu instid0(VALU_DEP_2) | instskip(NEXT) | instid1(VALU_DEP_2)
	v_fma_f64 v[0:1], v[4:5], v[12:13], v[0:1]
	v_fma_f64 v[2:3], v[6:7], v[12:13], v[2:3]
.LBB42_5:
	s_or_b32 exec_lo, exec_lo, s1
	s_load_b64 s[18:19], s[2:3], 0x48
	s_cbranch_execz .LBB42_52
; %bb.6:
	v_cmp_eq_u32_e64 s1, 0, v24
	s_waitcnt lgkmcnt(0)
	s_cmp_ge_i32 s22, s23
	s_cbranch_scc1 .LBB42_55
.LBB42_7:
	s_clause 0x1
	s_load_b64 s[20:21], s[2:3], 0x58
	s_load_b128 s[8:11], s[2:3], 0x28
	s_waitcnt vmcnt(0)
	v_lshlrev_b64 v[4:5], 4, v[10:11]
	v_mov_b32_e32 v12, 0
	v_dual_mov_b32 v14, 0 :: v_dual_mov_b32 v11, 0
	s_sub_i32 s15, s22, s4
	s_sub_i32 s22, s23, s4
	s_delay_alu instid0(VALU_DEP_3)
	v_add_co_u32 v25, vcc_lo, s12, v4
	v_add_co_ci_u32_e32 v26, vcc_lo, s13, v5, vcc_lo
	v_lshl_or_b32 v27, v24, 2, 0x4000
	v_dual_mov_b32 v13, 0 :: v_dual_lshlrev_b32 v28, 4, v24
	v_mov_b32_e32 v15, 0x3ff00000
	s_cmp_eq_u32 s6, 0
	s_mov_b32 s25, s15
	s_cselect_b32 s23, -1, 0
	s_add_i32 s24, s14, s4
	s_branch .LBB42_10
.LBB42_8:                               ;   in Loop: Header=BB42_10 Depth=1
	s_add_i32 s25, s25, 1
	s_delay_alu instid0(SALU_CYCLE_1)
	s_cmp_ge_i32 s25, s22
	s_cselect_b32 s2, -1, 0
.LBB42_9:                               ;   in Loop: Header=BB42_10 Depth=1
	s_delay_alu instid0(VALU_DEP_3) | instskip(NEXT) | instid1(VALU_DEP_4)
	v_dual_mov_b32 v2, v20 :: v_dual_mov_b32 v3, v21
	v_dual_mov_b32 v0, v22 :: v_dual_mov_b32 v1, v23
	s_delay_alu instid0(VALU_DEP_4) | instskip(NEXT) | instid1(VALU_DEP_4)
	v_dual_mov_b32 v12, v16 :: v_dual_mov_b32 v13, v17
	v_dual_mov_b32 v14, v18 :: v_dual_mov_b32 v15, v19
	s_and_not1_b32 vcc_lo, exec_lo, s2
	s_cbranch_vccz .LBB42_56
.LBB42_10:                              ; =>This Loop Header: Depth=1
                                        ;     Child Loop BB42_49 Depth 2
                                        ;       Child Loop BB42_50 Depth 3
	s_sub_i32 s2, s25, s15
	s_delay_alu instid0(SALU_CYCLE_1) | instskip(NEXT) | instid1(SALU_CYCLE_1)
	s_and_b32 s3, s2, 0x3ff
	s_cmp_lg_u32 s3, 0
	s_cbranch_scc1 .LBB42_14
; %bb.11:                               ;   in Loop: Header=BB42_10 Depth=1
	s_sub_i32 s2, s22, s25
	v_mov_b32_e32 v6, 0
	v_dual_mov_b32 v7, 0 :: v_dual_mov_b32 v4, 0
	v_cmp_gt_u32_e32 vcc_lo, s2, v24
	v_dual_mov_b32 v5, 0xbff00000 :: v_dual_mov_b32 v10, -1
	s_and_saveexec_b32 s2, vcc_lo
	s_cbranch_execz .LBB42_13
; %bb.12:                               ;   in Loop: Header=BB42_10 Depth=1
	v_add_nc_u32_e32 v10, s25, v24
	s_delay_alu instid0(VALU_DEP_1) | instskip(SKIP_2) | instid1(VALU_DEP_2)
	v_lshlrev_b64 v[4:5], 2, v[10:11]
	v_lshlrev_b64 v[6:7], 4, v[10:11]
	s_waitcnt lgkmcnt(0)
	v_add_co_u32 v4, vcc_lo, s8, v4
	s_delay_alu instid0(VALU_DEP_3)
	v_add_co_ci_u32_e32 v5, vcc_lo, s9, v5, vcc_lo
	global_load_b32 v10, v[4:5], off
	v_add_co_u32 v4, vcc_lo, s10, v6
	v_add_co_ci_u32_e32 v5, vcc_lo, s11, v7, vcc_lo
	global_load_b128 v[4:7], v[4:5], off
	s_waitcnt vmcnt(1)
	v_subrev_nc_u32_e32 v10, s4, v10
.LBB42_13:                              ;   in Loop: Header=BB42_10 Depth=1
	s_or_b32 exec_lo, exec_lo, s2
	ds_store_b32 v27, v10
	s_waitcnt vmcnt(0)
	ds_store_b128 v28, v[4:7]
.LBB42_14:                              ;   in Loop: Header=BB42_10 Depth=1
	s_lshl_b32 s2, s3, 4
	s_waitcnt lgkmcnt(0)
	v_mov_b32_e32 v4, s2
	s_waitcnt_vscnt null, 0x0
	s_barrier
	buffer_gl0_inv
	s_lshl_b32 s3, s3, 2
	ds_load_b128 v[16:19], v4
	v_mov_b32_e32 v4, s3
	ds_load_b32 v4, v4 offset:16384
	s_waitcnt lgkmcnt(1)
	v_cmp_eq_f64_e32 vcc_lo, 0, v[16:17]
	v_cmp_eq_f64_e64 s2, 0, v[18:19]
	s_waitcnt lgkmcnt(0)
	v_readfirstlane_b32 s26, v4
	v_cmp_ne_u32_e64 s3, s14, v4
	s_delay_alu instid0(VALU_DEP_3) | instskip(NEXT) | instid1(VALU_DEP_2)
	s_and_b32 s2, vcc_lo, s2
	s_cmp_eq_u32 s26, s14
	s_cselect_b32 s28, -1, 0
	s_delay_alu instid0(SALU_CYCLE_1) | instskip(NEXT) | instid1(SALU_CYCLE_1)
	s_and_b32 s2, s2, s28
	s_and_b32 s2, s23, s2
	s_delay_alu instid0(SALU_CYCLE_1) | instskip(SKIP_4) | instid1(SALU_CYCLE_1)
	v_cndmask_b32_e64 v5, v19, 0, s2
	v_cndmask_b32_e64 v4, v18, 0, s2
	;; [unrolled: 1-line block ×4, first 2 shown]
	s_and_b32 s27, s1, s2
	s_and_saveexec_b32 s2, s27
	s_cbranch_execz .LBB42_18
; %bb.15:                               ;   in Loop: Header=BB42_10 Depth=1
	v_mbcnt_lo_u32_b32 v4, exec_lo, 0
	s_mov_b32 s27, exec_lo
	s_delay_alu instid0(VALU_DEP_1)
	v_cmpx_eq_u32_e32 0, v4
	s_cbranch_execz .LBB42_17
; %bb.16:                               ;   in Loop: Header=BB42_10 Depth=1
	v_mov_b32_e32 v4, s24
	global_atomic_min_i32 v11, v4, s[20:21]
.LBB42_17:                              ;   in Loop: Header=BB42_10 Depth=1
	s_or_b32 exec_lo, exec_lo, s27
	v_mov_b32_e32 v4, 0
	v_dual_mov_b32 v5, 0 :: v_dual_mov_b32 v6, 0
	v_mov_b32_e32 v7, 0x3ff00000
.LBB42_18:                              ;   in Loop: Header=BB42_10 Depth=1
	s_or_b32 exec_lo, exec_lo, s2
	s_cmp_lt_i32 s5, 1
	s_mov_b32 s2, 0
	s_cbranch_scc1 .LBB42_24
; %bb.19:                               ;   in Loop: Header=BB42_10 Depth=1
	s_cmp_eq_u32 s5, 1
	s_cbranch_scc0 .LBB42_25
; %bb.20:                               ;   in Loop: Header=BB42_10 Depth=1
	v_dual_mov_b32 v17, v13 :: v_dual_mov_b32 v16, v12
	v_dual_mov_b32 v19, v15 :: v_dual_mov_b32 v18, v14
	s_cmp_ge_i32 s26, s14
	s_mov_b32 s27, 0
	s_cbranch_scc0 .LBB42_27
; %bb.21:                               ;   in Loop: Header=BB42_10 Depth=1
	s_and_b32 vcc_lo, exec_lo, s28
	s_cbranch_vccz .LBB42_26
; %bb.22:                               ;   in Loop: Header=BB42_10 Depth=1
	v_dual_mov_b32 v17, v13 :: v_dual_mov_b32 v16, v12
	v_dual_mov_b32 v19, v15 :: v_dual_mov_b32 v18, v14
	s_and_not1_b32 vcc_lo, exec_lo, s23
	s_cbranch_vccnz .LBB42_27
; %bb.23:                               ;   in Loop: Header=BB42_10 Depth=1
	v_mul_f64 v[16:17], v[4:5], v[4:5]
	s_delay_alu instid0(VALU_DEP_1) | instskip(NEXT) | instid1(VALU_DEP_1)
	v_fma_f64 v[16:17], v[6:7], v[6:7], v[16:17]
	v_div_scale_f64 v[18:19], null, v[16:17], v[16:17], 1.0
	v_div_scale_f64 v[29:30], vcc_lo, 1.0, v[16:17], 1.0
	s_delay_alu instid0(VALU_DEP_2) | instskip(SKIP_2) | instid1(VALU_DEP_1)
	v_rcp_f64_e32 v[20:21], v[18:19]
	s_waitcnt_depctr 0xfff
	v_fma_f64 v[22:23], -v[18:19], v[20:21], 1.0
	v_fma_f64 v[20:21], v[20:21], v[22:23], v[20:21]
	s_delay_alu instid0(VALU_DEP_1) | instskip(NEXT) | instid1(VALU_DEP_1)
	v_fma_f64 v[22:23], -v[18:19], v[20:21], 1.0
	v_fma_f64 v[20:21], v[20:21], v[22:23], v[20:21]
	s_delay_alu instid0(VALU_DEP_1) | instskip(NEXT) | instid1(VALU_DEP_1)
	v_mul_f64 v[22:23], v[29:30], v[20:21]
	v_fma_f64 v[18:19], -v[18:19], v[22:23], v[29:30]
	s_delay_alu instid0(VALU_DEP_1) | instskip(SKIP_2) | instid1(VALU_DEP_3)
	v_div_fmas_f64 v[18:19], v[18:19], v[20:21], v[22:23]
	v_fma_f64 v[20:21], v[4:5], 0, v[6:7]
	v_fma_f64 v[22:23], v[6:7], 0, -v[4:5]
	v_div_fixup_f64 v[16:17], v[18:19], v[16:17], 1.0
	s_delay_alu instid0(VALU_DEP_1) | instskip(NEXT) | instid1(VALU_DEP_3)
	v_mul_f64 v[18:19], v[20:21], v[16:17]
	v_mul_f64 v[16:17], v[22:23], v[16:17]
	s_branch .LBB42_27
.LBB42_24:                              ;   in Loop: Header=BB42_10 Depth=1
	s_mov_b32 s27, 0
                                        ; implicit-def: $sgpr28
                                        ; implicit-def: $vgpr20_vgpr21
                                        ; implicit-def: $vgpr22_vgpr23
                                        ; implicit-def: $vgpr16_vgpr17
                                        ; implicit-def: $vgpr18_vgpr19
	s_cbranch_execnz .LBB42_28
	s_branch .LBB42_30
.LBB42_25:                              ;   in Loop: Header=BB42_10 Depth=1
	s_mov_b32 s27, -1
                                        ; implicit-def: $sgpr28
                                        ; implicit-def: $vgpr20_vgpr21
                                        ; implicit-def: $vgpr22_vgpr23
                                        ; implicit-def: $vgpr16_vgpr17
                                        ; implicit-def: $vgpr18_vgpr19
	s_branch .LBB42_30
.LBB42_26:                              ;   in Loop: Header=BB42_10 Depth=1
	s_mov_b32 s27, -1
                                        ; implicit-def: $vgpr16_vgpr17
                                        ; implicit-def: $vgpr18_vgpr19
.LBB42_27:                              ;   in Loop: Header=BB42_10 Depth=1
	v_dual_mov_b32 v21, v3 :: v_dual_mov_b32 v20, v2
	v_dual_mov_b32 v23, v1 :: v_dual_mov_b32 v22, v0
	s_mov_b32 s28, 4
	s_branch .LBB42_30
.LBB42_28:                              ;   in Loop: Header=BB42_10 Depth=1
	s_cmp_eq_u32 s5, 0
	s_cbranch_scc1 .LBB42_34
; %bb.29:                               ;   in Loop: Header=BB42_10 Depth=1
	s_mov_b32 s27, -1
                                        ; implicit-def: $sgpr28
                                        ; implicit-def: $vgpr20_vgpr21
                                        ; implicit-def: $vgpr22_vgpr23
                                        ; implicit-def: $vgpr16_vgpr17
                                        ; implicit-def: $vgpr18_vgpr19
.LBB42_30:                              ;   in Loop: Header=BB42_10 Depth=1
	s_delay_alu instid0(SALU_CYCLE_1)
	s_and_b32 vcc_lo, exec_lo, s27
	s_cbranch_vccnz .LBB42_37
.LBB42_31:                              ;   in Loop: Header=BB42_10 Depth=1
	s_and_b32 vcc_lo, exec_lo, s2
	s_cbranch_vccnz .LBB42_42
.LBB42_32:                              ;   in Loop: Header=BB42_10 Depth=1
	s_cmp_gt_i32 s28, 3
	s_mov_b32 s2, -1
	s_cbranch_scc1 .LBB42_45
.LBB42_33:                              ;   in Loop: Header=BB42_10 Depth=1
	s_cmp_eq_u32 s28, 0
	s_cselect_b32 s3, -1, 0
	s_delay_alu instid0(SALU_CYCLE_1)
	s_and_not1_b32 vcc_lo, exec_lo, s3
	s_cbranch_vccz .LBB42_8
	s_branch .LBB42_46
.LBB42_34:                              ;   in Loop: Header=BB42_10 Depth=1
	s_cmp_le_i32 s26, s14
	s_mov_b32 s27, 0
	s_cbranch_scc0 .LBB42_36
; %bb.35:                               ;   in Loop: Header=BB42_10 Depth=1
	s_mov_b32 s2, -1
	s_mov_b32 s27, s3
.LBB42_36:                              ;   in Loop: Header=BB42_10 Depth=1
	v_dual_mov_b32 v21, v3 :: v_dual_mov_b32 v20, v2
	v_dual_mov_b32 v23, v1 :: v_dual_mov_b32 v22, v0
	;; [unrolled: 1-line block ×4, first 2 shown]
	s_mov_b32 s28, 2
	s_and_b32 vcc_lo, exec_lo, s27
	s_cbranch_vccz .LBB42_31
.LBB42_37:                              ;   in Loop: Header=BB42_10 Depth=1
	s_and_saveexec_b32 s27, s1
	s_cbranch_execz .LBB42_39
; %bb.38:                               ;   in Loop: Header=BB42_10 Depth=1
	s_add_i32 s2, s26, s7
	s_delay_alu instid0(SALU_CYCLE_1) | instskip(NEXT) | instid1(SALU_CYCLE_1)
	s_ashr_i32 s3, s2, 31
	s_lshl_b64 s[2:3], s[2:3], 2
	s_delay_alu instid0(SALU_CYCLE_1)
	s_add_u32 s2, s18, s2
	s_addc_u32 s3, s19, s3
	global_load_b32 v10, v11, s[2:3] glc
	s_waitcnt vmcnt(0)
	v_cmp_ne_u32_e32 vcc_lo, 0, v10
	s_cbranch_vccz .LBB42_47
.LBB42_39:                              ;   in Loop: Header=BB42_10 Depth=1
	s_or_b32 exec_lo, exec_lo, s27
	v_mov_b32_e32 v20, 0
	v_mov_b32_e32 v21, 0
	s_waitcnt_vscnt null, 0x0
	s_barrier
	buffer_gl0_inv
	buffer_gl1_inv
	buffer_gl0_inv
	v_dual_mov_b32 v23, v21 :: v_dual_mov_b32 v22, v20
	s_and_saveexec_b32 s2, s0
	s_cbranch_execz .LBB42_41
; %bb.40:                               ;   in Loop: Header=BB42_10 Depth=1
	s_mul_i32 s3, s26, s17
	s_mul_hi_u32 s27, s26, s16
	s_ashr_i32 s28, s26, 31
	s_add_i32 s3, s27, s3
	s_mul_i32 s28, s28, s16
	s_mul_i32 s26, s26, s16
	s_add_i32 s27, s3, s28
	s_delay_alu instid0(SALU_CYCLE_1) | instskip(NEXT) | instid1(SALU_CYCLE_1)
	s_lshl_b64 s[26:27], s[26:27], 4
	v_add_co_u32 v16, vcc_lo, v25, s26
	v_add_co_ci_u32_e32 v17, vcc_lo, s27, v26, vcc_lo
	global_load_b128 v[16:19], v[16:17], off
	s_waitcnt vmcnt(0)
	v_fma_f64 v[20:21], -v[6:7], v[16:17], v[0:1]
	v_fma_f64 v[16:17], -v[4:5], v[16:17], v[2:3]
	s_delay_alu instid0(VALU_DEP_2) | instskip(NEXT) | instid1(VALU_DEP_2)
	v_fma_f64 v[22:23], v[4:5], v[18:19], v[20:21]
	v_fma_f64 v[20:21], -v[6:7], v[18:19], v[16:17]
.LBB42_41:                              ;   in Loop: Header=BB42_10 Depth=1
	s_or_b32 exec_lo, exec_lo, s2
	v_dual_mov_b32 v17, v13 :: v_dual_mov_b32 v16, v12
	v_dual_mov_b32 v19, v15 :: v_dual_mov_b32 v18, v14
	s_mov_b32 s28, 0
	s_branch .LBB42_32
.LBB42_42:                              ;   in Loop: Header=BB42_10 Depth=1
	s_and_not1_b32 vcc_lo, exec_lo, s23
	s_cbranch_vccnz .LBB42_44
; %bb.43:                               ;   in Loop: Header=BB42_10 Depth=1
	v_mul_f64 v[12:13], v[4:5], v[4:5]
	s_delay_alu instid0(VALU_DEP_1) | instskip(NEXT) | instid1(VALU_DEP_1)
	v_fma_f64 v[12:13], v[6:7], v[6:7], v[12:13]
	v_div_scale_f64 v[14:15], null, v[12:13], v[12:13], 1.0
	v_div_scale_f64 v[20:21], vcc_lo, 1.0, v[12:13], 1.0
	s_delay_alu instid0(VALU_DEP_2) | instskip(SKIP_2) | instid1(VALU_DEP_1)
	v_rcp_f64_e32 v[16:17], v[14:15]
	s_waitcnt_depctr 0xfff
	v_fma_f64 v[18:19], -v[14:15], v[16:17], 1.0
	v_fma_f64 v[16:17], v[16:17], v[18:19], v[16:17]
	s_delay_alu instid0(VALU_DEP_1) | instskip(NEXT) | instid1(VALU_DEP_1)
	v_fma_f64 v[18:19], -v[14:15], v[16:17], 1.0
	v_fma_f64 v[16:17], v[16:17], v[18:19], v[16:17]
	s_delay_alu instid0(VALU_DEP_1) | instskip(NEXT) | instid1(VALU_DEP_1)
	v_mul_f64 v[18:19], v[20:21], v[16:17]
	v_fma_f64 v[14:15], -v[14:15], v[18:19], v[20:21]
	s_delay_alu instid0(VALU_DEP_1) | instskip(SKIP_2) | instid1(VALU_DEP_3)
	v_div_fmas_f64 v[14:15], v[14:15], v[16:17], v[18:19]
	v_fma_f64 v[16:17], v[4:5], 0, v[6:7]
	v_fma_f64 v[4:5], v[6:7], 0, -v[4:5]
	v_div_fixup_f64 v[12:13], v[14:15], v[12:13], 1.0
	s_delay_alu instid0(VALU_DEP_1) | instskip(NEXT) | instid1(VALU_DEP_3)
	v_mul_f64 v[14:15], v[16:17], v[12:13]
	v_mul_f64 v[12:13], v[4:5], v[12:13]
.LBB42_44:                              ;   in Loop: Header=BB42_10 Depth=1
	s_delay_alu instid0(VALU_DEP_2) | instskip(NEXT) | instid1(VALU_DEP_2)
	v_dual_mov_b32 v19, v15 :: v_dual_mov_b32 v18, v14
	v_dual_mov_b32 v17, v13 :: v_dual_mov_b32 v16, v12
	v_dual_mov_b32 v23, v1 :: v_dual_mov_b32 v22, v0
	v_dual_mov_b32 v21, v3 :: v_dual_mov_b32 v20, v2
	s_mov_b32 s28, 2
	s_delay_alu instid0(SALU_CYCLE_1)
	s_cmp_gt_i32 s28, 3
	s_mov_b32 s2, -1
	s_cbranch_scc0 .LBB42_33
.LBB42_45:                              ;   in Loop: Header=BB42_10 Depth=1
	s_branch .LBB42_8
.LBB42_46:                              ;   in Loop: Header=BB42_10 Depth=1
                                        ; implicit-def: $sgpr25
	s_branch .LBB42_9
.LBB42_47:                              ;   in Loop: Header=BB42_10 Depth=1
	s_mov_b32 s28, 0
	s_branch .LBB42_49
	.p2align	6
.LBB42_48:                              ;   in Loop: Header=BB42_49 Depth=2
	global_load_b32 v10, v11, s[2:3] glc
	s_cmpk_lt_u32 s28, 0xf43
	s_cselect_b32 s29, -1, 0
	s_delay_alu instid0(SALU_CYCLE_1)
	s_cmp_lg_u32 s29, 0
	s_addc_u32 s28, s28, 0
	s_waitcnt vmcnt(0)
	v_cmp_ne_u32_e32 vcc_lo, 0, v10
	s_cbranch_vccnz .LBB42_39
.LBB42_49:                              ;   Parent Loop BB42_10 Depth=1
                                        ; =>  This Loop Header: Depth=2
                                        ;       Child Loop BB42_50 Depth 3
	s_cmp_eq_u32 s28, 0
	s_mov_b32 s29, s28
	s_cbranch_scc1 .LBB42_48
.LBB42_50:                              ;   Parent Loop BB42_10 Depth=1
                                        ;     Parent Loop BB42_49 Depth=2
                                        ; =>    This Inner Loop Header: Depth=3
	s_add_i32 s29, s29, -1
	s_sleep 1
	s_cmp_eq_u32 s29, 0
	s_cbranch_scc0 .LBB42_50
	s_branch .LBB42_48
.LBB42_51:
                                        ; implicit-def: $vgpr2_vgpr3
	s_load_b64 s[18:19], s[2:3], 0x48
.LBB42_52:
	v_mov_b32_e32 v2, 0
	v_mov_b32_e32 v3, 0
	s_delay_alu instid0(VALU_DEP_1)
	v_dual_mov_b32 v0, v2 :: v_dual_mov_b32 v1, v3
	s_and_saveexec_b32 s1, s0
	s_cbranch_execz .LBB42_54
; %bb.53:
	v_lshlrev_b64 v[0:1], 4, v[8:9]
	s_delay_alu instid0(VALU_DEP_1) | instskip(NEXT) | instid1(VALU_DEP_2)
	v_add_co_u32 v0, vcc_lo, s12, v0
	v_add_co_ci_u32_e32 v1, vcc_lo, s13, v1, vcc_lo
	global_load_b128 v[12:15], v[0:1], off
	s_waitcnt vmcnt(0)
	v_mul_f64 v[0:1], v[6:7], v[14:15]
	v_mul_f64 v[2:3], v[4:5], -v[14:15]
	s_delay_alu instid0(VALU_DEP_2) | instskip(NEXT) | instid1(VALU_DEP_2)
	v_fma_f64 v[0:1], v[4:5], v[12:13], v[0:1]
	v_fma_f64 v[2:3], v[6:7], v[12:13], v[2:3]
.LBB42_54:
	s_or_b32 exec_lo, exec_lo, s1
	v_cmp_eq_u32_e64 s1, 0, v24
	s_waitcnt lgkmcnt(0)
	s_cmp_ge_i32 s22, s23
	s_cbranch_scc0 .LBB42_7
.LBB42_55:
	v_mov_b32_e32 v16, 0
	v_dual_mov_b32 v17, 0 :: v_dual_mov_b32 v18, 0
	v_mov_b32_e32 v19, 0x3ff00000
	s_cmp_lg_u32 s6, 0
	s_cbranch_scc1 .LBB42_58
	s_branch .LBB42_57
.LBB42_56:
	v_dual_mov_b32 v2, v20 :: v_dual_mov_b32 v3, v21
	v_dual_mov_b32 v0, v22 :: v_dual_mov_b32 v1, v23
	s_cmp_lg_u32 s6, 0
	s_cbranch_scc1 .LBB42_58
.LBB42_57:
	s_waitcnt vmcnt(0)
	v_mul_f64 v[4:5], v[16:17], -v[2:3]
	v_mul_f64 v[6:7], v[16:17], v[0:1]
	s_delay_alu instid0(VALU_DEP_2) | instskip(NEXT) | instid1(VALU_DEP_2)
	v_fma_f64 v[0:1], v[0:1], v[18:19], v[4:5]
	v_fma_f64 v[2:3], v[2:3], v[18:19], v[6:7]
.LBB42_58:
	s_and_saveexec_b32 s1, s0
	s_cbranch_execz .LBB42_60
; %bb.59:
	s_waitcnt vmcnt(0)
	v_lshlrev_b64 v[4:5], 4, v[8:9]
	s_delay_alu instid0(VALU_DEP_1) | instskip(NEXT) | instid1(VALU_DEP_2)
	v_add_co_u32 v4, vcc_lo, s12, v4
	v_add_co_ci_u32_e32 v5, vcc_lo, s13, v5, vcc_lo
	global_store_b128 v[4:5], v[0:3], off
.LBB42_60:
	s_or_b32 exec_lo, exec_lo, s1
	s_waitcnt vmcnt(0)
	s_waitcnt_vscnt null, 0x0
	buffer_gl1_inv
	buffer_gl0_inv
	s_barrier
	buffer_gl0_inv
	s_mov_b32 s0, exec_lo
	v_cmpx_eq_u32_e32 0, v24
	s_cbranch_execz .LBB42_62
; %bb.61:
	s_add_i32 s0, s14, s7
	v_dual_mov_b32 v0, 0 :: v_dual_mov_b32 v1, 1
	s_ashr_i32 s1, s0, 31
	s_delay_alu instid0(SALU_CYCLE_1) | instskip(NEXT) | instid1(SALU_CYCLE_1)
	s_lshl_b64 s[0:1], s[0:1], 2
	s_add_u32 s0, s18, s0
	s_addc_u32 s1, s19, s1
	global_store_b32 v0, v1, s[0:1]
.LBB42_62:
	s_nop 0
	s_sendmsg sendmsg(MSG_DEALLOC_VGPRS)
	s_endpgm
	.section	.rodata,"a",@progbits
	.p2align	6, 0x0
	.amdhsa_kernel _ZN9rocsparseL5csrsmILj1024ELj64ELb1Eii21rocsparse_complex_numIdEEEv20rocsparse_operation_T3_S4_NS_24const_host_device_scalarIT4_EEPKT2_PKS4_PKS6_PS6_lPiSC_PS4_21rocsparse_index_base_20rocsparse_fill_mode_20rocsparse_diag_type_b
		.amdhsa_group_segment_fixed_size 28672
		.amdhsa_private_segment_fixed_size 0
		.amdhsa_kernarg_size 112
		.amdhsa_user_sgpr_count 15
		.amdhsa_user_sgpr_dispatch_ptr 1
		.amdhsa_user_sgpr_queue_ptr 0
		.amdhsa_user_sgpr_kernarg_segment_ptr 1
		.amdhsa_user_sgpr_dispatch_id 0
		.amdhsa_user_sgpr_private_segment_size 0
		.amdhsa_wavefront_size32 1
		.amdhsa_uses_dynamic_stack 0
		.amdhsa_enable_private_segment 0
		.amdhsa_system_sgpr_workgroup_id_x 1
		.amdhsa_system_sgpr_workgroup_id_y 0
		.amdhsa_system_sgpr_workgroup_id_z 0
		.amdhsa_system_sgpr_workgroup_info 0
		.amdhsa_system_vgpr_workitem_id 2
		.amdhsa_next_free_vgpr 31
		.amdhsa_next_free_sgpr 30
		.amdhsa_reserve_vcc 1
		.amdhsa_float_round_mode_32 0
		.amdhsa_float_round_mode_16_64 0
		.amdhsa_float_denorm_mode_32 3
		.amdhsa_float_denorm_mode_16_64 3
		.amdhsa_dx10_clamp 1
		.amdhsa_ieee_mode 1
		.amdhsa_fp16_overflow 0
		.amdhsa_workgroup_processor_mode 1
		.amdhsa_memory_ordered 1
		.amdhsa_forward_progress 0
		.amdhsa_shared_vgpr_count 0
		.amdhsa_exception_fp_ieee_invalid_op 0
		.amdhsa_exception_fp_denorm_src 0
		.amdhsa_exception_fp_ieee_div_zero 0
		.amdhsa_exception_fp_ieee_overflow 0
		.amdhsa_exception_fp_ieee_underflow 0
		.amdhsa_exception_fp_ieee_inexact 0
		.amdhsa_exception_int_div_zero 0
	.end_amdhsa_kernel
	.section	.text._ZN9rocsparseL5csrsmILj1024ELj64ELb1Eii21rocsparse_complex_numIdEEEv20rocsparse_operation_T3_S4_NS_24const_host_device_scalarIT4_EEPKT2_PKS4_PKS6_PS6_lPiSC_PS4_21rocsparse_index_base_20rocsparse_fill_mode_20rocsparse_diag_type_b,"axG",@progbits,_ZN9rocsparseL5csrsmILj1024ELj64ELb1Eii21rocsparse_complex_numIdEEEv20rocsparse_operation_T3_S4_NS_24const_host_device_scalarIT4_EEPKT2_PKS4_PKS6_PS6_lPiSC_PS4_21rocsparse_index_base_20rocsparse_fill_mode_20rocsparse_diag_type_b,comdat
.Lfunc_end42:
	.size	_ZN9rocsparseL5csrsmILj1024ELj64ELb1Eii21rocsparse_complex_numIdEEEv20rocsparse_operation_T3_S4_NS_24const_host_device_scalarIT4_EEPKT2_PKS4_PKS6_PS6_lPiSC_PS4_21rocsparse_index_base_20rocsparse_fill_mode_20rocsparse_diag_type_b, .Lfunc_end42-_ZN9rocsparseL5csrsmILj1024ELj64ELb1Eii21rocsparse_complex_numIdEEEv20rocsparse_operation_T3_S4_NS_24const_host_device_scalarIT4_EEPKT2_PKS4_PKS6_PS6_lPiSC_PS4_21rocsparse_index_base_20rocsparse_fill_mode_20rocsparse_diag_type_b
                                        ; -- End function
	.section	.AMDGPU.csdata,"",@progbits
; Kernel info:
; codeLenInByte = 2544
; NumSgprs: 32
; NumVgprs: 31
; ScratchSize: 0
; MemoryBound: 0
; FloatMode: 240
; IeeeMode: 1
; LDSByteSize: 28672 bytes/workgroup (compile time only)
; SGPRBlocks: 3
; VGPRBlocks: 3
; NumSGPRsForWavesPerEU: 32
; NumVGPRsForWavesPerEU: 31
; Occupancy: 16
; WaveLimiterHint : 1
; COMPUTE_PGM_RSRC2:SCRATCH_EN: 0
; COMPUTE_PGM_RSRC2:USER_SGPR: 15
; COMPUTE_PGM_RSRC2:TRAP_HANDLER: 0
; COMPUTE_PGM_RSRC2:TGID_X_EN: 1
; COMPUTE_PGM_RSRC2:TGID_Y_EN: 0
; COMPUTE_PGM_RSRC2:TGID_Z_EN: 0
; COMPUTE_PGM_RSRC2:TIDIG_COMP_CNT: 2
	.section	.text._ZN9rocsparseL5csrsmILj1024ELj64ELb0Eii21rocsparse_complex_numIdEEEv20rocsparse_operation_T3_S4_NS_24const_host_device_scalarIT4_EEPKT2_PKS4_PKS6_PS6_lPiSC_PS4_21rocsparse_index_base_20rocsparse_fill_mode_20rocsparse_diag_type_b,"axG",@progbits,_ZN9rocsparseL5csrsmILj1024ELj64ELb0Eii21rocsparse_complex_numIdEEEv20rocsparse_operation_T3_S4_NS_24const_host_device_scalarIT4_EEPKT2_PKS4_PKS6_PS6_lPiSC_PS4_21rocsparse_index_base_20rocsparse_fill_mode_20rocsparse_diag_type_b,comdat
	.globl	_ZN9rocsparseL5csrsmILj1024ELj64ELb0Eii21rocsparse_complex_numIdEEEv20rocsparse_operation_T3_S4_NS_24const_host_device_scalarIT4_EEPKT2_PKS4_PKS6_PS6_lPiSC_PS4_21rocsparse_index_base_20rocsparse_fill_mode_20rocsparse_diag_type_b ; -- Begin function _ZN9rocsparseL5csrsmILj1024ELj64ELb0Eii21rocsparse_complex_numIdEEEv20rocsparse_operation_T3_S4_NS_24const_host_device_scalarIT4_EEPKT2_PKS4_PKS6_PS6_lPiSC_PS4_21rocsparse_index_base_20rocsparse_fill_mode_20rocsparse_diag_type_b
	.p2align	8
	.type	_ZN9rocsparseL5csrsmILj1024ELj64ELb0Eii21rocsparse_complex_numIdEEEv20rocsparse_operation_T3_S4_NS_24const_host_device_scalarIT4_EEPKT2_PKS4_PKS6_PS6_lPiSC_PS4_21rocsparse_index_base_20rocsparse_fill_mode_20rocsparse_diag_type_b,@function
_ZN9rocsparseL5csrsmILj1024ELj64ELb0Eii21rocsparse_complex_numIdEEEv20rocsparse_operation_T3_S4_NS_24const_host_device_scalarIT4_EEPKT2_PKS4_PKS6_PS6_lPiSC_PS4_21rocsparse_index_base_20rocsparse_fill_mode_20rocsparse_diag_type_b: ; @_ZN9rocsparseL5csrsmILj1024ELj64ELb0Eii21rocsparse_complex_numIdEEEv20rocsparse_operation_T3_S4_NS_24const_host_device_scalarIT4_EEPKT2_PKS4_PKS6_PS6_lPiSC_PS4_21rocsparse_index_base_20rocsparse_fill_mode_20rocsparse_diag_type_b
; %bb.0:
	s_load_b64 s[0:1], s[0:1], 0x4
	s_load_b128 s[8:11], s[2:3], 0x10
	v_and_b32_e32 v24, 0x3ff, v0
	s_load_b128 s[4:7], s[2:3], 0x60
	v_bfe_u32 v2, v0, 10, 10
	v_bfe_u32 v0, v0, 20, 10
	s_mov_b64 s[12:13], src_shared_base
	s_waitcnt lgkmcnt(0)
	s_lshr_b32 s0, s0, 16
	s_delay_alu instid0(SALU_CYCLE_1) | instskip(NEXT) | instid1(SALU_CYCLE_1)
	s_mul_i32 s0, s0, s1
	v_mul_lo_u32 v1, s0, v24
	s_and_b32 s0, 1, s7
	s_delay_alu instid0(SALU_CYCLE_1) | instskip(SKIP_1) | instid1(VALU_DEP_1)
	s_cmp_eq_u32 s0, 1
	s_cselect_b32 vcc_lo, -1, 0
	v_mad_u32_u24 v1, v2, s1, v1
	s_load_b64 s[0:1], s[2:3], 0x20
	v_dual_mov_b32 v2, s8 :: v_dual_mov_b32 v3, s9
	v_dual_mov_b32 v6, s10 :: v_dual_mov_b32 v7, s11
	s_delay_alu instid0(VALU_DEP_3) | instskip(NEXT) | instid1(VALU_DEP_1)
	v_add_lshl_u32 v4, v1, v0, 3
	v_add_nc_u32_e32 v0, 0x5000, v4
	ds_store_b64 v4, v[2:3] offset:20480
	v_cndmask_b32_e32 v0, s8, v0, vcc_lo
	s_and_b32 vcc_lo, vcc_lo, exec_lo
	s_cselect_b32 s7, s13, s9
	s_delay_alu instid0(SALU_CYCLE_1)
	v_mov_b32_e32 v1, s7
	flat_load_b64 v[4:5], v[0:1]
	s_clause 0x1
	s_load_b64 s[18:19], s[2:3], 0x50
	s_load_b64 s[12:13], s[2:3], 0x38
	s_cbranch_vccnz .LBB43_2
; %bb.1:
	v_dual_mov_b32 v0, s8 :: v_dual_mov_b32 v1, s9
	flat_load_b64 v[6:7], v[0:1] offset:8
.LBB43_2:
	s_clause 0x1
	s_load_b128 s[8:11], s[2:3], 0x0
	s_load_b64 s[16:17], s[2:3], 0x40
	s_waitcnt lgkmcnt(0)
	v_cvt_f32_u32_e32 v0, s9
	s_sub_i32 s11, 0, s9
	s_delay_alu instid0(VALU_DEP_1) | instskip(SKIP_2) | instid1(VALU_DEP_1)
	v_rcp_iflag_f32_e32 v0, v0
	s_waitcnt_depctr 0xfff
	v_mul_f32_e32 v0, 0x4f7ffffe, v0
	v_cvt_u32_f32_e32 v0, v0
	s_delay_alu instid0(VALU_DEP_1) | instskip(NEXT) | instid1(VALU_DEP_1)
	v_readfirstlane_b32 s7, v0
	s_mul_i32 s11, s11, s7
	s_delay_alu instid0(SALU_CYCLE_1) | instskip(NEXT) | instid1(SALU_CYCLE_1)
	s_mul_hi_u32 s11, s7, s11
	s_add_i32 s7, s7, s11
	s_delay_alu instid0(SALU_CYCLE_1) | instskip(NEXT) | instid1(SALU_CYCLE_1)
	s_mul_hi_u32 s7, s15, s7
	s_mul_i32 s11, s7, s9
	s_add_i32 s14, s7, 1
	s_sub_i32 s11, s15, s11
	s_delay_alu instid0(SALU_CYCLE_1)
	s_sub_i32 s20, s11, s9
	s_cmp_ge_u32 s11, s9
	s_cselect_b32 s7, s14, s7
	s_cselect_b32 s11, s20, s11
	s_add_i32 s14, s7, 1
	s_cmp_ge_u32 s11, s9
	s_cselect_b32 s11, s14, s7
	s_delay_alu instid0(SALU_CYCLE_1) | instskip(SKIP_2) | instid1(SALU_CYCLE_1)
	s_mul_i32 s7, s11, s9
	v_lshl_or_b32 v10, s11, 10, v24
	s_sub_i32 s14, s15, s7
	s_ashr_i32 s15, s14, 31
	s_delay_alu instid0(VALU_DEP_1) | instskip(SKIP_1) | instid1(SALU_CYCLE_1)
	v_ashrrev_i32_e32 v11, 31, v10
	s_lshl_b64 s[14:15], s[14:15], 2
	s_add_u32 s14, s18, s14
	s_addc_u32 s15, s19, s15
	s_load_b32 s14, s[14:15], 0x0
	s_waitcnt lgkmcnt(0)
	s_ashr_i32 s15, s14, 31
	v_mad_u64_u32 v[8:9], null, s14, s16, v[10:11]
	s_lshl_b64 s[18:19], s[14:15], 2
	s_delay_alu instid0(SALU_CYCLE_1)
	s_add_u32 s0, s0, s18
	s_addc_u32 s1, s1, s19
	s_cmpk_lg_i32 s8, 0x71
	s_load_b64 s[22:23], s[0:1], 0x0
	s_mul_i32 s0, s15, s16
	s_mul_i32 s1, s14, s17
	s_delay_alu instid0(SALU_CYCLE_1)
	v_add3_u32 v9, s1, s0, v9
	v_cmp_gt_i32_e64 s0, s10, v10
	s_cbranch_scc0 .LBB43_48
; %bb.3:
	v_mov_b32_e32 v2, 0
	v_mov_b32_e32 v3, 0
	s_delay_alu instid0(VALU_DEP_1)
	v_dual_mov_b32 v0, v2 :: v_dual_mov_b32 v1, v3
	s_and_saveexec_b32 s1, s0
	s_cbranch_execz .LBB43_5
; %bb.4:
	v_lshlrev_b64 v[0:1], 4, v[8:9]
	s_delay_alu instid0(VALU_DEP_1) | instskip(NEXT) | instid1(VALU_DEP_2)
	v_add_co_u32 v0, vcc_lo, s12, v0
	v_add_co_ci_u32_e32 v1, vcc_lo, s13, v1, vcc_lo
	global_load_b128 v[12:15], v[0:1], off
	s_waitcnt vmcnt(0)
	v_mul_f64 v[0:1], v[14:15], -v[6:7]
	v_mul_f64 v[2:3], v[4:5], v[14:15]
	s_delay_alu instid0(VALU_DEP_2) | instskip(NEXT) | instid1(VALU_DEP_2)
	v_fma_f64 v[0:1], v[4:5], v[12:13], v[0:1]
	v_fma_f64 v[2:3], v[6:7], v[12:13], v[2:3]
.LBB43_5:
	s_or_b32 exec_lo, exec_lo, s1
	s_load_b64 s[18:19], s[2:3], 0x48
	s_cbranch_execz .LBB43_49
; %bb.6:
	v_cmp_eq_u32_e64 s1, 0, v24
	s_waitcnt lgkmcnt(0)
	s_cmp_ge_i32 s22, s23
	s_cbranch_scc1 .LBB43_52
.LBB43_7:
	s_clause 0x1
	s_load_b64 s[20:21], s[2:3], 0x58
	s_load_b128 s[8:11], s[2:3], 0x28
	s_waitcnt vmcnt(0)
	v_lshlrev_b64 v[4:5], 4, v[10:11]
	v_mov_b32_e32 v12, 0
	v_dual_mov_b32 v14, 0 :: v_dual_mov_b32 v11, 0
	s_sub_i32 s15, s22, s4
	s_sub_i32 s22, s23, s4
	s_delay_alu instid0(VALU_DEP_3)
	v_add_co_u32 v25, vcc_lo, s12, v4
	v_add_co_ci_u32_e32 v26, vcc_lo, s13, v5, vcc_lo
	v_lshl_or_b32 v27, v24, 2, 0x4000
	v_dual_mov_b32 v13, 0 :: v_dual_lshlrev_b32 v28, 4, v24
	v_mov_b32_e32 v15, 0x3ff00000
	s_cmp_eq_u32 s6, 0
	s_mov_b32 s25, s15
	s_cselect_b32 s23, -1, 0
	s_add_i32 s24, s14, s4
	s_branch .LBB43_10
.LBB43_8:                               ;   in Loop: Header=BB43_10 Depth=1
	s_add_i32 s25, s25, 1
	s_delay_alu instid0(SALU_CYCLE_1)
	s_cmp_ge_i32 s25, s22
	s_cselect_b32 s2, -1, 0
.LBB43_9:                               ;   in Loop: Header=BB43_10 Depth=1
	s_delay_alu instid0(VALU_DEP_3) | instskip(NEXT) | instid1(VALU_DEP_4)
	v_dual_mov_b32 v2, v20 :: v_dual_mov_b32 v3, v21
	v_dual_mov_b32 v0, v22 :: v_dual_mov_b32 v1, v23
	s_delay_alu instid0(VALU_DEP_4) | instskip(NEXT) | instid1(VALU_DEP_4)
	v_dual_mov_b32 v12, v16 :: v_dual_mov_b32 v13, v17
	v_dual_mov_b32 v14, v18 :: v_dual_mov_b32 v15, v19
	s_and_not1_b32 vcc_lo, exec_lo, s2
	s_cbranch_vccz .LBB43_53
.LBB43_10:                              ; =>This Loop Header: Depth=1
                                        ;     Child Loop BB43_39 Depth 2
	s_sub_i32 s2, s25, s15
	s_delay_alu instid0(SALU_CYCLE_1) | instskip(NEXT) | instid1(SALU_CYCLE_1)
	s_and_b32 s3, s2, 0x3ff
	s_cmp_lg_u32 s3, 0
	s_cbranch_scc1 .LBB43_14
; %bb.11:                               ;   in Loop: Header=BB43_10 Depth=1
	s_sub_i32 s2, s22, s25
	v_mov_b32_e32 v6, 0
	v_dual_mov_b32 v7, 0 :: v_dual_mov_b32 v4, 0
	v_cmp_gt_u32_e32 vcc_lo, s2, v24
	v_dual_mov_b32 v5, 0xbff00000 :: v_dual_mov_b32 v10, -1
	s_and_saveexec_b32 s2, vcc_lo
	s_cbranch_execz .LBB43_13
; %bb.12:                               ;   in Loop: Header=BB43_10 Depth=1
	v_add_nc_u32_e32 v10, s25, v24
	s_delay_alu instid0(VALU_DEP_1) | instskip(SKIP_2) | instid1(VALU_DEP_2)
	v_lshlrev_b64 v[4:5], 2, v[10:11]
	v_lshlrev_b64 v[6:7], 4, v[10:11]
	s_waitcnt lgkmcnt(0)
	v_add_co_u32 v4, vcc_lo, s8, v4
	s_delay_alu instid0(VALU_DEP_3)
	v_add_co_ci_u32_e32 v5, vcc_lo, s9, v5, vcc_lo
	global_load_b32 v10, v[4:5], off
	v_add_co_u32 v4, vcc_lo, s10, v6
	v_add_co_ci_u32_e32 v5, vcc_lo, s11, v7, vcc_lo
	global_load_b128 v[4:7], v[4:5], off
	s_waitcnt vmcnt(1)
	v_subrev_nc_u32_e32 v10, s4, v10
.LBB43_13:                              ;   in Loop: Header=BB43_10 Depth=1
	s_or_b32 exec_lo, exec_lo, s2
	ds_store_b32 v27, v10
	s_waitcnt vmcnt(0)
	ds_store_b128 v28, v[4:7]
.LBB43_14:                              ;   in Loop: Header=BB43_10 Depth=1
	s_lshl_b32 s2, s3, 4
	s_waitcnt lgkmcnt(0)
	v_mov_b32_e32 v4, s2
	s_waitcnt_vscnt null, 0x0
	s_barrier
	buffer_gl0_inv
	s_lshl_b32 s3, s3, 2
	ds_load_b128 v[16:19], v4
	v_mov_b32_e32 v4, s3
	ds_load_b32 v4, v4 offset:16384
	s_waitcnt lgkmcnt(1)
	v_cmp_eq_f64_e32 vcc_lo, 0, v[16:17]
	v_cmp_eq_f64_e64 s2, 0, v[18:19]
	s_waitcnt lgkmcnt(0)
	v_readfirstlane_b32 s26, v4
	v_cmp_ne_u32_e64 s3, s14, v4
	s_delay_alu instid0(VALU_DEP_3) | instskip(NEXT) | instid1(VALU_DEP_2)
	s_and_b32 s2, vcc_lo, s2
	s_cmp_eq_u32 s26, s14
	s_cselect_b32 s28, -1, 0
	s_delay_alu instid0(SALU_CYCLE_1) | instskip(NEXT) | instid1(SALU_CYCLE_1)
	s_and_b32 s2, s2, s28
	s_and_b32 s2, s23, s2
	s_delay_alu instid0(SALU_CYCLE_1) | instskip(SKIP_4) | instid1(SALU_CYCLE_1)
	v_cndmask_b32_e64 v5, v19, 0, s2
	v_cndmask_b32_e64 v4, v18, 0, s2
	;; [unrolled: 1-line block ×4, first 2 shown]
	s_and_b32 s27, s1, s2
	s_and_saveexec_b32 s2, s27
	s_cbranch_execz .LBB43_18
; %bb.15:                               ;   in Loop: Header=BB43_10 Depth=1
	v_mbcnt_lo_u32_b32 v4, exec_lo, 0
	s_mov_b32 s27, exec_lo
	s_delay_alu instid0(VALU_DEP_1)
	v_cmpx_eq_u32_e32 0, v4
	s_cbranch_execz .LBB43_17
; %bb.16:                               ;   in Loop: Header=BB43_10 Depth=1
	v_mov_b32_e32 v4, s24
	global_atomic_min_i32 v11, v4, s[20:21]
.LBB43_17:                              ;   in Loop: Header=BB43_10 Depth=1
	s_or_b32 exec_lo, exec_lo, s27
	v_mov_b32_e32 v4, 0
	v_dual_mov_b32 v5, 0 :: v_dual_mov_b32 v6, 0
	v_mov_b32_e32 v7, 0x3ff00000
.LBB43_18:                              ;   in Loop: Header=BB43_10 Depth=1
	s_or_b32 exec_lo, exec_lo, s2
	s_cmp_lt_i32 s5, 1
	s_mov_b32 s2, 0
	s_cbranch_scc1 .LBB43_24
; %bb.19:                               ;   in Loop: Header=BB43_10 Depth=1
	s_cmp_eq_u32 s5, 1
	s_cbranch_scc0 .LBB43_25
; %bb.20:                               ;   in Loop: Header=BB43_10 Depth=1
	v_dual_mov_b32 v17, v13 :: v_dual_mov_b32 v16, v12
	v_dual_mov_b32 v19, v15 :: v_dual_mov_b32 v18, v14
	s_cmp_ge_i32 s26, s14
	s_mov_b32 s27, 0
	s_cbranch_scc0 .LBB43_27
; %bb.21:                               ;   in Loop: Header=BB43_10 Depth=1
	s_and_b32 vcc_lo, exec_lo, s28
	s_cbranch_vccz .LBB43_26
; %bb.22:                               ;   in Loop: Header=BB43_10 Depth=1
	v_dual_mov_b32 v17, v13 :: v_dual_mov_b32 v16, v12
	v_dual_mov_b32 v19, v15 :: v_dual_mov_b32 v18, v14
	s_and_not1_b32 vcc_lo, exec_lo, s23
	s_cbranch_vccnz .LBB43_27
; %bb.23:                               ;   in Loop: Header=BB43_10 Depth=1
	v_mul_f64 v[16:17], v[4:5], v[4:5]
	s_delay_alu instid0(VALU_DEP_1) | instskip(NEXT) | instid1(VALU_DEP_1)
	v_fma_f64 v[16:17], v[6:7], v[6:7], v[16:17]
	v_div_scale_f64 v[18:19], null, v[16:17], v[16:17], 1.0
	v_div_scale_f64 v[29:30], vcc_lo, 1.0, v[16:17], 1.0
	s_delay_alu instid0(VALU_DEP_2) | instskip(SKIP_2) | instid1(VALU_DEP_1)
	v_rcp_f64_e32 v[20:21], v[18:19]
	s_waitcnt_depctr 0xfff
	v_fma_f64 v[22:23], -v[18:19], v[20:21], 1.0
	v_fma_f64 v[20:21], v[20:21], v[22:23], v[20:21]
	s_delay_alu instid0(VALU_DEP_1) | instskip(NEXT) | instid1(VALU_DEP_1)
	v_fma_f64 v[22:23], -v[18:19], v[20:21], 1.0
	v_fma_f64 v[20:21], v[20:21], v[22:23], v[20:21]
	s_delay_alu instid0(VALU_DEP_1) | instskip(NEXT) | instid1(VALU_DEP_1)
	v_mul_f64 v[22:23], v[29:30], v[20:21]
	v_fma_f64 v[18:19], -v[18:19], v[22:23], v[29:30]
	s_delay_alu instid0(VALU_DEP_1) | instskip(SKIP_2) | instid1(VALU_DEP_3)
	v_div_fmas_f64 v[18:19], v[18:19], v[20:21], v[22:23]
	v_fma_f64 v[20:21], v[4:5], 0, v[6:7]
	v_fma_f64 v[22:23], v[6:7], 0, -v[4:5]
	v_div_fixup_f64 v[16:17], v[18:19], v[16:17], 1.0
	s_delay_alu instid0(VALU_DEP_1) | instskip(NEXT) | instid1(VALU_DEP_3)
	v_mul_f64 v[18:19], v[20:21], v[16:17]
	v_mul_f64 v[16:17], v[22:23], v[16:17]
	s_branch .LBB43_27
.LBB43_24:                              ;   in Loop: Header=BB43_10 Depth=1
	s_mov_b32 s27, 0
                                        ; implicit-def: $sgpr28
                                        ; implicit-def: $vgpr20_vgpr21
                                        ; implicit-def: $vgpr22_vgpr23
                                        ; implicit-def: $vgpr16_vgpr17
                                        ; implicit-def: $vgpr18_vgpr19
	s_cbranch_execnz .LBB43_28
	s_branch .LBB43_30
.LBB43_25:                              ;   in Loop: Header=BB43_10 Depth=1
	s_mov_b32 s27, -1
                                        ; implicit-def: $sgpr28
                                        ; implicit-def: $vgpr20_vgpr21
                                        ; implicit-def: $vgpr22_vgpr23
                                        ; implicit-def: $vgpr16_vgpr17
                                        ; implicit-def: $vgpr18_vgpr19
	s_branch .LBB43_30
.LBB43_26:                              ;   in Loop: Header=BB43_10 Depth=1
	s_mov_b32 s27, -1
                                        ; implicit-def: $vgpr16_vgpr17
                                        ; implicit-def: $vgpr18_vgpr19
.LBB43_27:                              ;   in Loop: Header=BB43_10 Depth=1
	v_dual_mov_b32 v21, v3 :: v_dual_mov_b32 v20, v2
	v_dual_mov_b32 v23, v1 :: v_dual_mov_b32 v22, v0
	s_mov_b32 s28, 4
	s_branch .LBB43_30
.LBB43_28:                              ;   in Loop: Header=BB43_10 Depth=1
	s_cmp_eq_u32 s5, 0
	s_cbranch_scc1 .LBB43_34
; %bb.29:                               ;   in Loop: Header=BB43_10 Depth=1
	s_mov_b32 s27, -1
                                        ; implicit-def: $sgpr28
                                        ; implicit-def: $vgpr20_vgpr21
                                        ; implicit-def: $vgpr22_vgpr23
                                        ; implicit-def: $vgpr16_vgpr17
                                        ; implicit-def: $vgpr18_vgpr19
.LBB43_30:                              ;   in Loop: Header=BB43_10 Depth=1
	s_delay_alu instid0(SALU_CYCLE_1)
	s_and_b32 vcc_lo, exec_lo, s27
	s_cbranch_vccnz .LBB43_37
.LBB43_31:                              ;   in Loop: Header=BB43_10 Depth=1
	s_and_b32 vcc_lo, exec_lo, s2
	s_cbranch_vccnz .LBB43_43
.LBB43_32:                              ;   in Loop: Header=BB43_10 Depth=1
	s_cmp_gt_i32 s28, 3
	s_mov_b32 s2, -1
	s_cbranch_scc1 .LBB43_46
.LBB43_33:                              ;   in Loop: Header=BB43_10 Depth=1
	s_cmp_eq_u32 s28, 0
	s_cselect_b32 s3, -1, 0
	s_delay_alu instid0(SALU_CYCLE_1)
	s_and_not1_b32 vcc_lo, exec_lo, s3
	s_cbranch_vccz .LBB43_8
	s_branch .LBB43_47
.LBB43_34:                              ;   in Loop: Header=BB43_10 Depth=1
	s_cmp_le_i32 s26, s14
	s_mov_b32 s27, 0
	s_cbranch_scc0 .LBB43_36
; %bb.35:                               ;   in Loop: Header=BB43_10 Depth=1
	s_mov_b32 s2, -1
	s_mov_b32 s27, s3
.LBB43_36:                              ;   in Loop: Header=BB43_10 Depth=1
	v_dual_mov_b32 v21, v3 :: v_dual_mov_b32 v20, v2
	v_dual_mov_b32 v23, v1 :: v_dual_mov_b32 v22, v0
	;; [unrolled: 1-line block ×4, first 2 shown]
	s_mov_b32 s28, 2
	s_and_b32 vcc_lo, exec_lo, s27
	s_cbranch_vccz .LBB43_31
.LBB43_37:                              ;   in Loop: Header=BB43_10 Depth=1
	s_and_saveexec_b32 s27, s1
	s_cbranch_execz .LBB43_40
; %bb.38:                               ;   in Loop: Header=BB43_10 Depth=1
	s_add_i32 s2, s26, s7
	s_delay_alu instid0(SALU_CYCLE_1) | instskip(NEXT) | instid1(SALU_CYCLE_1)
	s_ashr_i32 s3, s2, 31
	s_lshl_b64 s[2:3], s[2:3], 2
	s_delay_alu instid0(SALU_CYCLE_1)
	s_add_u32 s2, s18, s2
	s_addc_u32 s3, s19, s3
	global_load_b32 v10, v11, s[2:3] glc
	s_waitcnt vmcnt(0)
	v_cmp_ne_u32_e32 vcc_lo, 0, v10
	s_cbranch_vccnz .LBB43_40
.LBB43_39:                              ;   Parent Loop BB43_10 Depth=1
                                        ; =>  This Inner Loop Header: Depth=2
	global_load_b32 v10, v11, s[2:3] glc
	s_waitcnt vmcnt(0)
	v_cmp_eq_u32_e32 vcc_lo, 0, v10
	s_cbranch_vccnz .LBB43_39
.LBB43_40:                              ;   in Loop: Header=BB43_10 Depth=1
	s_or_b32 exec_lo, exec_lo, s27
	v_mov_b32_e32 v20, 0
	v_mov_b32_e32 v21, 0
	s_waitcnt_vscnt null, 0x0
	s_barrier
	buffer_gl0_inv
	buffer_gl1_inv
	buffer_gl0_inv
	v_dual_mov_b32 v23, v21 :: v_dual_mov_b32 v22, v20
	s_and_saveexec_b32 s2, s0
	s_cbranch_execz .LBB43_42
; %bb.41:                               ;   in Loop: Header=BB43_10 Depth=1
	s_mul_i32 s3, s26, s17
	s_mul_hi_u32 s27, s26, s16
	s_ashr_i32 s28, s26, 31
	s_add_i32 s3, s27, s3
	s_mul_i32 s28, s28, s16
	s_mul_i32 s26, s26, s16
	s_add_i32 s27, s3, s28
	s_delay_alu instid0(SALU_CYCLE_1) | instskip(NEXT) | instid1(SALU_CYCLE_1)
	s_lshl_b64 s[26:27], s[26:27], 4
	v_add_co_u32 v16, vcc_lo, v25, s26
	v_add_co_ci_u32_e32 v17, vcc_lo, s27, v26, vcc_lo
	global_load_b128 v[16:19], v[16:17], off
	s_waitcnt vmcnt(0)
	v_fma_f64 v[20:21], -v[6:7], v[16:17], v[0:1]
	v_fma_f64 v[16:17], -v[4:5], v[16:17], v[2:3]
	s_delay_alu instid0(VALU_DEP_2) | instskip(NEXT) | instid1(VALU_DEP_2)
	v_fma_f64 v[22:23], v[4:5], v[18:19], v[20:21]
	v_fma_f64 v[20:21], -v[6:7], v[18:19], v[16:17]
.LBB43_42:                              ;   in Loop: Header=BB43_10 Depth=1
	s_or_b32 exec_lo, exec_lo, s2
	v_dual_mov_b32 v17, v13 :: v_dual_mov_b32 v16, v12
	v_dual_mov_b32 v19, v15 :: v_dual_mov_b32 v18, v14
	s_mov_b32 s28, 0
	s_branch .LBB43_32
.LBB43_43:                              ;   in Loop: Header=BB43_10 Depth=1
	s_and_not1_b32 vcc_lo, exec_lo, s23
	s_cbranch_vccnz .LBB43_45
; %bb.44:                               ;   in Loop: Header=BB43_10 Depth=1
	v_mul_f64 v[12:13], v[4:5], v[4:5]
	s_delay_alu instid0(VALU_DEP_1) | instskip(NEXT) | instid1(VALU_DEP_1)
	v_fma_f64 v[12:13], v[6:7], v[6:7], v[12:13]
	v_div_scale_f64 v[14:15], null, v[12:13], v[12:13], 1.0
	v_div_scale_f64 v[20:21], vcc_lo, 1.0, v[12:13], 1.0
	s_delay_alu instid0(VALU_DEP_2) | instskip(SKIP_2) | instid1(VALU_DEP_1)
	v_rcp_f64_e32 v[16:17], v[14:15]
	s_waitcnt_depctr 0xfff
	v_fma_f64 v[18:19], -v[14:15], v[16:17], 1.0
	v_fma_f64 v[16:17], v[16:17], v[18:19], v[16:17]
	s_delay_alu instid0(VALU_DEP_1) | instskip(NEXT) | instid1(VALU_DEP_1)
	v_fma_f64 v[18:19], -v[14:15], v[16:17], 1.0
	v_fma_f64 v[16:17], v[16:17], v[18:19], v[16:17]
	s_delay_alu instid0(VALU_DEP_1) | instskip(NEXT) | instid1(VALU_DEP_1)
	v_mul_f64 v[18:19], v[20:21], v[16:17]
	v_fma_f64 v[14:15], -v[14:15], v[18:19], v[20:21]
	s_delay_alu instid0(VALU_DEP_1) | instskip(SKIP_2) | instid1(VALU_DEP_3)
	v_div_fmas_f64 v[14:15], v[14:15], v[16:17], v[18:19]
	v_fma_f64 v[16:17], v[4:5], 0, v[6:7]
	v_fma_f64 v[4:5], v[6:7], 0, -v[4:5]
	v_div_fixup_f64 v[12:13], v[14:15], v[12:13], 1.0
	s_delay_alu instid0(VALU_DEP_1) | instskip(NEXT) | instid1(VALU_DEP_3)
	v_mul_f64 v[14:15], v[16:17], v[12:13]
	v_mul_f64 v[12:13], v[4:5], v[12:13]
.LBB43_45:                              ;   in Loop: Header=BB43_10 Depth=1
	s_delay_alu instid0(VALU_DEP_2) | instskip(NEXT) | instid1(VALU_DEP_2)
	v_dual_mov_b32 v19, v15 :: v_dual_mov_b32 v18, v14
	v_dual_mov_b32 v17, v13 :: v_dual_mov_b32 v16, v12
	;; [unrolled: 1-line block ×4, first 2 shown]
	s_mov_b32 s28, 2
	s_delay_alu instid0(SALU_CYCLE_1)
	s_cmp_gt_i32 s28, 3
	s_mov_b32 s2, -1
	s_cbranch_scc0 .LBB43_33
.LBB43_46:                              ;   in Loop: Header=BB43_10 Depth=1
	s_branch .LBB43_8
.LBB43_47:                              ;   in Loop: Header=BB43_10 Depth=1
                                        ; implicit-def: $sgpr25
	s_branch .LBB43_9
.LBB43_48:
                                        ; implicit-def: $vgpr2_vgpr3
	s_load_b64 s[18:19], s[2:3], 0x48
.LBB43_49:
	v_mov_b32_e32 v2, 0
	v_mov_b32_e32 v3, 0
	s_delay_alu instid0(VALU_DEP_1)
	v_dual_mov_b32 v0, v2 :: v_dual_mov_b32 v1, v3
	s_and_saveexec_b32 s1, s0
	s_cbranch_execz .LBB43_51
; %bb.50:
	v_lshlrev_b64 v[0:1], 4, v[8:9]
	s_delay_alu instid0(VALU_DEP_1) | instskip(NEXT) | instid1(VALU_DEP_2)
	v_add_co_u32 v0, vcc_lo, s12, v0
	v_add_co_ci_u32_e32 v1, vcc_lo, s13, v1, vcc_lo
	global_load_b128 v[12:15], v[0:1], off
	s_waitcnt vmcnt(0)
	v_mul_f64 v[0:1], v[6:7], v[14:15]
	v_mul_f64 v[2:3], v[4:5], -v[14:15]
	s_delay_alu instid0(VALU_DEP_2) | instskip(NEXT) | instid1(VALU_DEP_2)
	v_fma_f64 v[0:1], v[4:5], v[12:13], v[0:1]
	v_fma_f64 v[2:3], v[6:7], v[12:13], v[2:3]
.LBB43_51:
	s_or_b32 exec_lo, exec_lo, s1
	v_cmp_eq_u32_e64 s1, 0, v24
	s_waitcnt lgkmcnt(0)
	s_cmp_ge_i32 s22, s23
	s_cbranch_scc0 .LBB43_7
.LBB43_52:
	v_mov_b32_e32 v16, 0
	v_dual_mov_b32 v17, 0 :: v_dual_mov_b32 v18, 0
	v_mov_b32_e32 v19, 0x3ff00000
	s_cmp_lg_u32 s6, 0
	s_cbranch_scc1 .LBB43_55
	s_branch .LBB43_54
.LBB43_53:
	v_dual_mov_b32 v2, v20 :: v_dual_mov_b32 v3, v21
	v_dual_mov_b32 v0, v22 :: v_dual_mov_b32 v1, v23
	s_cmp_lg_u32 s6, 0
	s_cbranch_scc1 .LBB43_55
.LBB43_54:
	s_waitcnt vmcnt(0)
	v_mul_f64 v[4:5], v[16:17], -v[2:3]
	v_mul_f64 v[6:7], v[16:17], v[0:1]
	s_delay_alu instid0(VALU_DEP_2) | instskip(NEXT) | instid1(VALU_DEP_2)
	v_fma_f64 v[0:1], v[0:1], v[18:19], v[4:5]
	v_fma_f64 v[2:3], v[2:3], v[18:19], v[6:7]
.LBB43_55:
	s_and_saveexec_b32 s1, s0
	s_cbranch_execz .LBB43_57
; %bb.56:
	s_waitcnt vmcnt(0)
	v_lshlrev_b64 v[4:5], 4, v[8:9]
	s_delay_alu instid0(VALU_DEP_1) | instskip(NEXT) | instid1(VALU_DEP_2)
	v_add_co_u32 v4, vcc_lo, s12, v4
	v_add_co_ci_u32_e32 v5, vcc_lo, s13, v5, vcc_lo
	global_store_b128 v[4:5], v[0:3], off
.LBB43_57:
	s_or_b32 exec_lo, exec_lo, s1
	s_waitcnt vmcnt(0)
	s_waitcnt_vscnt null, 0x0
	buffer_gl1_inv
	buffer_gl0_inv
	s_barrier
	buffer_gl0_inv
	s_mov_b32 s0, exec_lo
	v_cmpx_eq_u32_e32 0, v24
	s_cbranch_execz .LBB43_59
; %bb.58:
	s_add_i32 s0, s14, s7
	v_dual_mov_b32 v0, 0 :: v_dual_mov_b32 v1, 1
	s_ashr_i32 s1, s0, 31
	s_delay_alu instid0(SALU_CYCLE_1) | instskip(NEXT) | instid1(SALU_CYCLE_1)
	s_lshl_b64 s[0:1], s[0:1], 2
	s_add_u32 s0, s18, s0
	s_addc_u32 s1, s19, s1
	global_store_b32 v0, v1, s[0:1]
.LBB43_59:
	s_nop 0
	s_sendmsg sendmsg(MSG_DEALLOC_VGPRS)
	s_endpgm
	.section	.rodata,"a",@progbits
	.p2align	6, 0x0
	.amdhsa_kernel _ZN9rocsparseL5csrsmILj1024ELj64ELb0Eii21rocsparse_complex_numIdEEEv20rocsparse_operation_T3_S4_NS_24const_host_device_scalarIT4_EEPKT2_PKS4_PKS6_PS6_lPiSC_PS4_21rocsparse_index_base_20rocsparse_fill_mode_20rocsparse_diag_type_b
		.amdhsa_group_segment_fixed_size 28672
		.amdhsa_private_segment_fixed_size 0
		.amdhsa_kernarg_size 112
		.amdhsa_user_sgpr_count 15
		.amdhsa_user_sgpr_dispatch_ptr 1
		.amdhsa_user_sgpr_queue_ptr 0
		.amdhsa_user_sgpr_kernarg_segment_ptr 1
		.amdhsa_user_sgpr_dispatch_id 0
		.amdhsa_user_sgpr_private_segment_size 0
		.amdhsa_wavefront_size32 1
		.amdhsa_uses_dynamic_stack 0
		.amdhsa_enable_private_segment 0
		.amdhsa_system_sgpr_workgroup_id_x 1
		.amdhsa_system_sgpr_workgroup_id_y 0
		.amdhsa_system_sgpr_workgroup_id_z 0
		.amdhsa_system_sgpr_workgroup_info 0
		.amdhsa_system_vgpr_workitem_id 2
		.amdhsa_next_free_vgpr 31
		.amdhsa_next_free_sgpr 29
		.amdhsa_reserve_vcc 1
		.amdhsa_float_round_mode_32 0
		.amdhsa_float_round_mode_16_64 0
		.amdhsa_float_denorm_mode_32 3
		.amdhsa_float_denorm_mode_16_64 3
		.amdhsa_dx10_clamp 1
		.amdhsa_ieee_mode 1
		.amdhsa_fp16_overflow 0
		.amdhsa_workgroup_processor_mode 1
		.amdhsa_memory_ordered 1
		.amdhsa_forward_progress 0
		.amdhsa_shared_vgpr_count 0
		.amdhsa_exception_fp_ieee_invalid_op 0
		.amdhsa_exception_fp_denorm_src 0
		.amdhsa_exception_fp_ieee_div_zero 0
		.amdhsa_exception_fp_ieee_overflow 0
		.amdhsa_exception_fp_ieee_underflow 0
		.amdhsa_exception_fp_ieee_inexact 0
		.amdhsa_exception_int_div_zero 0
	.end_amdhsa_kernel
	.section	.text._ZN9rocsparseL5csrsmILj1024ELj64ELb0Eii21rocsparse_complex_numIdEEEv20rocsparse_operation_T3_S4_NS_24const_host_device_scalarIT4_EEPKT2_PKS4_PKS6_PS6_lPiSC_PS4_21rocsparse_index_base_20rocsparse_fill_mode_20rocsparse_diag_type_b,"axG",@progbits,_ZN9rocsparseL5csrsmILj1024ELj64ELb0Eii21rocsparse_complex_numIdEEEv20rocsparse_operation_T3_S4_NS_24const_host_device_scalarIT4_EEPKT2_PKS4_PKS6_PS6_lPiSC_PS4_21rocsparse_index_base_20rocsparse_fill_mode_20rocsparse_diag_type_b,comdat
.Lfunc_end43:
	.size	_ZN9rocsparseL5csrsmILj1024ELj64ELb0Eii21rocsparse_complex_numIdEEEv20rocsparse_operation_T3_S4_NS_24const_host_device_scalarIT4_EEPKT2_PKS4_PKS6_PS6_lPiSC_PS4_21rocsparse_index_base_20rocsparse_fill_mode_20rocsparse_diag_type_b, .Lfunc_end43-_ZN9rocsparseL5csrsmILj1024ELj64ELb0Eii21rocsparse_complex_numIdEEEv20rocsparse_operation_T3_S4_NS_24const_host_device_scalarIT4_EEPKT2_PKS4_PKS6_PS6_lPiSC_PS4_21rocsparse_index_base_20rocsparse_fill_mode_20rocsparse_diag_type_b
                                        ; -- End function
	.section	.AMDGPU.csdata,"",@progbits
; Kernel info:
; codeLenInByte = 2484
; NumSgprs: 31
; NumVgprs: 31
; ScratchSize: 0
; MemoryBound: 0
; FloatMode: 240
; IeeeMode: 1
; LDSByteSize: 28672 bytes/workgroup (compile time only)
; SGPRBlocks: 3
; VGPRBlocks: 3
; NumSGPRsForWavesPerEU: 31
; NumVGPRsForWavesPerEU: 31
; Occupancy: 16
; WaveLimiterHint : 1
; COMPUTE_PGM_RSRC2:SCRATCH_EN: 0
; COMPUTE_PGM_RSRC2:USER_SGPR: 15
; COMPUTE_PGM_RSRC2:TRAP_HANDLER: 0
; COMPUTE_PGM_RSRC2:TGID_X_EN: 1
; COMPUTE_PGM_RSRC2:TGID_Y_EN: 0
; COMPUTE_PGM_RSRC2:TGID_Z_EN: 0
; COMPUTE_PGM_RSRC2:TIDIG_COMP_CNT: 2
	.section	.text._ZN9rocsparseL5csrsmILj64ELj64ELb1ElifEEv20rocsparse_operation_T3_S2_NS_24const_host_device_scalarIT4_EEPKT2_PKS2_PKS4_PS4_lPiSA_PS2_21rocsparse_index_base_20rocsparse_fill_mode_20rocsparse_diag_type_b,"axG",@progbits,_ZN9rocsparseL5csrsmILj64ELj64ELb1ElifEEv20rocsparse_operation_T3_S2_NS_24const_host_device_scalarIT4_EEPKT2_PKS2_PKS4_PS4_lPiSA_PS2_21rocsparse_index_base_20rocsparse_fill_mode_20rocsparse_diag_type_b,comdat
	.globl	_ZN9rocsparseL5csrsmILj64ELj64ELb1ElifEEv20rocsparse_operation_T3_S2_NS_24const_host_device_scalarIT4_EEPKT2_PKS2_PKS4_PS4_lPiSA_PS2_21rocsparse_index_base_20rocsparse_fill_mode_20rocsparse_diag_type_b ; -- Begin function _ZN9rocsparseL5csrsmILj64ELj64ELb1ElifEEv20rocsparse_operation_T3_S2_NS_24const_host_device_scalarIT4_EEPKT2_PKS2_PKS4_PS4_lPiSA_PS2_21rocsparse_index_base_20rocsparse_fill_mode_20rocsparse_diag_type_b
	.p2align	8
	.type	_ZN9rocsparseL5csrsmILj64ELj64ELb1ElifEEv20rocsparse_operation_T3_S2_NS_24const_host_device_scalarIT4_EEPKT2_PKS2_PKS4_PS4_lPiSA_PS2_21rocsparse_index_base_20rocsparse_fill_mode_20rocsparse_diag_type_b,@function
_ZN9rocsparseL5csrsmILj64ELj64ELb1ElifEEv20rocsparse_operation_T3_S2_NS_24const_host_device_scalarIT4_EEPKT2_PKS2_PKS4_PS4_lPiSA_PS2_21rocsparse_index_base_20rocsparse_fill_mode_20rocsparse_diag_type_b: ; @_ZN9rocsparseL5csrsmILj64ELj64ELb1ElifEEv20rocsparse_operation_T3_S2_NS_24const_host_device_scalarIT4_EEPKT2_PKS2_PKS4_PS4_lPiSA_PS2_21rocsparse_index_base_20rocsparse_fill_mode_20rocsparse_diag_type_b
; %bb.0:
	s_clause 0x3
	s_load_b128 s[4:7], s[0:1], 0x58
	s_load_b64 s[2:3], s[0:1], 0x48
	s_load_b128 s[16:19], s[0:1], 0x10
	s_load_b64 s[22:23], s[0:1], 0x30
	s_waitcnt lgkmcnt(0)
	s_bitcmp1_b32 s7, 0
	s_cselect_b32 s7, -1, 0
	s_delay_alu instid0(SALU_CYCLE_1)
	s_and_b32 vcc_lo, exec_lo, s7
	s_cbranch_vccnz .LBB44_2
; %bb.1:
	s_load_b32 s16, s[16:17], 0x0
.LBB44_2:
	s_load_b64 s[24:25], s[0:1], 0x4
	v_mov_b32_e32 v5, 0
	s_waitcnt lgkmcnt(0)
	v_cvt_f32_u32_e32 v1, s24
	s_sub_i32 s8, 0, s24
	s_delay_alu instid0(VALU_DEP_1) | instskip(SKIP_2) | instid1(VALU_DEP_1)
	v_rcp_iflag_f32_e32 v1, v1
	s_waitcnt_depctr 0xfff
	v_mul_f32_e32 v1, 0x4f7ffffe, v1
	v_cvt_u32_f32_e32 v1, v1
	s_delay_alu instid0(VALU_DEP_1) | instskip(NEXT) | instid1(VALU_DEP_1)
	v_readfirstlane_b32 s7, v1
	s_mul_i32 s8, s8, s7
	s_delay_alu instid0(SALU_CYCLE_1) | instskip(NEXT) | instid1(SALU_CYCLE_1)
	s_mul_hi_u32 s8, s7, s8
	s_add_i32 s7, s7, s8
	s_delay_alu instid0(SALU_CYCLE_1) | instskip(NEXT) | instid1(SALU_CYCLE_1)
	s_mul_hi_u32 s7, s15, s7
	s_mul_i32 s8, s7, s24
	s_add_i32 s9, s7, 1
	s_sub_i32 s8, s15, s8
	s_delay_alu instid0(SALU_CYCLE_1)
	s_sub_i32 s10, s8, s24
	s_cmp_ge_u32 s8, s24
	s_cselect_b32 s7, s9, s7
	s_cselect_b32 s8, s10, s8
	s_add_i32 s9, s7, 1
	s_cmp_ge_u32 s8, s24
	s_cselect_b32 s17, s9, s7
	s_delay_alu instid0(SALU_CYCLE_1) | instskip(SKIP_2) | instid1(SALU_CYCLE_1)
	s_mul_i32 s7, s17, s24
	v_lshl_or_b32 v1, s17, 6, v0
	s_sub_i32 s8, s15, s7
	s_ashr_i32 s9, s8, 31
	s_delay_alu instid0(VALU_DEP_1) | instskip(SKIP_1) | instid1(SALU_CYCLE_1)
	v_ashrrev_i32_e32 v2, 31, v1
	s_lshl_b64 s[8:9], s[8:9], 2
	s_add_u32 s2, s2, s8
	s_addc_u32 s3, s3, s9
	s_load_b32 s20, s[2:3], 0x0
	s_load_b128 s[8:11], s[0:1], 0x38
	s_waitcnt lgkmcnt(0)
	s_ashr_i32 s21, s20, 31
	s_delay_alu instid0(SALU_CYCLE_1)
	s_lshl_b64 s[2:3], s[20:21], 3
	s_mul_i32 s17, s21, s8
	s_add_u32 s2, s18, s2
	s_addc_u32 s3, s19, s3
	s_mul_i32 s18, s20, s8
	s_load_b128 s[12:15], s[2:3], 0x0
	s_mul_i32 s2, s20, s9
	s_mul_hi_u32 s3, s20, s8
	s_delay_alu instid0(SALU_CYCLE_1) | instskip(SKIP_2) | instid1(VALU_DEP_1)
	s_add_i32 s3, s3, s2
	v_cmp_gt_i32_e64 s2, s25, v1
	s_add_i32 s19, s3, s17
	s_and_saveexec_b32 s3, s2
	s_cbranch_execz .LBB44_4
; %bb.3:
	v_add_co_u32 v3, vcc_lo, s18, v1
	v_add_co_ci_u32_e32 v4, vcc_lo, s19, v2, vcc_lo
	s_delay_alu instid0(VALU_DEP_1) | instskip(NEXT) | instid1(VALU_DEP_1)
	v_lshlrev_b64 v[3:4], 2, v[3:4]
	v_add_co_u32 v3, vcc_lo, s22, v3
	s_delay_alu instid0(VALU_DEP_2)
	v_add_co_ci_u32_e32 v4, vcc_lo, s23, v4, vcc_lo
	global_load_b32 v3, v[3:4], off
	s_waitcnt vmcnt(0)
	v_mul_f32_e32 v5, s16, v3
.LBB44_4:
	s_or_b32 exec_lo, exec_lo, s3
	v_lshlrev_b64 v[2:3], 2, v[1:2]
	s_waitcnt lgkmcnt(0)
	v_cmp_ge_i64_e64 s3, s[12:13], s[14:15]
	v_mov_b32_e32 v13, 1.0
	s_delay_alu instid0(VALU_DEP_3) | instskip(NEXT) | instid1(VALU_DEP_4)
	v_add_co_u32 v2, vcc_lo, s22, v2
	v_add_co_ci_u32_e32 v3, vcc_lo, s23, v3, vcc_lo
	s_delay_alu instid0(VALU_DEP_4)
	s_and_b32 vcc_lo, exec_lo, s3
	v_cmp_eq_u32_e64 s3, 0, v0
	s_cbranch_vccnz .LBB44_45
; %bb.5:
	s_clause 0x1
	s_load_b128 s[28:31], s[0:1], 0x20
	s_load_b64 s[16:17], s[0:1], 0x50
	v_dual_mov_b32 v1, 0 :: v_dual_lshlrev_b32 v4, 2, v0
	s_sub_u32 s12, s12, s4
	s_subb_u32 s13, s13, 0
	s_sub_u32 s14, s14, s4
	s_subb_u32 s15, s15, 0
	s_cmp_lg_u32 s6, 0
	v_cmp_ne_u32_e64 s0, 0, v0
	v_or_b32_e32 v6, 0x100, v4
	s_cselect_b32 s21, -1, 0
	s_add_i32 s26, s20, s4
	v_mov_b32_e32 v11, 1.0
	s_cmp_eq_u32 s6, 0
	s_mov_b64 s[22:23], s[12:13]
	s_waitcnt lgkmcnt(0)
	v_add_co_u32 v7, s1, s28, v4
	s_delay_alu instid0(VALU_DEP_1) | instskip(SKIP_1) | instid1(VALU_DEP_1)
	v_add_co_ci_u32_e64 v8, null, s29, 0, s1
	v_add_co_u32 v9, s1, s30, v4
	v_add_co_ci_u32_e64 v10, null, s31, 0, s1
	s_cselect_b32 s1, -1, 0
	s_branch .LBB44_7
.LBB44_6:                               ;   in Loop: Header=BB44_7 Depth=1
	s_add_u32 s22, s22, 1
	s_addc_u32 s23, s23, 0
	s_delay_alu instid0(SALU_CYCLE_1) | instskip(SKIP_2) | instid1(VALU_DEP_3)
	v_cmp_ge_i64_e64 s13, s[22:23], s[14:15]
	v_mov_b32_e32 v5, v14
	v_mov_b32_e32 v11, v13
	s_and_not1_b32 vcc_lo, exec_lo, s13
	s_cbranch_vccz .LBB44_46
.LBB44_7:                               ; =>This Loop Header: Depth=1
                                        ;     Child Loop BB44_43 Depth 2
                                        ;       Child Loop BB44_44 Depth 3
	s_sub_i32 s13, s22, s12
	s_delay_alu instid0(SALU_CYCLE_1) | instskip(NEXT) | instid1(SALU_CYCLE_1)
	s_and_b32 s13, s13, 63
	s_cmp_lg_u32 s13, 0
	s_cbranch_scc1 .LBB44_11
; %bb.8:                                ;   in Loop: Header=BB44_7 Depth=1
	s_sub_u32 s24, s14, s22
	s_subb_u32 s25, s15, s23
	v_dual_mov_b32 v13, -1 :: v_dual_mov_b32 v12, -1.0
	v_cmp_gt_i64_e32 vcc_lo, s[24:25], v[0:1]
	s_and_saveexec_b32 s24, vcc_lo
	s_cbranch_execz .LBB44_10
; %bb.9:                                ;   in Loop: Header=BB44_7 Depth=1
	s_lshl_b64 s[28:29], s[22:23], 2
	s_delay_alu instid0(SALU_CYCLE_1)
	v_add_co_u32 v12, vcc_lo, v7, s28
	v_add_co_ci_u32_e32 v13, vcc_lo, s29, v8, vcc_lo
	global_load_b32 v14, v[12:13], off
	v_add_co_u32 v12, vcc_lo, v9, s28
	v_add_co_ci_u32_e32 v13, vcc_lo, s29, v10, vcc_lo
	global_load_b32 v12, v[12:13], off
	s_waitcnt vmcnt(1)
	v_subrev_nc_u32_e32 v13, s4, v14
.LBB44_10:                              ;   in Loop: Header=BB44_7 Depth=1
	s_or_b32 exec_lo, exec_lo, s24
	ds_store_b32 v4, v13
	s_waitcnt vmcnt(0)
	ds_store_b32 v6, v12
.LBB44_11:                              ;   in Loop: Header=BB44_7 Depth=1
	s_lshl_b32 s13, s13, 2
	s_waitcnt lgkmcnt(0)
	v_mov_b32_e32 v12, s13
	s_waitcnt_vscnt null, 0x0
	s_barrier
	buffer_gl0_inv
	ds_load_2addr_stride64_b32 v[12:13], v12 offset1:1
	s_waitcnt lgkmcnt(0)
	v_readfirstlane_b32 s13, v12
	v_cmp_neq_f32_e32 vcc_lo, 0, v13
	s_delay_alu instid0(VALU_DEP_2) | instskip(SKIP_1) | instid1(SALU_CYCLE_1)
	s_cmp_lg_u32 s13, s20
	s_cselect_b32 s24, -1, 0
	s_or_b32 s24, s21, s24
	s_delay_alu instid0(SALU_CYCLE_1) | instskip(SKIP_2) | instid1(SALU_CYCLE_1)
	s_or_b32 vcc_lo, vcc_lo, s24
	v_cndmask_b32_e32 v12, 1.0, v13, vcc_lo
	s_or_b32 s24, s0, vcc_lo
	s_xor_b32 s25, s24, -1
	s_delay_alu instid0(SALU_CYCLE_1)
	s_and_saveexec_b32 s24, s25
	s_cbranch_execz .LBB44_15
; %bb.12:                               ;   in Loop: Header=BB44_7 Depth=1
	v_mbcnt_lo_u32_b32 v12, exec_lo, 0
	s_mov_b32 s25, exec_lo
	s_delay_alu instid0(VALU_DEP_1)
	v_cmpx_eq_u32_e32 0, v12
	s_cbranch_execz .LBB44_14
; %bb.13:                               ;   in Loop: Header=BB44_7 Depth=1
	v_mov_b32_e32 v12, s26
	global_atomic_min_i32 v1, v12, s[16:17]
.LBB44_14:                              ;   in Loop: Header=BB44_7 Depth=1
	s_or_b32 exec_lo, exec_lo, s25
	v_mov_b32_e32 v12, 1.0
.LBB44_15:                              ;   in Loop: Header=BB44_7 Depth=1
	s_or_b32 exec_lo, exec_lo, s24
	s_cmp_lt_i32 s5, 1
	s_mov_b32 s24, 0
	s_cbranch_scc1 .LBB44_20
; %bb.16:                               ;   in Loop: Header=BB44_7 Depth=1
	s_cmp_eq_u32 s5, 1
	s_cbranch_scc0 .LBB44_21
; %bb.17:                               ;   in Loop: Header=BB44_7 Depth=1
	v_mov_b32_e32 v13, v11
	s_cmp_ge_i32 s13, s20
	s_mov_b32 s25, 0
	s_cbranch_scc0 .LBB44_23
; %bb.18:                               ;   in Loop: Header=BB44_7 Depth=1
	s_cmp_eq_u32 s13, s20
	s_cbranch_scc0 .LBB44_22
; %bb.19:                               ;   in Loop: Header=BB44_7 Depth=1
	v_div_scale_f32 v13, null, v12, v12, 1.0
	s_delay_alu instid0(VALU_DEP_1) | instskip(SKIP_2) | instid1(VALU_DEP_1)
	v_rcp_f32_e32 v14, v13
	s_waitcnt_depctr 0xfff
	v_fma_f32 v15, -v13, v14, 1.0
	v_fmac_f32_e32 v14, v15, v14
	v_div_scale_f32 v15, vcc_lo, 1.0, v12, 1.0
	s_delay_alu instid0(VALU_DEP_1) | instskip(NEXT) | instid1(VALU_DEP_1)
	v_mul_f32_e32 v16, v15, v14
	v_fma_f32 v17, -v13, v16, v15
	s_delay_alu instid0(VALU_DEP_1) | instskip(NEXT) | instid1(VALU_DEP_1)
	v_fmac_f32_e32 v16, v17, v14
	v_fma_f32 v13, -v13, v16, v15
	s_delay_alu instid0(VALU_DEP_1) | instskip(NEXT) | instid1(VALU_DEP_1)
	v_div_fmas_f32 v13, v13, v14, v16
	v_div_fixup_f32 v13, v13, v12, 1.0
	s_delay_alu instid0(VALU_DEP_1)
	v_cndmask_b32_e64 v13, v11, v13, s1
	s_branch .LBB44_23
.LBB44_20:                              ;   in Loop: Header=BB44_7 Depth=1
	s_mov_b32 s25, 0
                                        ; implicit-def: $vgpr14
                                        ; implicit-def: $vgpr13
                                        ; implicit-def: $sgpr27
	s_cbranch_execnz .LBB44_24
	s_branch .LBB44_26
.LBB44_21:                              ;   in Loop: Header=BB44_7 Depth=1
	s_mov_b32 s25, -1
                                        ; implicit-def: $vgpr14
                                        ; implicit-def: $vgpr13
                                        ; implicit-def: $sgpr27
	s_branch .LBB44_26
.LBB44_22:                              ;   in Loop: Header=BB44_7 Depth=1
	s_mov_b32 s25, -1
                                        ; implicit-def: $vgpr13
.LBB44_23:                              ;   in Loop: Header=BB44_7 Depth=1
	v_mov_b32_e32 v14, v5
	s_mov_b32 s27, 4
	s_branch .LBB44_26
.LBB44_24:                              ;   in Loop: Header=BB44_7 Depth=1
	s_cmp_eq_u32 s5, 0
	s_cbranch_scc1 .LBB44_30
; %bb.25:                               ;   in Loop: Header=BB44_7 Depth=1
	s_mov_b32 s25, -1
                                        ; implicit-def: $vgpr14
                                        ; implicit-def: $vgpr13
                                        ; implicit-def: $sgpr27
.LBB44_26:                              ;   in Loop: Header=BB44_7 Depth=1
	s_delay_alu instid0(SALU_CYCLE_1)
	s_and_b32 vcc_lo, exec_lo, s25
	s_cbranch_vccnz .LBB44_33
.LBB44_27:                              ;   in Loop: Header=BB44_7 Depth=1
	s_and_b32 vcc_lo, exec_lo, s24
	s_cbranch_vccnz .LBB44_38
.LBB44_28:                              ;   in Loop: Header=BB44_7 Depth=1
	s_cmp_gt_i32 s27, 3
	s_mov_b32 s13, -1
	s_cbranch_scc1 .LBB44_39
.LBB44_29:                              ;   in Loop: Header=BB44_7 Depth=1
	s_cmp_eq_u32 s27, 0
	s_cselect_b32 s24, -1, 0
	s_delay_alu instid0(SALU_CYCLE_1)
	s_and_not1_b32 vcc_lo, exec_lo, s24
	s_cbranch_vccz .LBB44_6
	s_branch .LBB44_40
.LBB44_30:                              ;   in Loop: Header=BB44_7 Depth=1
	s_cmp_le_i32 s13, s20
	s_mov_b32 s25, 0
	s_cbranch_scc0 .LBB44_32
; %bb.31:                               ;   in Loop: Header=BB44_7 Depth=1
	s_cmp_lg_u32 s13, s20
	s_mov_b32 s24, -1
	s_cselect_b32 s25, -1, 0
.LBB44_32:                              ;   in Loop: Header=BB44_7 Depth=1
	v_dual_mov_b32 v14, v5 :: v_dual_mov_b32 v13, v11
	s_mov_b32 s27, 2
	s_and_b32 vcc_lo, exec_lo, s25
	s_cbranch_vccz .LBB44_27
.LBB44_33:                              ;   in Loop: Header=BB44_7 Depth=1
	s_and_saveexec_b32 s27, s3
	s_cbranch_execz .LBB44_35
; %bb.34:                               ;   in Loop: Header=BB44_7 Depth=1
	s_add_i32 s24, s13, s7
	s_delay_alu instid0(SALU_CYCLE_1) | instskip(NEXT) | instid1(SALU_CYCLE_1)
	s_ashr_i32 s25, s24, 31
	s_lshl_b64 s[24:25], s[24:25], 2
	s_delay_alu instid0(SALU_CYCLE_1)
	s_add_u32 s24, s10, s24
	s_addc_u32 s25, s11, s25
	global_load_b32 v13, v1, s[24:25] glc
	s_waitcnt vmcnt(0)
	v_cmp_ne_u32_e32 vcc_lo, 0, v13
	s_cbranch_vccz .LBB44_41
.LBB44_35:                              ;   in Loop: Header=BB44_7 Depth=1
	s_or_b32 exec_lo, exec_lo, s27
	v_mov_b32_e32 v14, 0
	s_waitcnt_vscnt null, 0x0
	s_barrier
	buffer_gl0_inv
	buffer_gl1_inv
	buffer_gl0_inv
	s_and_saveexec_b32 s24, s2
	s_cbranch_execz .LBB44_37
; %bb.36:                               ;   in Loop: Header=BB44_7 Depth=1
	s_mul_i32 s25, s13, s9
	s_mul_hi_u32 s27, s13, s8
	s_ashr_i32 s28, s13, 31
	s_add_i32 s25, s27, s25
	s_mul_i32 s28, s28, s8
	s_delay_alu instid0(SALU_CYCLE_1) | instskip(SKIP_1) | instid1(SALU_CYCLE_1)
	s_add_i32 s29, s25, s28
	s_mul_i32 s28, s13, s8
	s_lshl_b64 s[28:29], s[28:29], 2
	s_delay_alu instid0(SALU_CYCLE_1)
	v_add_co_u32 v13, vcc_lo, v2, s28
	v_add_co_ci_u32_e32 v14, vcc_lo, s29, v3, vcc_lo
	global_load_b32 v13, v[13:14], off
	s_waitcnt vmcnt(0)
	v_fma_f32 v14, -v12, v13, v5
.LBB44_37:                              ;   in Loop: Header=BB44_7 Depth=1
	s_or_b32 exec_lo, exec_lo, s24
	v_mov_b32_e32 v13, v11
	s_mov_b32 s27, 0
	s_branch .LBB44_28
.LBB44_38:                              ;   in Loop: Header=BB44_7 Depth=1
	v_div_scale_f32 v13, null, v12, v12, 1.0
	v_div_scale_f32 v16, vcc_lo, 1.0, v12, 1.0
	s_mov_b32 s27, 2
	s_delay_alu instid0(VALU_DEP_2) | instskip(SKIP_2) | instid1(VALU_DEP_1)
	v_rcp_f32_e32 v14, v13
	s_waitcnt_depctr 0xfff
	v_fma_f32 v15, -v13, v14, 1.0
	v_fmac_f32_e32 v14, v15, v14
	s_delay_alu instid0(VALU_DEP_1) | instskip(NEXT) | instid1(VALU_DEP_1)
	v_mul_f32_e32 v15, v16, v14
	v_fma_f32 v17, -v13, v15, v16
	s_delay_alu instid0(VALU_DEP_1) | instskip(NEXT) | instid1(VALU_DEP_1)
	v_fmac_f32_e32 v15, v17, v14
	v_fma_f32 v13, -v13, v15, v16
	s_delay_alu instid0(VALU_DEP_1) | instskip(SKIP_1) | instid1(VALU_DEP_2)
	v_div_fmas_f32 v13, v13, v14, v15
	v_mov_b32_e32 v14, v5
	v_div_fixup_f32 v12, v13, v12, 1.0
	s_delay_alu instid0(VALU_DEP_1)
	v_cndmask_b32_e64 v13, v11, v12, s1
	s_cmp_gt_i32 s27, 3
	s_mov_b32 s13, -1
	s_cbranch_scc0 .LBB44_29
.LBB44_39:                              ;   in Loop: Header=BB44_7 Depth=1
	s_branch .LBB44_6
.LBB44_40:                              ;   in Loop: Header=BB44_7 Depth=1
                                        ; implicit-def: $sgpr22_sgpr23
	v_mov_b32_e32 v5, v14
	v_mov_b32_e32 v11, v13
	s_and_not1_b32 vcc_lo, exec_lo, s13
	s_cbranch_vccnz .LBB44_7
	s_branch .LBB44_46
.LBB44_41:                              ;   in Loop: Header=BB44_7 Depth=1
	s_mov_b32 s28, 0
	s_branch .LBB44_43
	.p2align	6
.LBB44_42:                              ;   in Loop: Header=BB44_43 Depth=2
	global_load_b32 v13, v1, s[24:25] glc
	s_cmpk_lt_u32 s28, 0xf43
	s_cselect_b32 s29, -1, 0
	s_delay_alu instid0(SALU_CYCLE_1)
	s_cmp_lg_u32 s29, 0
	s_addc_u32 s28, s28, 0
	s_waitcnt vmcnt(0)
	v_cmp_ne_u32_e32 vcc_lo, 0, v13
	s_cbranch_vccnz .LBB44_35
.LBB44_43:                              ;   Parent Loop BB44_7 Depth=1
                                        ; =>  This Loop Header: Depth=2
                                        ;       Child Loop BB44_44 Depth 3
	s_cmp_eq_u32 s28, 0
	s_mov_b32 s29, s28
	s_cbranch_scc1 .LBB44_42
.LBB44_44:                              ;   Parent Loop BB44_7 Depth=1
                                        ;     Parent Loop BB44_43 Depth=2
                                        ; =>    This Inner Loop Header: Depth=3
	s_add_i32 s29, s29, -1
	s_sleep 1
	s_cmp_eq_u32 s29, 0
	s_cbranch_scc0 .LBB44_44
	s_branch .LBB44_42
.LBB44_45:
	v_mov_b32_e32 v14, v5
.LBB44_46:
	s_and_saveexec_b32 s0, s2
	s_cbranch_execz .LBB44_48
; %bb.47:
	s_delay_alu instid0(VALU_DEP_1) | instskip(SKIP_3) | instid1(VALU_DEP_1)
	v_mul_f32_e32 v1, v13, v14
	s_cmp_eq_u32 s6, 0
	s_cselect_b32 vcc_lo, -1, 0
	s_lshl_b64 s[2:3], s[18:19], 2
	v_cndmask_b32_e32 v4, v14, v1, vcc_lo
	v_add_co_u32 v1, vcc_lo, v2, s2
	v_add_co_ci_u32_e32 v2, vcc_lo, s3, v3, vcc_lo
	global_store_b32 v[1:2], v4, off
.LBB44_48:
	s_or_b32 exec_lo, exec_lo, s0
	s_waitcnt_vscnt null, 0x0
	buffer_gl1_inv
	buffer_gl0_inv
	s_barrier
	buffer_gl0_inv
	s_mov_b32 s0, exec_lo
	v_cmpx_eq_u32_e32 0, v0
	s_cbranch_execz .LBB44_50
; %bb.49:
	s_add_i32 s0, s20, s7
	v_dual_mov_b32 v0, 0 :: v_dual_mov_b32 v1, 1
	s_ashr_i32 s1, s0, 31
	s_delay_alu instid0(SALU_CYCLE_1) | instskip(NEXT) | instid1(SALU_CYCLE_1)
	s_lshl_b64 s[0:1], s[0:1], 2
	s_add_u32 s0, s10, s0
	s_addc_u32 s1, s11, s1
	global_store_b32 v0, v1, s[0:1]
.LBB44_50:
	s_nop 0
	s_sendmsg sendmsg(MSG_DEALLOC_VGPRS)
	s_endpgm
	.section	.rodata,"a",@progbits
	.p2align	6, 0x0
	.amdhsa_kernel _ZN9rocsparseL5csrsmILj64ELj64ELb1ElifEEv20rocsparse_operation_T3_S2_NS_24const_host_device_scalarIT4_EEPKT2_PKS2_PKS4_PS4_lPiSA_PS2_21rocsparse_index_base_20rocsparse_fill_mode_20rocsparse_diag_type_b
		.amdhsa_group_segment_fixed_size 512
		.amdhsa_private_segment_fixed_size 0
		.amdhsa_kernarg_size 104
		.amdhsa_user_sgpr_count 15
		.amdhsa_user_sgpr_dispatch_ptr 0
		.amdhsa_user_sgpr_queue_ptr 0
		.amdhsa_user_sgpr_kernarg_segment_ptr 1
		.amdhsa_user_sgpr_dispatch_id 0
		.amdhsa_user_sgpr_private_segment_size 0
		.amdhsa_wavefront_size32 1
		.amdhsa_uses_dynamic_stack 0
		.amdhsa_enable_private_segment 0
		.amdhsa_system_sgpr_workgroup_id_x 1
		.amdhsa_system_sgpr_workgroup_id_y 0
		.amdhsa_system_sgpr_workgroup_id_z 0
		.amdhsa_system_sgpr_workgroup_info 0
		.amdhsa_system_vgpr_workitem_id 0
		.amdhsa_next_free_vgpr 18
		.amdhsa_next_free_sgpr 32
		.amdhsa_reserve_vcc 1
		.amdhsa_float_round_mode_32 0
		.amdhsa_float_round_mode_16_64 0
		.amdhsa_float_denorm_mode_32 3
		.amdhsa_float_denorm_mode_16_64 3
		.amdhsa_dx10_clamp 1
		.amdhsa_ieee_mode 1
		.amdhsa_fp16_overflow 0
		.amdhsa_workgroup_processor_mode 1
		.amdhsa_memory_ordered 1
		.amdhsa_forward_progress 0
		.amdhsa_shared_vgpr_count 0
		.amdhsa_exception_fp_ieee_invalid_op 0
		.amdhsa_exception_fp_denorm_src 0
		.amdhsa_exception_fp_ieee_div_zero 0
		.amdhsa_exception_fp_ieee_overflow 0
		.amdhsa_exception_fp_ieee_underflow 0
		.amdhsa_exception_fp_ieee_inexact 0
		.amdhsa_exception_int_div_zero 0
	.end_amdhsa_kernel
	.section	.text._ZN9rocsparseL5csrsmILj64ELj64ELb1ElifEEv20rocsparse_operation_T3_S2_NS_24const_host_device_scalarIT4_EEPKT2_PKS2_PKS4_PS4_lPiSA_PS2_21rocsparse_index_base_20rocsparse_fill_mode_20rocsparse_diag_type_b,"axG",@progbits,_ZN9rocsparseL5csrsmILj64ELj64ELb1ElifEEv20rocsparse_operation_T3_S2_NS_24const_host_device_scalarIT4_EEPKT2_PKS2_PKS4_PS4_lPiSA_PS2_21rocsparse_index_base_20rocsparse_fill_mode_20rocsparse_diag_type_b,comdat
.Lfunc_end44:
	.size	_ZN9rocsparseL5csrsmILj64ELj64ELb1ElifEEv20rocsparse_operation_T3_S2_NS_24const_host_device_scalarIT4_EEPKT2_PKS2_PKS4_PS4_lPiSA_PS2_21rocsparse_index_base_20rocsparse_fill_mode_20rocsparse_diag_type_b, .Lfunc_end44-_ZN9rocsparseL5csrsmILj64ELj64ELb1ElifEEv20rocsparse_operation_T3_S2_NS_24const_host_device_scalarIT4_EEPKT2_PKS2_PKS4_PS4_lPiSA_PS2_21rocsparse_index_base_20rocsparse_fill_mode_20rocsparse_diag_type_b
                                        ; -- End function
	.section	.AMDGPU.csdata,"",@progbits
; Kernel info:
; codeLenInByte = 1764
; NumSgprs: 34
; NumVgprs: 18
; ScratchSize: 0
; MemoryBound: 0
; FloatMode: 240
; IeeeMode: 1
; LDSByteSize: 512 bytes/workgroup (compile time only)
; SGPRBlocks: 4
; VGPRBlocks: 2
; NumSGPRsForWavesPerEU: 34
; NumVGPRsForWavesPerEU: 18
; Occupancy: 16
; WaveLimiterHint : 1
; COMPUTE_PGM_RSRC2:SCRATCH_EN: 0
; COMPUTE_PGM_RSRC2:USER_SGPR: 15
; COMPUTE_PGM_RSRC2:TRAP_HANDLER: 0
; COMPUTE_PGM_RSRC2:TGID_X_EN: 1
; COMPUTE_PGM_RSRC2:TGID_Y_EN: 0
; COMPUTE_PGM_RSRC2:TGID_Z_EN: 0
; COMPUTE_PGM_RSRC2:TIDIG_COMP_CNT: 0
	.section	.text._ZN9rocsparseL5csrsmILj64ELj64ELb0ElifEEv20rocsparse_operation_T3_S2_NS_24const_host_device_scalarIT4_EEPKT2_PKS2_PKS4_PS4_lPiSA_PS2_21rocsparse_index_base_20rocsparse_fill_mode_20rocsparse_diag_type_b,"axG",@progbits,_ZN9rocsparseL5csrsmILj64ELj64ELb0ElifEEv20rocsparse_operation_T3_S2_NS_24const_host_device_scalarIT4_EEPKT2_PKS2_PKS4_PS4_lPiSA_PS2_21rocsparse_index_base_20rocsparse_fill_mode_20rocsparse_diag_type_b,comdat
	.globl	_ZN9rocsparseL5csrsmILj64ELj64ELb0ElifEEv20rocsparse_operation_T3_S2_NS_24const_host_device_scalarIT4_EEPKT2_PKS2_PKS4_PS4_lPiSA_PS2_21rocsparse_index_base_20rocsparse_fill_mode_20rocsparse_diag_type_b ; -- Begin function _ZN9rocsparseL5csrsmILj64ELj64ELb0ElifEEv20rocsparse_operation_T3_S2_NS_24const_host_device_scalarIT4_EEPKT2_PKS2_PKS4_PS4_lPiSA_PS2_21rocsparse_index_base_20rocsparse_fill_mode_20rocsparse_diag_type_b
	.p2align	8
	.type	_ZN9rocsparseL5csrsmILj64ELj64ELb0ElifEEv20rocsparse_operation_T3_S2_NS_24const_host_device_scalarIT4_EEPKT2_PKS2_PKS4_PS4_lPiSA_PS2_21rocsparse_index_base_20rocsparse_fill_mode_20rocsparse_diag_type_b,@function
_ZN9rocsparseL5csrsmILj64ELj64ELb0ElifEEv20rocsparse_operation_T3_S2_NS_24const_host_device_scalarIT4_EEPKT2_PKS2_PKS4_PS4_lPiSA_PS2_21rocsparse_index_base_20rocsparse_fill_mode_20rocsparse_diag_type_b: ; @_ZN9rocsparseL5csrsmILj64ELj64ELb0ElifEEv20rocsparse_operation_T3_S2_NS_24const_host_device_scalarIT4_EEPKT2_PKS2_PKS4_PS4_lPiSA_PS2_21rocsparse_index_base_20rocsparse_fill_mode_20rocsparse_diag_type_b
; %bb.0:
	s_clause 0x3
	s_load_b128 s[4:7], s[0:1], 0x58
	s_load_b64 s[2:3], s[0:1], 0x48
	s_load_b128 s[16:19], s[0:1], 0x10
	s_load_b64 s[22:23], s[0:1], 0x30
	s_waitcnt lgkmcnt(0)
	s_bitcmp1_b32 s7, 0
	s_cselect_b32 s7, -1, 0
	s_delay_alu instid0(SALU_CYCLE_1)
	s_and_b32 vcc_lo, exec_lo, s7
	s_cbranch_vccnz .LBB45_2
; %bb.1:
	s_load_b32 s16, s[16:17], 0x0
.LBB45_2:
	s_load_b64 s[24:25], s[0:1], 0x4
	v_mov_b32_e32 v5, 0
	s_waitcnt lgkmcnt(0)
	v_cvt_f32_u32_e32 v1, s24
	s_sub_i32 s8, 0, s24
	s_delay_alu instid0(VALU_DEP_1) | instskip(SKIP_2) | instid1(VALU_DEP_1)
	v_rcp_iflag_f32_e32 v1, v1
	s_waitcnt_depctr 0xfff
	v_mul_f32_e32 v1, 0x4f7ffffe, v1
	v_cvt_u32_f32_e32 v1, v1
	s_delay_alu instid0(VALU_DEP_1) | instskip(NEXT) | instid1(VALU_DEP_1)
	v_readfirstlane_b32 s7, v1
	s_mul_i32 s8, s8, s7
	s_delay_alu instid0(SALU_CYCLE_1) | instskip(NEXT) | instid1(SALU_CYCLE_1)
	s_mul_hi_u32 s8, s7, s8
	s_add_i32 s7, s7, s8
	s_delay_alu instid0(SALU_CYCLE_1) | instskip(NEXT) | instid1(SALU_CYCLE_1)
	s_mul_hi_u32 s7, s15, s7
	s_mul_i32 s8, s7, s24
	s_add_i32 s9, s7, 1
	s_sub_i32 s8, s15, s8
	s_delay_alu instid0(SALU_CYCLE_1)
	s_sub_i32 s10, s8, s24
	s_cmp_ge_u32 s8, s24
	s_cselect_b32 s7, s9, s7
	s_cselect_b32 s8, s10, s8
	s_add_i32 s9, s7, 1
	s_cmp_ge_u32 s8, s24
	s_cselect_b32 s17, s9, s7
	s_delay_alu instid0(SALU_CYCLE_1) | instskip(SKIP_2) | instid1(SALU_CYCLE_1)
	s_mul_i32 s7, s17, s24
	v_lshl_or_b32 v1, s17, 6, v0
	s_sub_i32 s8, s15, s7
	s_ashr_i32 s9, s8, 31
	s_delay_alu instid0(VALU_DEP_1) | instskip(SKIP_1) | instid1(SALU_CYCLE_1)
	v_ashrrev_i32_e32 v2, 31, v1
	s_lshl_b64 s[8:9], s[8:9], 2
	s_add_u32 s2, s2, s8
	s_addc_u32 s3, s3, s9
	s_load_b32 s20, s[2:3], 0x0
	s_load_b128 s[8:11], s[0:1], 0x38
	s_waitcnt lgkmcnt(0)
	s_ashr_i32 s21, s20, 31
	s_delay_alu instid0(SALU_CYCLE_1)
	s_lshl_b64 s[2:3], s[20:21], 3
	s_mul_i32 s17, s21, s8
	s_add_u32 s2, s18, s2
	s_addc_u32 s3, s19, s3
	s_mul_i32 s18, s20, s8
	s_load_b128 s[12:15], s[2:3], 0x0
	s_mul_i32 s2, s20, s9
	s_mul_hi_u32 s3, s20, s8
	s_delay_alu instid0(SALU_CYCLE_1) | instskip(SKIP_2) | instid1(VALU_DEP_1)
	s_add_i32 s3, s3, s2
	v_cmp_gt_i32_e64 s2, s25, v1
	s_add_i32 s19, s3, s17
	s_and_saveexec_b32 s3, s2
	s_cbranch_execz .LBB45_4
; %bb.3:
	v_add_co_u32 v3, vcc_lo, s18, v1
	v_add_co_ci_u32_e32 v4, vcc_lo, s19, v2, vcc_lo
	s_delay_alu instid0(VALU_DEP_1) | instskip(NEXT) | instid1(VALU_DEP_1)
	v_lshlrev_b64 v[3:4], 2, v[3:4]
	v_add_co_u32 v3, vcc_lo, s22, v3
	s_delay_alu instid0(VALU_DEP_2)
	v_add_co_ci_u32_e32 v4, vcc_lo, s23, v4, vcc_lo
	global_load_b32 v3, v[3:4], off
	s_waitcnt vmcnt(0)
	v_mul_f32_e32 v5, s16, v3
.LBB45_4:
	s_or_b32 exec_lo, exec_lo, s3
	v_lshlrev_b64 v[2:3], 2, v[1:2]
	s_waitcnt lgkmcnt(0)
	v_cmp_ge_i64_e64 s3, s[12:13], s[14:15]
	v_mov_b32_e32 v13, 1.0
	s_delay_alu instid0(VALU_DEP_3) | instskip(NEXT) | instid1(VALU_DEP_4)
	v_add_co_u32 v2, vcc_lo, s22, v2
	v_add_co_ci_u32_e32 v3, vcc_lo, s23, v3, vcc_lo
	s_delay_alu instid0(VALU_DEP_4)
	s_and_b32 vcc_lo, exec_lo, s3
	v_cmp_eq_u32_e64 s3, 0, v0
	s_cbranch_vccnz .LBB45_42
; %bb.5:
	s_clause 0x1
	s_load_b128 s[28:31], s[0:1], 0x20
	s_load_b64 s[16:17], s[0:1], 0x50
	v_dual_mov_b32 v1, 0 :: v_dual_lshlrev_b32 v4, 2, v0
	s_sub_u32 s12, s12, s4
	s_subb_u32 s13, s13, 0
	s_sub_u32 s14, s14, s4
	s_subb_u32 s15, s15, 0
	s_cmp_lg_u32 s6, 0
	v_cmp_ne_u32_e64 s0, 0, v0
	v_or_b32_e32 v6, 0x100, v4
	s_cselect_b32 s21, -1, 0
	s_add_i32 s26, s20, s4
	v_mov_b32_e32 v11, 1.0
	s_cmp_eq_u32 s6, 0
	s_mov_b64 s[22:23], s[12:13]
	s_waitcnt lgkmcnt(0)
	v_add_co_u32 v7, s1, s28, v4
	s_delay_alu instid0(VALU_DEP_1) | instskip(SKIP_1) | instid1(VALU_DEP_1)
	v_add_co_ci_u32_e64 v8, null, s29, 0, s1
	v_add_co_u32 v9, s1, s30, v4
	v_add_co_ci_u32_e64 v10, null, s31, 0, s1
	s_cselect_b32 s1, -1, 0
	s_branch .LBB45_7
.LBB45_6:                               ;   in Loop: Header=BB45_7 Depth=1
	s_add_u32 s22, s22, 1
	s_addc_u32 s23, s23, 0
	s_delay_alu instid0(SALU_CYCLE_1) | instskip(SKIP_2) | instid1(VALU_DEP_3)
	v_cmp_ge_i64_e64 s13, s[22:23], s[14:15]
	v_mov_b32_e32 v5, v14
	v_mov_b32_e32 v11, v13
	s_and_not1_b32 vcc_lo, exec_lo, s13
	s_cbranch_vccz .LBB45_43
.LBB45_7:                               ; =>This Loop Header: Depth=1
                                        ;     Child Loop BB45_35 Depth 2
	s_sub_i32 s13, s22, s12
	s_delay_alu instid0(SALU_CYCLE_1) | instskip(NEXT) | instid1(SALU_CYCLE_1)
	s_and_b32 s13, s13, 63
	s_cmp_lg_u32 s13, 0
	s_cbranch_scc1 .LBB45_11
; %bb.8:                                ;   in Loop: Header=BB45_7 Depth=1
	s_sub_u32 s24, s14, s22
	s_subb_u32 s25, s15, s23
	v_dual_mov_b32 v13, -1 :: v_dual_mov_b32 v12, -1.0
	v_cmp_gt_i64_e32 vcc_lo, s[24:25], v[0:1]
	s_and_saveexec_b32 s24, vcc_lo
	s_cbranch_execz .LBB45_10
; %bb.9:                                ;   in Loop: Header=BB45_7 Depth=1
	s_lshl_b64 s[28:29], s[22:23], 2
	s_delay_alu instid0(SALU_CYCLE_1)
	v_add_co_u32 v12, vcc_lo, v7, s28
	v_add_co_ci_u32_e32 v13, vcc_lo, s29, v8, vcc_lo
	global_load_b32 v14, v[12:13], off
	v_add_co_u32 v12, vcc_lo, v9, s28
	v_add_co_ci_u32_e32 v13, vcc_lo, s29, v10, vcc_lo
	global_load_b32 v12, v[12:13], off
	s_waitcnt vmcnt(1)
	v_subrev_nc_u32_e32 v13, s4, v14
.LBB45_10:                              ;   in Loop: Header=BB45_7 Depth=1
	s_or_b32 exec_lo, exec_lo, s24
	ds_store_b32 v4, v13
	s_waitcnt vmcnt(0)
	ds_store_b32 v6, v12
.LBB45_11:                              ;   in Loop: Header=BB45_7 Depth=1
	s_lshl_b32 s13, s13, 2
	s_waitcnt lgkmcnt(0)
	v_mov_b32_e32 v12, s13
	s_waitcnt_vscnt null, 0x0
	s_barrier
	buffer_gl0_inv
	ds_load_2addr_stride64_b32 v[12:13], v12 offset1:1
	s_waitcnt lgkmcnt(0)
	v_readfirstlane_b32 s13, v12
	v_cmp_neq_f32_e32 vcc_lo, 0, v13
	s_delay_alu instid0(VALU_DEP_2) | instskip(SKIP_1) | instid1(SALU_CYCLE_1)
	s_cmp_lg_u32 s13, s20
	s_cselect_b32 s24, -1, 0
	s_or_b32 s24, s21, s24
	s_delay_alu instid0(SALU_CYCLE_1) | instskip(SKIP_2) | instid1(SALU_CYCLE_1)
	s_or_b32 vcc_lo, vcc_lo, s24
	v_cndmask_b32_e32 v12, 1.0, v13, vcc_lo
	s_or_b32 s24, s0, vcc_lo
	s_xor_b32 s25, s24, -1
	s_delay_alu instid0(SALU_CYCLE_1)
	s_and_saveexec_b32 s24, s25
	s_cbranch_execz .LBB45_15
; %bb.12:                               ;   in Loop: Header=BB45_7 Depth=1
	v_mbcnt_lo_u32_b32 v12, exec_lo, 0
	s_mov_b32 s25, exec_lo
	s_delay_alu instid0(VALU_DEP_1)
	v_cmpx_eq_u32_e32 0, v12
	s_cbranch_execz .LBB45_14
; %bb.13:                               ;   in Loop: Header=BB45_7 Depth=1
	v_mov_b32_e32 v12, s26
	global_atomic_min_i32 v1, v12, s[16:17]
.LBB45_14:                              ;   in Loop: Header=BB45_7 Depth=1
	s_or_b32 exec_lo, exec_lo, s25
	v_mov_b32_e32 v12, 1.0
.LBB45_15:                              ;   in Loop: Header=BB45_7 Depth=1
	s_or_b32 exec_lo, exec_lo, s24
	s_cmp_lt_i32 s5, 1
	s_mov_b32 s24, 0
	s_cbranch_scc1 .LBB45_20
; %bb.16:                               ;   in Loop: Header=BB45_7 Depth=1
	s_cmp_eq_u32 s5, 1
	s_cbranch_scc0 .LBB45_21
; %bb.17:                               ;   in Loop: Header=BB45_7 Depth=1
	v_mov_b32_e32 v13, v11
	s_cmp_ge_i32 s13, s20
	s_mov_b32 s25, 0
	s_cbranch_scc0 .LBB45_23
; %bb.18:                               ;   in Loop: Header=BB45_7 Depth=1
	s_cmp_eq_u32 s13, s20
	s_cbranch_scc0 .LBB45_22
; %bb.19:                               ;   in Loop: Header=BB45_7 Depth=1
	v_div_scale_f32 v13, null, v12, v12, 1.0
	s_delay_alu instid0(VALU_DEP_1) | instskip(SKIP_2) | instid1(VALU_DEP_1)
	v_rcp_f32_e32 v14, v13
	s_waitcnt_depctr 0xfff
	v_fma_f32 v15, -v13, v14, 1.0
	v_fmac_f32_e32 v14, v15, v14
	v_div_scale_f32 v15, vcc_lo, 1.0, v12, 1.0
	s_delay_alu instid0(VALU_DEP_1) | instskip(NEXT) | instid1(VALU_DEP_1)
	v_mul_f32_e32 v16, v15, v14
	v_fma_f32 v17, -v13, v16, v15
	s_delay_alu instid0(VALU_DEP_1) | instskip(NEXT) | instid1(VALU_DEP_1)
	v_fmac_f32_e32 v16, v17, v14
	v_fma_f32 v13, -v13, v16, v15
	s_delay_alu instid0(VALU_DEP_1) | instskip(NEXT) | instid1(VALU_DEP_1)
	v_div_fmas_f32 v13, v13, v14, v16
	v_div_fixup_f32 v13, v13, v12, 1.0
	s_delay_alu instid0(VALU_DEP_1)
	v_cndmask_b32_e64 v13, v11, v13, s1
	s_branch .LBB45_23
.LBB45_20:                              ;   in Loop: Header=BB45_7 Depth=1
	s_mov_b32 s25, 0
                                        ; implicit-def: $vgpr14
                                        ; implicit-def: $vgpr13
                                        ; implicit-def: $sgpr27
	s_cbranch_execnz .LBB45_24
	s_branch .LBB45_26
.LBB45_21:                              ;   in Loop: Header=BB45_7 Depth=1
	s_mov_b32 s25, -1
                                        ; implicit-def: $vgpr14
                                        ; implicit-def: $vgpr13
                                        ; implicit-def: $sgpr27
	s_branch .LBB45_26
.LBB45_22:                              ;   in Loop: Header=BB45_7 Depth=1
	s_mov_b32 s25, -1
                                        ; implicit-def: $vgpr13
.LBB45_23:                              ;   in Loop: Header=BB45_7 Depth=1
	v_mov_b32_e32 v14, v5
	s_mov_b32 s27, 4
	s_branch .LBB45_26
.LBB45_24:                              ;   in Loop: Header=BB45_7 Depth=1
	s_cmp_eq_u32 s5, 0
	s_cbranch_scc1 .LBB45_30
; %bb.25:                               ;   in Loop: Header=BB45_7 Depth=1
	s_mov_b32 s25, -1
                                        ; implicit-def: $vgpr14
                                        ; implicit-def: $vgpr13
                                        ; implicit-def: $sgpr27
.LBB45_26:                              ;   in Loop: Header=BB45_7 Depth=1
	s_delay_alu instid0(SALU_CYCLE_1)
	s_and_b32 vcc_lo, exec_lo, s25
	s_cbranch_vccnz .LBB45_33
.LBB45_27:                              ;   in Loop: Header=BB45_7 Depth=1
	s_and_b32 vcc_lo, exec_lo, s24
	s_cbranch_vccnz .LBB45_39
.LBB45_28:                              ;   in Loop: Header=BB45_7 Depth=1
	s_cmp_gt_i32 s27, 3
	s_mov_b32 s13, -1
	s_cbranch_scc1 .LBB45_40
.LBB45_29:                              ;   in Loop: Header=BB45_7 Depth=1
	s_cmp_eq_u32 s27, 0
	s_cselect_b32 s24, -1, 0
	s_delay_alu instid0(SALU_CYCLE_1)
	s_and_not1_b32 vcc_lo, exec_lo, s24
	s_cbranch_vccz .LBB45_6
	s_branch .LBB45_41
.LBB45_30:                              ;   in Loop: Header=BB45_7 Depth=1
	s_cmp_le_i32 s13, s20
	s_mov_b32 s25, 0
	s_cbranch_scc0 .LBB45_32
; %bb.31:                               ;   in Loop: Header=BB45_7 Depth=1
	s_cmp_lg_u32 s13, s20
	s_mov_b32 s24, -1
	s_cselect_b32 s25, -1, 0
.LBB45_32:                              ;   in Loop: Header=BB45_7 Depth=1
	v_dual_mov_b32 v14, v5 :: v_dual_mov_b32 v13, v11
	s_mov_b32 s27, 2
	s_and_b32 vcc_lo, exec_lo, s25
	s_cbranch_vccz .LBB45_27
.LBB45_33:                              ;   in Loop: Header=BB45_7 Depth=1
	s_and_saveexec_b32 s27, s3
	s_cbranch_execz .LBB45_36
; %bb.34:                               ;   in Loop: Header=BB45_7 Depth=1
	s_add_i32 s24, s13, s7
	s_delay_alu instid0(SALU_CYCLE_1) | instskip(NEXT) | instid1(SALU_CYCLE_1)
	s_ashr_i32 s25, s24, 31
	s_lshl_b64 s[24:25], s[24:25], 2
	s_delay_alu instid0(SALU_CYCLE_1)
	s_add_u32 s24, s10, s24
	s_addc_u32 s25, s11, s25
	global_load_b32 v13, v1, s[24:25] glc
	s_waitcnt vmcnt(0)
	v_cmp_ne_u32_e32 vcc_lo, 0, v13
	s_cbranch_vccnz .LBB45_36
.LBB45_35:                              ;   Parent Loop BB45_7 Depth=1
                                        ; =>  This Inner Loop Header: Depth=2
	global_load_b32 v13, v1, s[24:25] glc
	s_waitcnt vmcnt(0)
	v_cmp_eq_u32_e32 vcc_lo, 0, v13
	s_cbranch_vccnz .LBB45_35
.LBB45_36:                              ;   in Loop: Header=BB45_7 Depth=1
	s_or_b32 exec_lo, exec_lo, s27
	v_mov_b32_e32 v14, 0
	s_waitcnt_vscnt null, 0x0
	s_barrier
	buffer_gl0_inv
	buffer_gl1_inv
	buffer_gl0_inv
	s_and_saveexec_b32 s24, s2
	s_cbranch_execz .LBB45_38
; %bb.37:                               ;   in Loop: Header=BB45_7 Depth=1
	s_mul_i32 s25, s13, s9
	s_mul_hi_u32 s27, s13, s8
	s_ashr_i32 s28, s13, 31
	s_add_i32 s25, s27, s25
	s_mul_i32 s28, s28, s8
	s_delay_alu instid0(SALU_CYCLE_1) | instskip(SKIP_1) | instid1(SALU_CYCLE_1)
	s_add_i32 s29, s25, s28
	s_mul_i32 s28, s13, s8
	s_lshl_b64 s[28:29], s[28:29], 2
	s_delay_alu instid0(SALU_CYCLE_1)
	v_add_co_u32 v13, vcc_lo, v2, s28
	v_add_co_ci_u32_e32 v14, vcc_lo, s29, v3, vcc_lo
	global_load_b32 v13, v[13:14], off
	s_waitcnt vmcnt(0)
	v_fma_f32 v14, -v12, v13, v5
.LBB45_38:                              ;   in Loop: Header=BB45_7 Depth=1
	s_or_b32 exec_lo, exec_lo, s24
	v_mov_b32_e32 v13, v11
	s_mov_b32 s27, 0
	s_branch .LBB45_28
.LBB45_39:                              ;   in Loop: Header=BB45_7 Depth=1
	v_div_scale_f32 v13, null, v12, v12, 1.0
	v_div_scale_f32 v16, vcc_lo, 1.0, v12, 1.0
	s_mov_b32 s27, 2
	s_delay_alu instid0(VALU_DEP_2) | instskip(SKIP_2) | instid1(VALU_DEP_1)
	v_rcp_f32_e32 v14, v13
	s_waitcnt_depctr 0xfff
	v_fma_f32 v15, -v13, v14, 1.0
	v_fmac_f32_e32 v14, v15, v14
	s_delay_alu instid0(VALU_DEP_1) | instskip(NEXT) | instid1(VALU_DEP_1)
	v_mul_f32_e32 v15, v16, v14
	v_fma_f32 v17, -v13, v15, v16
	s_delay_alu instid0(VALU_DEP_1) | instskip(NEXT) | instid1(VALU_DEP_1)
	v_fmac_f32_e32 v15, v17, v14
	v_fma_f32 v13, -v13, v15, v16
	s_delay_alu instid0(VALU_DEP_1) | instskip(SKIP_1) | instid1(VALU_DEP_2)
	v_div_fmas_f32 v13, v13, v14, v15
	v_mov_b32_e32 v14, v5
	v_div_fixup_f32 v12, v13, v12, 1.0
	s_delay_alu instid0(VALU_DEP_1)
	v_cndmask_b32_e64 v13, v11, v12, s1
	s_cmp_gt_i32 s27, 3
	s_mov_b32 s13, -1
	s_cbranch_scc0 .LBB45_29
.LBB45_40:                              ;   in Loop: Header=BB45_7 Depth=1
	s_branch .LBB45_6
.LBB45_41:                              ;   in Loop: Header=BB45_7 Depth=1
                                        ; implicit-def: $sgpr22_sgpr23
	v_mov_b32_e32 v5, v14
	v_mov_b32_e32 v11, v13
	s_and_not1_b32 vcc_lo, exec_lo, s13
	s_cbranch_vccnz .LBB45_7
	s_branch .LBB45_43
.LBB45_42:
	v_mov_b32_e32 v14, v5
.LBB45_43:
	s_and_saveexec_b32 s0, s2
	s_cbranch_execz .LBB45_45
; %bb.44:
	s_delay_alu instid0(VALU_DEP_1) | instskip(SKIP_3) | instid1(VALU_DEP_1)
	v_mul_f32_e32 v1, v13, v14
	s_cmp_eq_u32 s6, 0
	s_cselect_b32 vcc_lo, -1, 0
	s_lshl_b64 s[2:3], s[18:19], 2
	v_cndmask_b32_e32 v4, v14, v1, vcc_lo
	v_add_co_u32 v1, vcc_lo, v2, s2
	v_add_co_ci_u32_e32 v2, vcc_lo, s3, v3, vcc_lo
	global_store_b32 v[1:2], v4, off
.LBB45_45:
	s_or_b32 exec_lo, exec_lo, s0
	s_waitcnt_vscnt null, 0x0
	buffer_gl1_inv
	buffer_gl0_inv
	s_barrier
	buffer_gl0_inv
	s_mov_b32 s0, exec_lo
	v_cmpx_eq_u32_e32 0, v0
	s_cbranch_execz .LBB45_47
; %bb.46:
	s_add_i32 s0, s20, s7
	v_dual_mov_b32 v0, 0 :: v_dual_mov_b32 v1, 1
	s_ashr_i32 s1, s0, 31
	s_delay_alu instid0(SALU_CYCLE_1) | instskip(NEXT) | instid1(SALU_CYCLE_1)
	s_lshl_b64 s[0:1], s[0:1], 2
	s_add_u32 s0, s10, s0
	s_addc_u32 s1, s11, s1
	global_store_b32 v0, v1, s[0:1]
.LBB45_47:
	s_nop 0
	s_sendmsg sendmsg(MSG_DEALLOC_VGPRS)
	s_endpgm
	.section	.rodata,"a",@progbits
	.p2align	6, 0x0
	.amdhsa_kernel _ZN9rocsparseL5csrsmILj64ELj64ELb0ElifEEv20rocsparse_operation_T3_S2_NS_24const_host_device_scalarIT4_EEPKT2_PKS2_PKS4_PS4_lPiSA_PS2_21rocsparse_index_base_20rocsparse_fill_mode_20rocsparse_diag_type_b
		.amdhsa_group_segment_fixed_size 512
		.amdhsa_private_segment_fixed_size 0
		.amdhsa_kernarg_size 104
		.amdhsa_user_sgpr_count 15
		.amdhsa_user_sgpr_dispatch_ptr 0
		.amdhsa_user_sgpr_queue_ptr 0
		.amdhsa_user_sgpr_kernarg_segment_ptr 1
		.amdhsa_user_sgpr_dispatch_id 0
		.amdhsa_user_sgpr_private_segment_size 0
		.amdhsa_wavefront_size32 1
		.amdhsa_uses_dynamic_stack 0
		.amdhsa_enable_private_segment 0
		.amdhsa_system_sgpr_workgroup_id_x 1
		.amdhsa_system_sgpr_workgroup_id_y 0
		.amdhsa_system_sgpr_workgroup_id_z 0
		.amdhsa_system_sgpr_workgroup_info 0
		.amdhsa_system_vgpr_workitem_id 0
		.amdhsa_next_free_vgpr 18
		.amdhsa_next_free_sgpr 32
		.amdhsa_reserve_vcc 1
		.amdhsa_float_round_mode_32 0
		.amdhsa_float_round_mode_16_64 0
		.amdhsa_float_denorm_mode_32 3
		.amdhsa_float_denorm_mode_16_64 3
		.amdhsa_dx10_clamp 1
		.amdhsa_ieee_mode 1
		.amdhsa_fp16_overflow 0
		.amdhsa_workgroup_processor_mode 1
		.amdhsa_memory_ordered 1
		.amdhsa_forward_progress 0
		.amdhsa_shared_vgpr_count 0
		.amdhsa_exception_fp_ieee_invalid_op 0
		.amdhsa_exception_fp_denorm_src 0
		.amdhsa_exception_fp_ieee_div_zero 0
		.amdhsa_exception_fp_ieee_overflow 0
		.amdhsa_exception_fp_ieee_underflow 0
		.amdhsa_exception_fp_ieee_inexact 0
		.amdhsa_exception_int_div_zero 0
	.end_amdhsa_kernel
	.section	.text._ZN9rocsparseL5csrsmILj64ELj64ELb0ElifEEv20rocsparse_operation_T3_S2_NS_24const_host_device_scalarIT4_EEPKT2_PKS2_PKS4_PS4_lPiSA_PS2_21rocsparse_index_base_20rocsparse_fill_mode_20rocsparse_diag_type_b,"axG",@progbits,_ZN9rocsparseL5csrsmILj64ELj64ELb0ElifEEv20rocsparse_operation_T3_S2_NS_24const_host_device_scalarIT4_EEPKT2_PKS2_PKS4_PS4_lPiSA_PS2_21rocsparse_index_base_20rocsparse_fill_mode_20rocsparse_diag_type_b,comdat
.Lfunc_end45:
	.size	_ZN9rocsparseL5csrsmILj64ELj64ELb0ElifEEv20rocsparse_operation_T3_S2_NS_24const_host_device_scalarIT4_EEPKT2_PKS2_PKS4_PS4_lPiSA_PS2_21rocsparse_index_base_20rocsparse_fill_mode_20rocsparse_diag_type_b, .Lfunc_end45-_ZN9rocsparseL5csrsmILj64ELj64ELb0ElifEEv20rocsparse_operation_T3_S2_NS_24const_host_device_scalarIT4_EEPKT2_PKS2_PKS4_PS4_lPiSA_PS2_21rocsparse_index_base_20rocsparse_fill_mode_20rocsparse_diag_type_b
                                        ; -- End function
	.section	.AMDGPU.csdata,"",@progbits
; Kernel info:
; codeLenInByte = 1704
; NumSgprs: 34
; NumVgprs: 18
; ScratchSize: 0
; MemoryBound: 0
; FloatMode: 240
; IeeeMode: 1
; LDSByteSize: 512 bytes/workgroup (compile time only)
; SGPRBlocks: 4
; VGPRBlocks: 2
; NumSGPRsForWavesPerEU: 34
; NumVGPRsForWavesPerEU: 18
; Occupancy: 16
; WaveLimiterHint : 1
; COMPUTE_PGM_RSRC2:SCRATCH_EN: 0
; COMPUTE_PGM_RSRC2:USER_SGPR: 15
; COMPUTE_PGM_RSRC2:TRAP_HANDLER: 0
; COMPUTE_PGM_RSRC2:TGID_X_EN: 1
; COMPUTE_PGM_RSRC2:TGID_Y_EN: 0
; COMPUTE_PGM_RSRC2:TGID_Z_EN: 0
; COMPUTE_PGM_RSRC2:TIDIG_COMP_CNT: 0
	.section	.text._ZN9rocsparseL5csrsmILj128ELj64ELb1ElifEEv20rocsparse_operation_T3_S2_NS_24const_host_device_scalarIT4_EEPKT2_PKS2_PKS4_PS4_lPiSA_PS2_21rocsparse_index_base_20rocsparse_fill_mode_20rocsparse_diag_type_b,"axG",@progbits,_ZN9rocsparseL5csrsmILj128ELj64ELb1ElifEEv20rocsparse_operation_T3_S2_NS_24const_host_device_scalarIT4_EEPKT2_PKS2_PKS4_PS4_lPiSA_PS2_21rocsparse_index_base_20rocsparse_fill_mode_20rocsparse_diag_type_b,comdat
	.globl	_ZN9rocsparseL5csrsmILj128ELj64ELb1ElifEEv20rocsparse_operation_T3_S2_NS_24const_host_device_scalarIT4_EEPKT2_PKS2_PKS4_PS4_lPiSA_PS2_21rocsparse_index_base_20rocsparse_fill_mode_20rocsparse_diag_type_b ; -- Begin function _ZN9rocsparseL5csrsmILj128ELj64ELb1ElifEEv20rocsparse_operation_T3_S2_NS_24const_host_device_scalarIT4_EEPKT2_PKS2_PKS4_PS4_lPiSA_PS2_21rocsparse_index_base_20rocsparse_fill_mode_20rocsparse_diag_type_b
	.p2align	8
	.type	_ZN9rocsparseL5csrsmILj128ELj64ELb1ElifEEv20rocsparse_operation_T3_S2_NS_24const_host_device_scalarIT4_EEPKT2_PKS2_PKS4_PS4_lPiSA_PS2_21rocsparse_index_base_20rocsparse_fill_mode_20rocsparse_diag_type_b,@function
_ZN9rocsparseL5csrsmILj128ELj64ELb1ElifEEv20rocsparse_operation_T3_S2_NS_24const_host_device_scalarIT4_EEPKT2_PKS2_PKS4_PS4_lPiSA_PS2_21rocsparse_index_base_20rocsparse_fill_mode_20rocsparse_diag_type_b: ; @_ZN9rocsparseL5csrsmILj128ELj64ELb1ElifEEv20rocsparse_operation_T3_S2_NS_24const_host_device_scalarIT4_EEPKT2_PKS2_PKS4_PS4_lPiSA_PS2_21rocsparse_index_base_20rocsparse_fill_mode_20rocsparse_diag_type_b
; %bb.0:
	s_clause 0x3
	s_load_b128 s[4:7], s[0:1], 0x58
	s_load_b64 s[2:3], s[0:1], 0x48
	s_load_b128 s[16:19], s[0:1], 0x10
	s_load_b64 s[22:23], s[0:1], 0x30
	s_waitcnt lgkmcnt(0)
	s_bitcmp1_b32 s7, 0
	s_cselect_b32 s7, -1, 0
	s_delay_alu instid0(SALU_CYCLE_1)
	s_and_b32 vcc_lo, exec_lo, s7
	s_cbranch_vccnz .LBB46_2
; %bb.1:
	s_load_b32 s16, s[16:17], 0x0
.LBB46_2:
	s_load_b64 s[24:25], s[0:1], 0x4
	v_mov_b32_e32 v5, 0
	s_waitcnt lgkmcnt(0)
	v_cvt_f32_u32_e32 v1, s24
	s_sub_i32 s8, 0, s24
	s_delay_alu instid0(VALU_DEP_1) | instskip(SKIP_2) | instid1(VALU_DEP_1)
	v_rcp_iflag_f32_e32 v1, v1
	s_waitcnt_depctr 0xfff
	v_mul_f32_e32 v1, 0x4f7ffffe, v1
	v_cvt_u32_f32_e32 v1, v1
	s_delay_alu instid0(VALU_DEP_1) | instskip(NEXT) | instid1(VALU_DEP_1)
	v_readfirstlane_b32 s7, v1
	s_mul_i32 s8, s8, s7
	s_delay_alu instid0(SALU_CYCLE_1) | instskip(NEXT) | instid1(SALU_CYCLE_1)
	s_mul_hi_u32 s8, s7, s8
	s_add_i32 s7, s7, s8
	s_delay_alu instid0(SALU_CYCLE_1) | instskip(NEXT) | instid1(SALU_CYCLE_1)
	s_mul_hi_u32 s7, s15, s7
	s_mul_i32 s8, s7, s24
	s_add_i32 s9, s7, 1
	s_sub_i32 s8, s15, s8
	s_delay_alu instid0(SALU_CYCLE_1)
	s_sub_i32 s10, s8, s24
	s_cmp_ge_u32 s8, s24
	s_cselect_b32 s7, s9, s7
	s_cselect_b32 s8, s10, s8
	s_add_i32 s9, s7, 1
	s_cmp_ge_u32 s8, s24
	s_cselect_b32 s17, s9, s7
	s_delay_alu instid0(SALU_CYCLE_1) | instskip(SKIP_2) | instid1(SALU_CYCLE_1)
	s_mul_i32 s7, s17, s24
	v_lshl_or_b32 v1, s17, 7, v0
	s_sub_i32 s8, s15, s7
	s_ashr_i32 s9, s8, 31
	s_delay_alu instid0(VALU_DEP_1) | instskip(SKIP_1) | instid1(SALU_CYCLE_1)
	v_ashrrev_i32_e32 v2, 31, v1
	s_lshl_b64 s[8:9], s[8:9], 2
	s_add_u32 s2, s2, s8
	s_addc_u32 s3, s3, s9
	s_load_b32 s20, s[2:3], 0x0
	s_load_b128 s[8:11], s[0:1], 0x38
	s_waitcnt lgkmcnt(0)
	s_ashr_i32 s21, s20, 31
	s_delay_alu instid0(SALU_CYCLE_1)
	s_lshl_b64 s[2:3], s[20:21], 3
	s_mul_i32 s17, s21, s8
	s_add_u32 s2, s18, s2
	s_addc_u32 s3, s19, s3
	s_mul_i32 s18, s20, s8
	s_load_b128 s[12:15], s[2:3], 0x0
	s_mul_i32 s2, s20, s9
	s_mul_hi_u32 s3, s20, s8
	s_delay_alu instid0(SALU_CYCLE_1) | instskip(SKIP_2) | instid1(VALU_DEP_1)
	s_add_i32 s3, s3, s2
	v_cmp_gt_i32_e64 s2, s25, v1
	s_add_i32 s19, s3, s17
	s_and_saveexec_b32 s3, s2
	s_cbranch_execz .LBB46_4
; %bb.3:
	v_add_co_u32 v3, vcc_lo, s18, v1
	v_add_co_ci_u32_e32 v4, vcc_lo, s19, v2, vcc_lo
	s_delay_alu instid0(VALU_DEP_1) | instskip(NEXT) | instid1(VALU_DEP_1)
	v_lshlrev_b64 v[3:4], 2, v[3:4]
	v_add_co_u32 v3, vcc_lo, s22, v3
	s_delay_alu instid0(VALU_DEP_2)
	v_add_co_ci_u32_e32 v4, vcc_lo, s23, v4, vcc_lo
	global_load_b32 v3, v[3:4], off
	s_waitcnt vmcnt(0)
	v_mul_f32_e32 v5, s16, v3
.LBB46_4:
	s_or_b32 exec_lo, exec_lo, s3
	v_lshlrev_b64 v[2:3], 2, v[1:2]
	s_waitcnt lgkmcnt(0)
	v_cmp_ge_i64_e64 s3, s[12:13], s[14:15]
	v_mov_b32_e32 v13, 1.0
	s_delay_alu instid0(VALU_DEP_3) | instskip(NEXT) | instid1(VALU_DEP_4)
	v_add_co_u32 v2, vcc_lo, s22, v2
	v_add_co_ci_u32_e32 v3, vcc_lo, s23, v3, vcc_lo
	s_delay_alu instid0(VALU_DEP_4)
	s_and_b32 vcc_lo, exec_lo, s3
	v_cmp_eq_u32_e64 s3, 0, v0
	s_cbranch_vccnz .LBB46_45
; %bb.5:
	s_clause 0x1
	s_load_b128 s[28:31], s[0:1], 0x20
	s_load_b64 s[16:17], s[0:1], 0x50
	v_dual_mov_b32 v1, 0 :: v_dual_lshlrev_b32 v4, 2, v0
	s_sub_u32 s12, s12, s4
	s_subb_u32 s13, s13, 0
	s_sub_u32 s14, s14, s4
	s_subb_u32 s15, s15, 0
	s_cmp_lg_u32 s6, 0
	v_cmp_ne_u32_e64 s0, 0, v0
	v_or_b32_e32 v6, 0x200, v4
	s_cselect_b32 s21, -1, 0
	s_add_i32 s26, s20, s4
	v_mov_b32_e32 v11, 1.0
	s_cmp_eq_u32 s6, 0
	s_mov_b64 s[22:23], s[12:13]
	s_waitcnt lgkmcnt(0)
	v_add_co_u32 v7, s1, s28, v4
	s_delay_alu instid0(VALU_DEP_1) | instskip(SKIP_1) | instid1(VALU_DEP_1)
	v_add_co_ci_u32_e64 v8, null, s29, 0, s1
	v_add_co_u32 v9, s1, s30, v4
	v_add_co_ci_u32_e64 v10, null, s31, 0, s1
	s_cselect_b32 s1, -1, 0
	s_branch .LBB46_7
.LBB46_6:                               ;   in Loop: Header=BB46_7 Depth=1
	s_add_u32 s22, s22, 1
	s_addc_u32 s23, s23, 0
	s_delay_alu instid0(SALU_CYCLE_1) | instskip(SKIP_2) | instid1(VALU_DEP_3)
	v_cmp_ge_i64_e64 s13, s[22:23], s[14:15]
	v_mov_b32_e32 v5, v14
	v_mov_b32_e32 v11, v13
	s_and_not1_b32 vcc_lo, exec_lo, s13
	s_cbranch_vccz .LBB46_46
.LBB46_7:                               ; =>This Loop Header: Depth=1
                                        ;     Child Loop BB46_43 Depth 2
                                        ;       Child Loop BB46_44 Depth 3
	s_sub_i32 s13, s22, s12
	s_delay_alu instid0(SALU_CYCLE_1) | instskip(NEXT) | instid1(SALU_CYCLE_1)
	s_and_b32 s13, s13, 0x7f
	s_cmp_lg_u32 s13, 0
	s_cbranch_scc1 .LBB46_11
; %bb.8:                                ;   in Loop: Header=BB46_7 Depth=1
	s_sub_u32 s24, s14, s22
	s_subb_u32 s25, s15, s23
	v_dual_mov_b32 v13, -1 :: v_dual_mov_b32 v12, -1.0
	v_cmp_gt_i64_e32 vcc_lo, s[24:25], v[0:1]
	s_and_saveexec_b32 s24, vcc_lo
	s_cbranch_execz .LBB46_10
; %bb.9:                                ;   in Loop: Header=BB46_7 Depth=1
	s_lshl_b64 s[28:29], s[22:23], 2
	s_delay_alu instid0(SALU_CYCLE_1)
	v_add_co_u32 v12, vcc_lo, v7, s28
	v_add_co_ci_u32_e32 v13, vcc_lo, s29, v8, vcc_lo
	global_load_b32 v14, v[12:13], off
	v_add_co_u32 v12, vcc_lo, v9, s28
	v_add_co_ci_u32_e32 v13, vcc_lo, s29, v10, vcc_lo
	global_load_b32 v12, v[12:13], off
	s_waitcnt vmcnt(1)
	v_subrev_nc_u32_e32 v13, s4, v14
.LBB46_10:                              ;   in Loop: Header=BB46_7 Depth=1
	s_or_b32 exec_lo, exec_lo, s24
	ds_store_b32 v4, v13
	s_waitcnt vmcnt(0)
	ds_store_b32 v6, v12
.LBB46_11:                              ;   in Loop: Header=BB46_7 Depth=1
	s_lshl_b32 s13, s13, 2
	s_waitcnt lgkmcnt(0)
	v_mov_b32_e32 v12, s13
	s_waitcnt_vscnt null, 0x0
	s_barrier
	buffer_gl0_inv
	ds_load_2addr_stride64_b32 v[12:13], v12 offset1:2
	s_waitcnt lgkmcnt(0)
	v_readfirstlane_b32 s13, v12
	v_cmp_neq_f32_e32 vcc_lo, 0, v13
	s_delay_alu instid0(VALU_DEP_2) | instskip(SKIP_1) | instid1(SALU_CYCLE_1)
	s_cmp_lg_u32 s13, s20
	s_cselect_b32 s24, -1, 0
	s_or_b32 s24, s21, s24
	s_delay_alu instid0(SALU_CYCLE_1) | instskip(SKIP_2) | instid1(SALU_CYCLE_1)
	s_or_b32 vcc_lo, vcc_lo, s24
	v_cndmask_b32_e32 v12, 1.0, v13, vcc_lo
	s_or_b32 s24, s0, vcc_lo
	s_xor_b32 s25, s24, -1
	s_delay_alu instid0(SALU_CYCLE_1)
	s_and_saveexec_b32 s24, s25
	s_cbranch_execz .LBB46_15
; %bb.12:                               ;   in Loop: Header=BB46_7 Depth=1
	v_mbcnt_lo_u32_b32 v12, exec_lo, 0
	s_mov_b32 s25, exec_lo
	s_delay_alu instid0(VALU_DEP_1)
	v_cmpx_eq_u32_e32 0, v12
	s_cbranch_execz .LBB46_14
; %bb.13:                               ;   in Loop: Header=BB46_7 Depth=1
	v_mov_b32_e32 v12, s26
	global_atomic_min_i32 v1, v12, s[16:17]
.LBB46_14:                              ;   in Loop: Header=BB46_7 Depth=1
	s_or_b32 exec_lo, exec_lo, s25
	v_mov_b32_e32 v12, 1.0
.LBB46_15:                              ;   in Loop: Header=BB46_7 Depth=1
	s_or_b32 exec_lo, exec_lo, s24
	s_cmp_lt_i32 s5, 1
	s_mov_b32 s24, 0
	s_cbranch_scc1 .LBB46_20
; %bb.16:                               ;   in Loop: Header=BB46_7 Depth=1
	s_cmp_eq_u32 s5, 1
	s_cbranch_scc0 .LBB46_21
; %bb.17:                               ;   in Loop: Header=BB46_7 Depth=1
	v_mov_b32_e32 v13, v11
	s_cmp_ge_i32 s13, s20
	s_mov_b32 s25, 0
	s_cbranch_scc0 .LBB46_23
; %bb.18:                               ;   in Loop: Header=BB46_7 Depth=1
	s_cmp_eq_u32 s13, s20
	s_cbranch_scc0 .LBB46_22
; %bb.19:                               ;   in Loop: Header=BB46_7 Depth=1
	v_div_scale_f32 v13, null, v12, v12, 1.0
	s_delay_alu instid0(VALU_DEP_1) | instskip(SKIP_2) | instid1(VALU_DEP_1)
	v_rcp_f32_e32 v14, v13
	s_waitcnt_depctr 0xfff
	v_fma_f32 v15, -v13, v14, 1.0
	v_fmac_f32_e32 v14, v15, v14
	v_div_scale_f32 v15, vcc_lo, 1.0, v12, 1.0
	s_delay_alu instid0(VALU_DEP_1) | instskip(NEXT) | instid1(VALU_DEP_1)
	v_mul_f32_e32 v16, v15, v14
	v_fma_f32 v17, -v13, v16, v15
	s_delay_alu instid0(VALU_DEP_1) | instskip(NEXT) | instid1(VALU_DEP_1)
	v_fmac_f32_e32 v16, v17, v14
	v_fma_f32 v13, -v13, v16, v15
	s_delay_alu instid0(VALU_DEP_1) | instskip(NEXT) | instid1(VALU_DEP_1)
	v_div_fmas_f32 v13, v13, v14, v16
	v_div_fixup_f32 v13, v13, v12, 1.0
	s_delay_alu instid0(VALU_DEP_1)
	v_cndmask_b32_e64 v13, v11, v13, s1
	s_branch .LBB46_23
.LBB46_20:                              ;   in Loop: Header=BB46_7 Depth=1
	s_mov_b32 s25, 0
                                        ; implicit-def: $vgpr14
                                        ; implicit-def: $vgpr13
                                        ; implicit-def: $sgpr27
	s_cbranch_execnz .LBB46_24
	s_branch .LBB46_26
.LBB46_21:                              ;   in Loop: Header=BB46_7 Depth=1
	s_mov_b32 s25, -1
                                        ; implicit-def: $vgpr14
                                        ; implicit-def: $vgpr13
                                        ; implicit-def: $sgpr27
	s_branch .LBB46_26
.LBB46_22:                              ;   in Loop: Header=BB46_7 Depth=1
	s_mov_b32 s25, -1
                                        ; implicit-def: $vgpr13
.LBB46_23:                              ;   in Loop: Header=BB46_7 Depth=1
	v_mov_b32_e32 v14, v5
	s_mov_b32 s27, 4
	s_branch .LBB46_26
.LBB46_24:                              ;   in Loop: Header=BB46_7 Depth=1
	s_cmp_eq_u32 s5, 0
	s_cbranch_scc1 .LBB46_30
; %bb.25:                               ;   in Loop: Header=BB46_7 Depth=1
	s_mov_b32 s25, -1
                                        ; implicit-def: $vgpr14
                                        ; implicit-def: $vgpr13
                                        ; implicit-def: $sgpr27
.LBB46_26:                              ;   in Loop: Header=BB46_7 Depth=1
	s_delay_alu instid0(SALU_CYCLE_1)
	s_and_b32 vcc_lo, exec_lo, s25
	s_cbranch_vccnz .LBB46_33
.LBB46_27:                              ;   in Loop: Header=BB46_7 Depth=1
	s_and_b32 vcc_lo, exec_lo, s24
	s_cbranch_vccnz .LBB46_38
.LBB46_28:                              ;   in Loop: Header=BB46_7 Depth=1
	s_cmp_gt_i32 s27, 3
	s_mov_b32 s13, -1
	s_cbranch_scc1 .LBB46_39
.LBB46_29:                              ;   in Loop: Header=BB46_7 Depth=1
	s_cmp_eq_u32 s27, 0
	s_cselect_b32 s24, -1, 0
	s_delay_alu instid0(SALU_CYCLE_1)
	s_and_not1_b32 vcc_lo, exec_lo, s24
	s_cbranch_vccz .LBB46_6
	s_branch .LBB46_40
.LBB46_30:                              ;   in Loop: Header=BB46_7 Depth=1
	s_cmp_le_i32 s13, s20
	s_mov_b32 s25, 0
	s_cbranch_scc0 .LBB46_32
; %bb.31:                               ;   in Loop: Header=BB46_7 Depth=1
	s_cmp_lg_u32 s13, s20
	s_mov_b32 s24, -1
	s_cselect_b32 s25, -1, 0
.LBB46_32:                              ;   in Loop: Header=BB46_7 Depth=1
	v_dual_mov_b32 v14, v5 :: v_dual_mov_b32 v13, v11
	s_mov_b32 s27, 2
	s_and_b32 vcc_lo, exec_lo, s25
	s_cbranch_vccz .LBB46_27
.LBB46_33:                              ;   in Loop: Header=BB46_7 Depth=1
	s_and_saveexec_b32 s27, s3
	s_cbranch_execz .LBB46_35
; %bb.34:                               ;   in Loop: Header=BB46_7 Depth=1
	s_add_i32 s24, s13, s7
	s_delay_alu instid0(SALU_CYCLE_1) | instskip(NEXT) | instid1(SALU_CYCLE_1)
	s_ashr_i32 s25, s24, 31
	s_lshl_b64 s[24:25], s[24:25], 2
	s_delay_alu instid0(SALU_CYCLE_1)
	s_add_u32 s24, s10, s24
	s_addc_u32 s25, s11, s25
	global_load_b32 v13, v1, s[24:25] glc
	s_waitcnt vmcnt(0)
	v_cmp_ne_u32_e32 vcc_lo, 0, v13
	s_cbranch_vccz .LBB46_41
.LBB46_35:                              ;   in Loop: Header=BB46_7 Depth=1
	s_or_b32 exec_lo, exec_lo, s27
	v_mov_b32_e32 v14, 0
	s_waitcnt_vscnt null, 0x0
	s_barrier
	buffer_gl0_inv
	buffer_gl1_inv
	buffer_gl0_inv
	s_and_saveexec_b32 s24, s2
	s_cbranch_execz .LBB46_37
; %bb.36:                               ;   in Loop: Header=BB46_7 Depth=1
	s_mul_i32 s25, s13, s9
	s_mul_hi_u32 s27, s13, s8
	s_ashr_i32 s28, s13, 31
	s_add_i32 s25, s27, s25
	s_mul_i32 s28, s28, s8
	s_delay_alu instid0(SALU_CYCLE_1) | instskip(SKIP_1) | instid1(SALU_CYCLE_1)
	s_add_i32 s29, s25, s28
	s_mul_i32 s28, s13, s8
	s_lshl_b64 s[28:29], s[28:29], 2
	s_delay_alu instid0(SALU_CYCLE_1)
	v_add_co_u32 v13, vcc_lo, v2, s28
	v_add_co_ci_u32_e32 v14, vcc_lo, s29, v3, vcc_lo
	global_load_b32 v13, v[13:14], off
	s_waitcnt vmcnt(0)
	v_fma_f32 v14, -v12, v13, v5
.LBB46_37:                              ;   in Loop: Header=BB46_7 Depth=1
	s_or_b32 exec_lo, exec_lo, s24
	v_mov_b32_e32 v13, v11
	s_mov_b32 s27, 0
	s_branch .LBB46_28
.LBB46_38:                              ;   in Loop: Header=BB46_7 Depth=1
	v_div_scale_f32 v13, null, v12, v12, 1.0
	v_div_scale_f32 v16, vcc_lo, 1.0, v12, 1.0
	s_mov_b32 s27, 2
	s_delay_alu instid0(VALU_DEP_2) | instskip(SKIP_2) | instid1(VALU_DEP_1)
	v_rcp_f32_e32 v14, v13
	s_waitcnt_depctr 0xfff
	v_fma_f32 v15, -v13, v14, 1.0
	v_fmac_f32_e32 v14, v15, v14
	s_delay_alu instid0(VALU_DEP_1) | instskip(NEXT) | instid1(VALU_DEP_1)
	v_mul_f32_e32 v15, v16, v14
	v_fma_f32 v17, -v13, v15, v16
	s_delay_alu instid0(VALU_DEP_1) | instskip(NEXT) | instid1(VALU_DEP_1)
	v_fmac_f32_e32 v15, v17, v14
	v_fma_f32 v13, -v13, v15, v16
	s_delay_alu instid0(VALU_DEP_1) | instskip(SKIP_1) | instid1(VALU_DEP_2)
	v_div_fmas_f32 v13, v13, v14, v15
	v_mov_b32_e32 v14, v5
	v_div_fixup_f32 v12, v13, v12, 1.0
	s_delay_alu instid0(VALU_DEP_1)
	v_cndmask_b32_e64 v13, v11, v12, s1
	s_cmp_gt_i32 s27, 3
	s_mov_b32 s13, -1
	s_cbranch_scc0 .LBB46_29
.LBB46_39:                              ;   in Loop: Header=BB46_7 Depth=1
	s_branch .LBB46_6
.LBB46_40:                              ;   in Loop: Header=BB46_7 Depth=1
                                        ; implicit-def: $sgpr22_sgpr23
	v_mov_b32_e32 v5, v14
	v_mov_b32_e32 v11, v13
	s_and_not1_b32 vcc_lo, exec_lo, s13
	s_cbranch_vccnz .LBB46_7
	s_branch .LBB46_46
.LBB46_41:                              ;   in Loop: Header=BB46_7 Depth=1
	s_mov_b32 s28, 0
	s_branch .LBB46_43
	.p2align	6
.LBB46_42:                              ;   in Loop: Header=BB46_43 Depth=2
	global_load_b32 v13, v1, s[24:25] glc
	s_cmpk_lt_u32 s28, 0xf43
	s_cselect_b32 s29, -1, 0
	s_delay_alu instid0(SALU_CYCLE_1)
	s_cmp_lg_u32 s29, 0
	s_addc_u32 s28, s28, 0
	s_waitcnt vmcnt(0)
	v_cmp_ne_u32_e32 vcc_lo, 0, v13
	s_cbranch_vccnz .LBB46_35
.LBB46_43:                              ;   Parent Loop BB46_7 Depth=1
                                        ; =>  This Loop Header: Depth=2
                                        ;       Child Loop BB46_44 Depth 3
	s_cmp_eq_u32 s28, 0
	s_mov_b32 s29, s28
	s_cbranch_scc1 .LBB46_42
.LBB46_44:                              ;   Parent Loop BB46_7 Depth=1
                                        ;     Parent Loop BB46_43 Depth=2
                                        ; =>    This Inner Loop Header: Depth=3
	s_add_i32 s29, s29, -1
	s_sleep 1
	s_cmp_eq_u32 s29, 0
	s_cbranch_scc0 .LBB46_44
	s_branch .LBB46_42
.LBB46_45:
	v_mov_b32_e32 v14, v5
.LBB46_46:
	s_and_saveexec_b32 s0, s2
	s_cbranch_execz .LBB46_48
; %bb.47:
	s_delay_alu instid0(VALU_DEP_1) | instskip(SKIP_3) | instid1(VALU_DEP_1)
	v_mul_f32_e32 v1, v13, v14
	s_cmp_eq_u32 s6, 0
	s_cselect_b32 vcc_lo, -1, 0
	s_lshl_b64 s[2:3], s[18:19], 2
	v_cndmask_b32_e32 v4, v14, v1, vcc_lo
	v_add_co_u32 v1, vcc_lo, v2, s2
	v_add_co_ci_u32_e32 v2, vcc_lo, s3, v3, vcc_lo
	global_store_b32 v[1:2], v4, off
.LBB46_48:
	s_or_b32 exec_lo, exec_lo, s0
	s_waitcnt_vscnt null, 0x0
	buffer_gl1_inv
	buffer_gl0_inv
	s_barrier
	buffer_gl0_inv
	s_mov_b32 s0, exec_lo
	v_cmpx_eq_u32_e32 0, v0
	s_cbranch_execz .LBB46_50
; %bb.49:
	s_add_i32 s0, s20, s7
	v_dual_mov_b32 v0, 0 :: v_dual_mov_b32 v1, 1
	s_ashr_i32 s1, s0, 31
	s_delay_alu instid0(SALU_CYCLE_1) | instskip(NEXT) | instid1(SALU_CYCLE_1)
	s_lshl_b64 s[0:1], s[0:1], 2
	s_add_u32 s0, s10, s0
	s_addc_u32 s1, s11, s1
	global_store_b32 v0, v1, s[0:1]
.LBB46_50:
	s_nop 0
	s_sendmsg sendmsg(MSG_DEALLOC_VGPRS)
	s_endpgm
	.section	.rodata,"a",@progbits
	.p2align	6, 0x0
	.amdhsa_kernel _ZN9rocsparseL5csrsmILj128ELj64ELb1ElifEEv20rocsparse_operation_T3_S2_NS_24const_host_device_scalarIT4_EEPKT2_PKS2_PKS4_PS4_lPiSA_PS2_21rocsparse_index_base_20rocsparse_fill_mode_20rocsparse_diag_type_b
		.amdhsa_group_segment_fixed_size 1024
		.amdhsa_private_segment_fixed_size 0
		.amdhsa_kernarg_size 104
		.amdhsa_user_sgpr_count 15
		.amdhsa_user_sgpr_dispatch_ptr 0
		.amdhsa_user_sgpr_queue_ptr 0
		.amdhsa_user_sgpr_kernarg_segment_ptr 1
		.amdhsa_user_sgpr_dispatch_id 0
		.amdhsa_user_sgpr_private_segment_size 0
		.amdhsa_wavefront_size32 1
		.amdhsa_uses_dynamic_stack 0
		.amdhsa_enable_private_segment 0
		.amdhsa_system_sgpr_workgroup_id_x 1
		.amdhsa_system_sgpr_workgroup_id_y 0
		.amdhsa_system_sgpr_workgroup_id_z 0
		.amdhsa_system_sgpr_workgroup_info 0
		.amdhsa_system_vgpr_workitem_id 0
		.amdhsa_next_free_vgpr 18
		.amdhsa_next_free_sgpr 32
		.amdhsa_reserve_vcc 1
		.amdhsa_float_round_mode_32 0
		.amdhsa_float_round_mode_16_64 0
		.amdhsa_float_denorm_mode_32 3
		.amdhsa_float_denorm_mode_16_64 3
		.amdhsa_dx10_clamp 1
		.amdhsa_ieee_mode 1
		.amdhsa_fp16_overflow 0
		.amdhsa_workgroup_processor_mode 1
		.amdhsa_memory_ordered 1
		.amdhsa_forward_progress 0
		.amdhsa_shared_vgpr_count 0
		.amdhsa_exception_fp_ieee_invalid_op 0
		.amdhsa_exception_fp_denorm_src 0
		.amdhsa_exception_fp_ieee_div_zero 0
		.amdhsa_exception_fp_ieee_overflow 0
		.amdhsa_exception_fp_ieee_underflow 0
		.amdhsa_exception_fp_ieee_inexact 0
		.amdhsa_exception_int_div_zero 0
	.end_amdhsa_kernel
	.section	.text._ZN9rocsparseL5csrsmILj128ELj64ELb1ElifEEv20rocsparse_operation_T3_S2_NS_24const_host_device_scalarIT4_EEPKT2_PKS2_PKS4_PS4_lPiSA_PS2_21rocsparse_index_base_20rocsparse_fill_mode_20rocsparse_diag_type_b,"axG",@progbits,_ZN9rocsparseL5csrsmILj128ELj64ELb1ElifEEv20rocsparse_operation_T3_S2_NS_24const_host_device_scalarIT4_EEPKT2_PKS2_PKS4_PS4_lPiSA_PS2_21rocsparse_index_base_20rocsparse_fill_mode_20rocsparse_diag_type_b,comdat
.Lfunc_end46:
	.size	_ZN9rocsparseL5csrsmILj128ELj64ELb1ElifEEv20rocsparse_operation_T3_S2_NS_24const_host_device_scalarIT4_EEPKT2_PKS2_PKS4_PS4_lPiSA_PS2_21rocsparse_index_base_20rocsparse_fill_mode_20rocsparse_diag_type_b, .Lfunc_end46-_ZN9rocsparseL5csrsmILj128ELj64ELb1ElifEEv20rocsparse_operation_T3_S2_NS_24const_host_device_scalarIT4_EEPKT2_PKS2_PKS4_PS4_lPiSA_PS2_21rocsparse_index_base_20rocsparse_fill_mode_20rocsparse_diag_type_b
                                        ; -- End function
	.section	.AMDGPU.csdata,"",@progbits
; Kernel info:
; codeLenInByte = 1768
; NumSgprs: 34
; NumVgprs: 18
; ScratchSize: 0
; MemoryBound: 0
; FloatMode: 240
; IeeeMode: 1
; LDSByteSize: 1024 bytes/workgroup (compile time only)
; SGPRBlocks: 4
; VGPRBlocks: 2
; NumSGPRsForWavesPerEU: 34
; NumVGPRsForWavesPerEU: 18
; Occupancy: 16
; WaveLimiterHint : 1
; COMPUTE_PGM_RSRC2:SCRATCH_EN: 0
; COMPUTE_PGM_RSRC2:USER_SGPR: 15
; COMPUTE_PGM_RSRC2:TRAP_HANDLER: 0
; COMPUTE_PGM_RSRC2:TGID_X_EN: 1
; COMPUTE_PGM_RSRC2:TGID_Y_EN: 0
; COMPUTE_PGM_RSRC2:TGID_Z_EN: 0
; COMPUTE_PGM_RSRC2:TIDIG_COMP_CNT: 0
	.section	.text._ZN9rocsparseL5csrsmILj128ELj64ELb0ElifEEv20rocsparse_operation_T3_S2_NS_24const_host_device_scalarIT4_EEPKT2_PKS2_PKS4_PS4_lPiSA_PS2_21rocsparse_index_base_20rocsparse_fill_mode_20rocsparse_diag_type_b,"axG",@progbits,_ZN9rocsparseL5csrsmILj128ELj64ELb0ElifEEv20rocsparse_operation_T3_S2_NS_24const_host_device_scalarIT4_EEPKT2_PKS2_PKS4_PS4_lPiSA_PS2_21rocsparse_index_base_20rocsparse_fill_mode_20rocsparse_diag_type_b,comdat
	.globl	_ZN9rocsparseL5csrsmILj128ELj64ELb0ElifEEv20rocsparse_operation_T3_S2_NS_24const_host_device_scalarIT4_EEPKT2_PKS2_PKS4_PS4_lPiSA_PS2_21rocsparse_index_base_20rocsparse_fill_mode_20rocsparse_diag_type_b ; -- Begin function _ZN9rocsparseL5csrsmILj128ELj64ELb0ElifEEv20rocsparse_operation_T3_S2_NS_24const_host_device_scalarIT4_EEPKT2_PKS2_PKS4_PS4_lPiSA_PS2_21rocsparse_index_base_20rocsparse_fill_mode_20rocsparse_diag_type_b
	.p2align	8
	.type	_ZN9rocsparseL5csrsmILj128ELj64ELb0ElifEEv20rocsparse_operation_T3_S2_NS_24const_host_device_scalarIT4_EEPKT2_PKS2_PKS4_PS4_lPiSA_PS2_21rocsparse_index_base_20rocsparse_fill_mode_20rocsparse_diag_type_b,@function
_ZN9rocsparseL5csrsmILj128ELj64ELb0ElifEEv20rocsparse_operation_T3_S2_NS_24const_host_device_scalarIT4_EEPKT2_PKS2_PKS4_PS4_lPiSA_PS2_21rocsparse_index_base_20rocsparse_fill_mode_20rocsparse_diag_type_b: ; @_ZN9rocsparseL5csrsmILj128ELj64ELb0ElifEEv20rocsparse_operation_T3_S2_NS_24const_host_device_scalarIT4_EEPKT2_PKS2_PKS4_PS4_lPiSA_PS2_21rocsparse_index_base_20rocsparse_fill_mode_20rocsparse_diag_type_b
; %bb.0:
	s_clause 0x3
	s_load_b128 s[4:7], s[0:1], 0x58
	s_load_b64 s[2:3], s[0:1], 0x48
	s_load_b128 s[16:19], s[0:1], 0x10
	s_load_b64 s[22:23], s[0:1], 0x30
	s_waitcnt lgkmcnt(0)
	s_bitcmp1_b32 s7, 0
	s_cselect_b32 s7, -1, 0
	s_delay_alu instid0(SALU_CYCLE_1)
	s_and_b32 vcc_lo, exec_lo, s7
	s_cbranch_vccnz .LBB47_2
; %bb.1:
	s_load_b32 s16, s[16:17], 0x0
.LBB47_2:
	s_load_b64 s[24:25], s[0:1], 0x4
	v_mov_b32_e32 v5, 0
	s_waitcnt lgkmcnt(0)
	v_cvt_f32_u32_e32 v1, s24
	s_sub_i32 s8, 0, s24
	s_delay_alu instid0(VALU_DEP_1) | instskip(SKIP_2) | instid1(VALU_DEP_1)
	v_rcp_iflag_f32_e32 v1, v1
	s_waitcnt_depctr 0xfff
	v_mul_f32_e32 v1, 0x4f7ffffe, v1
	v_cvt_u32_f32_e32 v1, v1
	s_delay_alu instid0(VALU_DEP_1) | instskip(NEXT) | instid1(VALU_DEP_1)
	v_readfirstlane_b32 s7, v1
	s_mul_i32 s8, s8, s7
	s_delay_alu instid0(SALU_CYCLE_1) | instskip(NEXT) | instid1(SALU_CYCLE_1)
	s_mul_hi_u32 s8, s7, s8
	s_add_i32 s7, s7, s8
	s_delay_alu instid0(SALU_CYCLE_1) | instskip(NEXT) | instid1(SALU_CYCLE_1)
	s_mul_hi_u32 s7, s15, s7
	s_mul_i32 s8, s7, s24
	s_add_i32 s9, s7, 1
	s_sub_i32 s8, s15, s8
	s_delay_alu instid0(SALU_CYCLE_1)
	s_sub_i32 s10, s8, s24
	s_cmp_ge_u32 s8, s24
	s_cselect_b32 s7, s9, s7
	s_cselect_b32 s8, s10, s8
	s_add_i32 s9, s7, 1
	s_cmp_ge_u32 s8, s24
	s_cselect_b32 s17, s9, s7
	s_delay_alu instid0(SALU_CYCLE_1) | instskip(SKIP_2) | instid1(SALU_CYCLE_1)
	s_mul_i32 s7, s17, s24
	v_lshl_or_b32 v1, s17, 7, v0
	s_sub_i32 s8, s15, s7
	s_ashr_i32 s9, s8, 31
	s_delay_alu instid0(VALU_DEP_1) | instskip(SKIP_1) | instid1(SALU_CYCLE_1)
	v_ashrrev_i32_e32 v2, 31, v1
	s_lshl_b64 s[8:9], s[8:9], 2
	s_add_u32 s2, s2, s8
	s_addc_u32 s3, s3, s9
	s_load_b32 s20, s[2:3], 0x0
	s_load_b128 s[8:11], s[0:1], 0x38
	s_waitcnt lgkmcnt(0)
	s_ashr_i32 s21, s20, 31
	s_delay_alu instid0(SALU_CYCLE_1)
	s_lshl_b64 s[2:3], s[20:21], 3
	s_mul_i32 s17, s21, s8
	s_add_u32 s2, s18, s2
	s_addc_u32 s3, s19, s3
	s_mul_i32 s18, s20, s8
	s_load_b128 s[12:15], s[2:3], 0x0
	s_mul_i32 s2, s20, s9
	s_mul_hi_u32 s3, s20, s8
	s_delay_alu instid0(SALU_CYCLE_1) | instskip(SKIP_2) | instid1(VALU_DEP_1)
	s_add_i32 s3, s3, s2
	v_cmp_gt_i32_e64 s2, s25, v1
	s_add_i32 s19, s3, s17
	s_and_saveexec_b32 s3, s2
	s_cbranch_execz .LBB47_4
; %bb.3:
	v_add_co_u32 v3, vcc_lo, s18, v1
	v_add_co_ci_u32_e32 v4, vcc_lo, s19, v2, vcc_lo
	s_delay_alu instid0(VALU_DEP_1) | instskip(NEXT) | instid1(VALU_DEP_1)
	v_lshlrev_b64 v[3:4], 2, v[3:4]
	v_add_co_u32 v3, vcc_lo, s22, v3
	s_delay_alu instid0(VALU_DEP_2)
	v_add_co_ci_u32_e32 v4, vcc_lo, s23, v4, vcc_lo
	global_load_b32 v3, v[3:4], off
	s_waitcnt vmcnt(0)
	v_mul_f32_e32 v5, s16, v3
.LBB47_4:
	s_or_b32 exec_lo, exec_lo, s3
	v_lshlrev_b64 v[2:3], 2, v[1:2]
	s_waitcnt lgkmcnt(0)
	v_cmp_ge_i64_e64 s3, s[12:13], s[14:15]
	v_mov_b32_e32 v13, 1.0
	s_delay_alu instid0(VALU_DEP_3) | instskip(NEXT) | instid1(VALU_DEP_4)
	v_add_co_u32 v2, vcc_lo, s22, v2
	v_add_co_ci_u32_e32 v3, vcc_lo, s23, v3, vcc_lo
	s_delay_alu instid0(VALU_DEP_4)
	s_and_b32 vcc_lo, exec_lo, s3
	v_cmp_eq_u32_e64 s3, 0, v0
	s_cbranch_vccnz .LBB47_42
; %bb.5:
	s_clause 0x1
	s_load_b128 s[28:31], s[0:1], 0x20
	s_load_b64 s[16:17], s[0:1], 0x50
	v_dual_mov_b32 v1, 0 :: v_dual_lshlrev_b32 v4, 2, v0
	s_sub_u32 s12, s12, s4
	s_subb_u32 s13, s13, 0
	s_sub_u32 s14, s14, s4
	s_subb_u32 s15, s15, 0
	s_cmp_lg_u32 s6, 0
	v_cmp_ne_u32_e64 s0, 0, v0
	v_or_b32_e32 v6, 0x200, v4
	s_cselect_b32 s21, -1, 0
	s_add_i32 s26, s20, s4
	v_mov_b32_e32 v11, 1.0
	s_cmp_eq_u32 s6, 0
	s_mov_b64 s[22:23], s[12:13]
	s_waitcnt lgkmcnt(0)
	v_add_co_u32 v7, s1, s28, v4
	s_delay_alu instid0(VALU_DEP_1) | instskip(SKIP_1) | instid1(VALU_DEP_1)
	v_add_co_ci_u32_e64 v8, null, s29, 0, s1
	v_add_co_u32 v9, s1, s30, v4
	v_add_co_ci_u32_e64 v10, null, s31, 0, s1
	s_cselect_b32 s1, -1, 0
	s_branch .LBB47_7
.LBB47_6:                               ;   in Loop: Header=BB47_7 Depth=1
	s_add_u32 s22, s22, 1
	s_addc_u32 s23, s23, 0
	s_delay_alu instid0(SALU_CYCLE_1) | instskip(SKIP_2) | instid1(VALU_DEP_3)
	v_cmp_ge_i64_e64 s13, s[22:23], s[14:15]
	v_mov_b32_e32 v5, v14
	v_mov_b32_e32 v11, v13
	s_and_not1_b32 vcc_lo, exec_lo, s13
	s_cbranch_vccz .LBB47_43
.LBB47_7:                               ; =>This Loop Header: Depth=1
                                        ;     Child Loop BB47_35 Depth 2
	s_sub_i32 s13, s22, s12
	s_delay_alu instid0(SALU_CYCLE_1) | instskip(NEXT) | instid1(SALU_CYCLE_1)
	s_and_b32 s13, s13, 0x7f
	s_cmp_lg_u32 s13, 0
	s_cbranch_scc1 .LBB47_11
; %bb.8:                                ;   in Loop: Header=BB47_7 Depth=1
	s_sub_u32 s24, s14, s22
	s_subb_u32 s25, s15, s23
	v_dual_mov_b32 v13, -1 :: v_dual_mov_b32 v12, -1.0
	v_cmp_gt_i64_e32 vcc_lo, s[24:25], v[0:1]
	s_and_saveexec_b32 s24, vcc_lo
	s_cbranch_execz .LBB47_10
; %bb.9:                                ;   in Loop: Header=BB47_7 Depth=1
	s_lshl_b64 s[28:29], s[22:23], 2
	s_delay_alu instid0(SALU_CYCLE_1)
	v_add_co_u32 v12, vcc_lo, v7, s28
	v_add_co_ci_u32_e32 v13, vcc_lo, s29, v8, vcc_lo
	global_load_b32 v14, v[12:13], off
	v_add_co_u32 v12, vcc_lo, v9, s28
	v_add_co_ci_u32_e32 v13, vcc_lo, s29, v10, vcc_lo
	global_load_b32 v12, v[12:13], off
	s_waitcnt vmcnt(1)
	v_subrev_nc_u32_e32 v13, s4, v14
.LBB47_10:                              ;   in Loop: Header=BB47_7 Depth=1
	s_or_b32 exec_lo, exec_lo, s24
	ds_store_b32 v4, v13
	s_waitcnt vmcnt(0)
	ds_store_b32 v6, v12
.LBB47_11:                              ;   in Loop: Header=BB47_7 Depth=1
	s_lshl_b32 s13, s13, 2
	s_waitcnt lgkmcnt(0)
	v_mov_b32_e32 v12, s13
	s_waitcnt_vscnt null, 0x0
	s_barrier
	buffer_gl0_inv
	ds_load_2addr_stride64_b32 v[12:13], v12 offset1:2
	s_waitcnt lgkmcnt(0)
	v_readfirstlane_b32 s13, v12
	v_cmp_neq_f32_e32 vcc_lo, 0, v13
	s_delay_alu instid0(VALU_DEP_2) | instskip(SKIP_1) | instid1(SALU_CYCLE_1)
	s_cmp_lg_u32 s13, s20
	s_cselect_b32 s24, -1, 0
	s_or_b32 s24, s21, s24
	s_delay_alu instid0(SALU_CYCLE_1) | instskip(SKIP_2) | instid1(SALU_CYCLE_1)
	s_or_b32 vcc_lo, vcc_lo, s24
	v_cndmask_b32_e32 v12, 1.0, v13, vcc_lo
	s_or_b32 s24, s0, vcc_lo
	s_xor_b32 s25, s24, -1
	s_delay_alu instid0(SALU_CYCLE_1)
	s_and_saveexec_b32 s24, s25
	s_cbranch_execz .LBB47_15
; %bb.12:                               ;   in Loop: Header=BB47_7 Depth=1
	v_mbcnt_lo_u32_b32 v12, exec_lo, 0
	s_mov_b32 s25, exec_lo
	s_delay_alu instid0(VALU_DEP_1)
	v_cmpx_eq_u32_e32 0, v12
	s_cbranch_execz .LBB47_14
; %bb.13:                               ;   in Loop: Header=BB47_7 Depth=1
	v_mov_b32_e32 v12, s26
	global_atomic_min_i32 v1, v12, s[16:17]
.LBB47_14:                              ;   in Loop: Header=BB47_7 Depth=1
	s_or_b32 exec_lo, exec_lo, s25
	v_mov_b32_e32 v12, 1.0
.LBB47_15:                              ;   in Loop: Header=BB47_7 Depth=1
	s_or_b32 exec_lo, exec_lo, s24
	s_cmp_lt_i32 s5, 1
	s_mov_b32 s24, 0
	s_cbranch_scc1 .LBB47_20
; %bb.16:                               ;   in Loop: Header=BB47_7 Depth=1
	s_cmp_eq_u32 s5, 1
	s_cbranch_scc0 .LBB47_21
; %bb.17:                               ;   in Loop: Header=BB47_7 Depth=1
	v_mov_b32_e32 v13, v11
	s_cmp_ge_i32 s13, s20
	s_mov_b32 s25, 0
	s_cbranch_scc0 .LBB47_23
; %bb.18:                               ;   in Loop: Header=BB47_7 Depth=1
	s_cmp_eq_u32 s13, s20
	s_cbranch_scc0 .LBB47_22
; %bb.19:                               ;   in Loop: Header=BB47_7 Depth=1
	v_div_scale_f32 v13, null, v12, v12, 1.0
	s_delay_alu instid0(VALU_DEP_1) | instskip(SKIP_2) | instid1(VALU_DEP_1)
	v_rcp_f32_e32 v14, v13
	s_waitcnt_depctr 0xfff
	v_fma_f32 v15, -v13, v14, 1.0
	v_fmac_f32_e32 v14, v15, v14
	v_div_scale_f32 v15, vcc_lo, 1.0, v12, 1.0
	s_delay_alu instid0(VALU_DEP_1) | instskip(NEXT) | instid1(VALU_DEP_1)
	v_mul_f32_e32 v16, v15, v14
	v_fma_f32 v17, -v13, v16, v15
	s_delay_alu instid0(VALU_DEP_1) | instskip(NEXT) | instid1(VALU_DEP_1)
	v_fmac_f32_e32 v16, v17, v14
	v_fma_f32 v13, -v13, v16, v15
	s_delay_alu instid0(VALU_DEP_1) | instskip(NEXT) | instid1(VALU_DEP_1)
	v_div_fmas_f32 v13, v13, v14, v16
	v_div_fixup_f32 v13, v13, v12, 1.0
	s_delay_alu instid0(VALU_DEP_1)
	v_cndmask_b32_e64 v13, v11, v13, s1
	s_branch .LBB47_23
.LBB47_20:                              ;   in Loop: Header=BB47_7 Depth=1
	s_mov_b32 s25, 0
                                        ; implicit-def: $vgpr14
                                        ; implicit-def: $vgpr13
                                        ; implicit-def: $sgpr27
	s_cbranch_execnz .LBB47_24
	s_branch .LBB47_26
.LBB47_21:                              ;   in Loop: Header=BB47_7 Depth=1
	s_mov_b32 s25, -1
                                        ; implicit-def: $vgpr14
                                        ; implicit-def: $vgpr13
                                        ; implicit-def: $sgpr27
	s_branch .LBB47_26
.LBB47_22:                              ;   in Loop: Header=BB47_7 Depth=1
	s_mov_b32 s25, -1
                                        ; implicit-def: $vgpr13
.LBB47_23:                              ;   in Loop: Header=BB47_7 Depth=1
	v_mov_b32_e32 v14, v5
	s_mov_b32 s27, 4
	s_branch .LBB47_26
.LBB47_24:                              ;   in Loop: Header=BB47_7 Depth=1
	s_cmp_eq_u32 s5, 0
	s_cbranch_scc1 .LBB47_30
; %bb.25:                               ;   in Loop: Header=BB47_7 Depth=1
	s_mov_b32 s25, -1
                                        ; implicit-def: $vgpr14
                                        ; implicit-def: $vgpr13
                                        ; implicit-def: $sgpr27
.LBB47_26:                              ;   in Loop: Header=BB47_7 Depth=1
	s_delay_alu instid0(SALU_CYCLE_1)
	s_and_b32 vcc_lo, exec_lo, s25
	s_cbranch_vccnz .LBB47_33
.LBB47_27:                              ;   in Loop: Header=BB47_7 Depth=1
	s_and_b32 vcc_lo, exec_lo, s24
	s_cbranch_vccnz .LBB47_39
.LBB47_28:                              ;   in Loop: Header=BB47_7 Depth=1
	s_cmp_gt_i32 s27, 3
	s_mov_b32 s13, -1
	s_cbranch_scc1 .LBB47_40
.LBB47_29:                              ;   in Loop: Header=BB47_7 Depth=1
	s_cmp_eq_u32 s27, 0
	s_cselect_b32 s24, -1, 0
	s_delay_alu instid0(SALU_CYCLE_1)
	s_and_not1_b32 vcc_lo, exec_lo, s24
	s_cbranch_vccz .LBB47_6
	s_branch .LBB47_41
.LBB47_30:                              ;   in Loop: Header=BB47_7 Depth=1
	s_cmp_le_i32 s13, s20
	s_mov_b32 s25, 0
	s_cbranch_scc0 .LBB47_32
; %bb.31:                               ;   in Loop: Header=BB47_7 Depth=1
	s_cmp_lg_u32 s13, s20
	s_mov_b32 s24, -1
	s_cselect_b32 s25, -1, 0
.LBB47_32:                              ;   in Loop: Header=BB47_7 Depth=1
	v_dual_mov_b32 v14, v5 :: v_dual_mov_b32 v13, v11
	s_mov_b32 s27, 2
	s_and_b32 vcc_lo, exec_lo, s25
	s_cbranch_vccz .LBB47_27
.LBB47_33:                              ;   in Loop: Header=BB47_7 Depth=1
	s_and_saveexec_b32 s27, s3
	s_cbranch_execz .LBB47_36
; %bb.34:                               ;   in Loop: Header=BB47_7 Depth=1
	s_add_i32 s24, s13, s7
	s_delay_alu instid0(SALU_CYCLE_1) | instskip(NEXT) | instid1(SALU_CYCLE_1)
	s_ashr_i32 s25, s24, 31
	s_lshl_b64 s[24:25], s[24:25], 2
	s_delay_alu instid0(SALU_CYCLE_1)
	s_add_u32 s24, s10, s24
	s_addc_u32 s25, s11, s25
	global_load_b32 v13, v1, s[24:25] glc
	s_waitcnt vmcnt(0)
	v_cmp_ne_u32_e32 vcc_lo, 0, v13
	s_cbranch_vccnz .LBB47_36
.LBB47_35:                              ;   Parent Loop BB47_7 Depth=1
                                        ; =>  This Inner Loop Header: Depth=2
	global_load_b32 v13, v1, s[24:25] glc
	s_waitcnt vmcnt(0)
	v_cmp_eq_u32_e32 vcc_lo, 0, v13
	s_cbranch_vccnz .LBB47_35
.LBB47_36:                              ;   in Loop: Header=BB47_7 Depth=1
	s_or_b32 exec_lo, exec_lo, s27
	v_mov_b32_e32 v14, 0
	s_waitcnt_vscnt null, 0x0
	s_barrier
	buffer_gl0_inv
	buffer_gl1_inv
	buffer_gl0_inv
	s_and_saveexec_b32 s24, s2
	s_cbranch_execz .LBB47_38
; %bb.37:                               ;   in Loop: Header=BB47_7 Depth=1
	s_mul_i32 s25, s13, s9
	s_mul_hi_u32 s27, s13, s8
	s_ashr_i32 s28, s13, 31
	s_add_i32 s25, s27, s25
	s_mul_i32 s28, s28, s8
	s_delay_alu instid0(SALU_CYCLE_1) | instskip(SKIP_1) | instid1(SALU_CYCLE_1)
	s_add_i32 s29, s25, s28
	s_mul_i32 s28, s13, s8
	s_lshl_b64 s[28:29], s[28:29], 2
	s_delay_alu instid0(SALU_CYCLE_1)
	v_add_co_u32 v13, vcc_lo, v2, s28
	v_add_co_ci_u32_e32 v14, vcc_lo, s29, v3, vcc_lo
	global_load_b32 v13, v[13:14], off
	s_waitcnt vmcnt(0)
	v_fma_f32 v14, -v12, v13, v5
.LBB47_38:                              ;   in Loop: Header=BB47_7 Depth=1
	s_or_b32 exec_lo, exec_lo, s24
	v_mov_b32_e32 v13, v11
	s_mov_b32 s27, 0
	s_branch .LBB47_28
.LBB47_39:                              ;   in Loop: Header=BB47_7 Depth=1
	v_div_scale_f32 v13, null, v12, v12, 1.0
	v_div_scale_f32 v16, vcc_lo, 1.0, v12, 1.0
	s_mov_b32 s27, 2
	s_delay_alu instid0(VALU_DEP_2) | instskip(SKIP_2) | instid1(VALU_DEP_1)
	v_rcp_f32_e32 v14, v13
	s_waitcnt_depctr 0xfff
	v_fma_f32 v15, -v13, v14, 1.0
	v_fmac_f32_e32 v14, v15, v14
	s_delay_alu instid0(VALU_DEP_1) | instskip(NEXT) | instid1(VALU_DEP_1)
	v_mul_f32_e32 v15, v16, v14
	v_fma_f32 v17, -v13, v15, v16
	s_delay_alu instid0(VALU_DEP_1) | instskip(NEXT) | instid1(VALU_DEP_1)
	v_fmac_f32_e32 v15, v17, v14
	v_fma_f32 v13, -v13, v15, v16
	s_delay_alu instid0(VALU_DEP_1) | instskip(SKIP_1) | instid1(VALU_DEP_2)
	v_div_fmas_f32 v13, v13, v14, v15
	v_mov_b32_e32 v14, v5
	v_div_fixup_f32 v12, v13, v12, 1.0
	s_delay_alu instid0(VALU_DEP_1)
	v_cndmask_b32_e64 v13, v11, v12, s1
	s_cmp_gt_i32 s27, 3
	s_mov_b32 s13, -1
	s_cbranch_scc0 .LBB47_29
.LBB47_40:                              ;   in Loop: Header=BB47_7 Depth=1
	s_branch .LBB47_6
.LBB47_41:                              ;   in Loop: Header=BB47_7 Depth=1
                                        ; implicit-def: $sgpr22_sgpr23
	v_mov_b32_e32 v5, v14
	v_mov_b32_e32 v11, v13
	s_and_not1_b32 vcc_lo, exec_lo, s13
	s_cbranch_vccnz .LBB47_7
	s_branch .LBB47_43
.LBB47_42:
	v_mov_b32_e32 v14, v5
.LBB47_43:
	s_and_saveexec_b32 s0, s2
	s_cbranch_execz .LBB47_45
; %bb.44:
	s_delay_alu instid0(VALU_DEP_1) | instskip(SKIP_3) | instid1(VALU_DEP_1)
	v_mul_f32_e32 v1, v13, v14
	s_cmp_eq_u32 s6, 0
	s_cselect_b32 vcc_lo, -1, 0
	s_lshl_b64 s[2:3], s[18:19], 2
	v_cndmask_b32_e32 v4, v14, v1, vcc_lo
	v_add_co_u32 v1, vcc_lo, v2, s2
	v_add_co_ci_u32_e32 v2, vcc_lo, s3, v3, vcc_lo
	global_store_b32 v[1:2], v4, off
.LBB47_45:
	s_or_b32 exec_lo, exec_lo, s0
	s_waitcnt_vscnt null, 0x0
	buffer_gl1_inv
	buffer_gl0_inv
	s_barrier
	buffer_gl0_inv
	s_mov_b32 s0, exec_lo
	v_cmpx_eq_u32_e32 0, v0
	s_cbranch_execz .LBB47_47
; %bb.46:
	s_add_i32 s0, s20, s7
	v_dual_mov_b32 v0, 0 :: v_dual_mov_b32 v1, 1
	s_ashr_i32 s1, s0, 31
	s_delay_alu instid0(SALU_CYCLE_1) | instskip(NEXT) | instid1(SALU_CYCLE_1)
	s_lshl_b64 s[0:1], s[0:1], 2
	s_add_u32 s0, s10, s0
	s_addc_u32 s1, s11, s1
	global_store_b32 v0, v1, s[0:1]
.LBB47_47:
	s_nop 0
	s_sendmsg sendmsg(MSG_DEALLOC_VGPRS)
	s_endpgm
	.section	.rodata,"a",@progbits
	.p2align	6, 0x0
	.amdhsa_kernel _ZN9rocsparseL5csrsmILj128ELj64ELb0ElifEEv20rocsparse_operation_T3_S2_NS_24const_host_device_scalarIT4_EEPKT2_PKS2_PKS4_PS4_lPiSA_PS2_21rocsparse_index_base_20rocsparse_fill_mode_20rocsparse_diag_type_b
		.amdhsa_group_segment_fixed_size 1024
		.amdhsa_private_segment_fixed_size 0
		.amdhsa_kernarg_size 104
		.amdhsa_user_sgpr_count 15
		.amdhsa_user_sgpr_dispatch_ptr 0
		.amdhsa_user_sgpr_queue_ptr 0
		.amdhsa_user_sgpr_kernarg_segment_ptr 1
		.amdhsa_user_sgpr_dispatch_id 0
		.amdhsa_user_sgpr_private_segment_size 0
		.amdhsa_wavefront_size32 1
		.amdhsa_uses_dynamic_stack 0
		.amdhsa_enable_private_segment 0
		.amdhsa_system_sgpr_workgroup_id_x 1
		.amdhsa_system_sgpr_workgroup_id_y 0
		.amdhsa_system_sgpr_workgroup_id_z 0
		.amdhsa_system_sgpr_workgroup_info 0
		.amdhsa_system_vgpr_workitem_id 0
		.amdhsa_next_free_vgpr 18
		.amdhsa_next_free_sgpr 32
		.amdhsa_reserve_vcc 1
		.amdhsa_float_round_mode_32 0
		.amdhsa_float_round_mode_16_64 0
		.amdhsa_float_denorm_mode_32 3
		.amdhsa_float_denorm_mode_16_64 3
		.amdhsa_dx10_clamp 1
		.amdhsa_ieee_mode 1
		.amdhsa_fp16_overflow 0
		.amdhsa_workgroup_processor_mode 1
		.amdhsa_memory_ordered 1
		.amdhsa_forward_progress 0
		.amdhsa_shared_vgpr_count 0
		.amdhsa_exception_fp_ieee_invalid_op 0
		.amdhsa_exception_fp_denorm_src 0
		.amdhsa_exception_fp_ieee_div_zero 0
		.amdhsa_exception_fp_ieee_overflow 0
		.amdhsa_exception_fp_ieee_underflow 0
		.amdhsa_exception_fp_ieee_inexact 0
		.amdhsa_exception_int_div_zero 0
	.end_amdhsa_kernel
	.section	.text._ZN9rocsparseL5csrsmILj128ELj64ELb0ElifEEv20rocsparse_operation_T3_S2_NS_24const_host_device_scalarIT4_EEPKT2_PKS2_PKS4_PS4_lPiSA_PS2_21rocsparse_index_base_20rocsparse_fill_mode_20rocsparse_diag_type_b,"axG",@progbits,_ZN9rocsparseL5csrsmILj128ELj64ELb0ElifEEv20rocsparse_operation_T3_S2_NS_24const_host_device_scalarIT4_EEPKT2_PKS2_PKS4_PS4_lPiSA_PS2_21rocsparse_index_base_20rocsparse_fill_mode_20rocsparse_diag_type_b,comdat
.Lfunc_end47:
	.size	_ZN9rocsparseL5csrsmILj128ELj64ELb0ElifEEv20rocsparse_operation_T3_S2_NS_24const_host_device_scalarIT4_EEPKT2_PKS2_PKS4_PS4_lPiSA_PS2_21rocsparse_index_base_20rocsparse_fill_mode_20rocsparse_diag_type_b, .Lfunc_end47-_ZN9rocsparseL5csrsmILj128ELj64ELb0ElifEEv20rocsparse_operation_T3_S2_NS_24const_host_device_scalarIT4_EEPKT2_PKS2_PKS4_PS4_lPiSA_PS2_21rocsparse_index_base_20rocsparse_fill_mode_20rocsparse_diag_type_b
                                        ; -- End function
	.section	.AMDGPU.csdata,"",@progbits
; Kernel info:
; codeLenInByte = 1708
; NumSgprs: 34
; NumVgprs: 18
; ScratchSize: 0
; MemoryBound: 0
; FloatMode: 240
; IeeeMode: 1
; LDSByteSize: 1024 bytes/workgroup (compile time only)
; SGPRBlocks: 4
; VGPRBlocks: 2
; NumSGPRsForWavesPerEU: 34
; NumVGPRsForWavesPerEU: 18
; Occupancy: 16
; WaveLimiterHint : 1
; COMPUTE_PGM_RSRC2:SCRATCH_EN: 0
; COMPUTE_PGM_RSRC2:USER_SGPR: 15
; COMPUTE_PGM_RSRC2:TRAP_HANDLER: 0
; COMPUTE_PGM_RSRC2:TGID_X_EN: 1
; COMPUTE_PGM_RSRC2:TGID_Y_EN: 0
; COMPUTE_PGM_RSRC2:TGID_Z_EN: 0
; COMPUTE_PGM_RSRC2:TIDIG_COMP_CNT: 0
	.section	.text._ZN9rocsparseL5csrsmILj256ELj64ELb1ElifEEv20rocsparse_operation_T3_S2_NS_24const_host_device_scalarIT4_EEPKT2_PKS2_PKS4_PS4_lPiSA_PS2_21rocsparse_index_base_20rocsparse_fill_mode_20rocsparse_diag_type_b,"axG",@progbits,_ZN9rocsparseL5csrsmILj256ELj64ELb1ElifEEv20rocsparse_operation_T3_S2_NS_24const_host_device_scalarIT4_EEPKT2_PKS2_PKS4_PS4_lPiSA_PS2_21rocsparse_index_base_20rocsparse_fill_mode_20rocsparse_diag_type_b,comdat
	.globl	_ZN9rocsparseL5csrsmILj256ELj64ELb1ElifEEv20rocsparse_operation_T3_S2_NS_24const_host_device_scalarIT4_EEPKT2_PKS2_PKS4_PS4_lPiSA_PS2_21rocsparse_index_base_20rocsparse_fill_mode_20rocsparse_diag_type_b ; -- Begin function _ZN9rocsparseL5csrsmILj256ELj64ELb1ElifEEv20rocsparse_operation_T3_S2_NS_24const_host_device_scalarIT4_EEPKT2_PKS2_PKS4_PS4_lPiSA_PS2_21rocsparse_index_base_20rocsparse_fill_mode_20rocsparse_diag_type_b
	.p2align	8
	.type	_ZN9rocsparseL5csrsmILj256ELj64ELb1ElifEEv20rocsparse_operation_T3_S2_NS_24const_host_device_scalarIT4_EEPKT2_PKS2_PKS4_PS4_lPiSA_PS2_21rocsparse_index_base_20rocsparse_fill_mode_20rocsparse_diag_type_b,@function
_ZN9rocsparseL5csrsmILj256ELj64ELb1ElifEEv20rocsparse_operation_T3_S2_NS_24const_host_device_scalarIT4_EEPKT2_PKS2_PKS4_PS4_lPiSA_PS2_21rocsparse_index_base_20rocsparse_fill_mode_20rocsparse_diag_type_b: ; @_ZN9rocsparseL5csrsmILj256ELj64ELb1ElifEEv20rocsparse_operation_T3_S2_NS_24const_host_device_scalarIT4_EEPKT2_PKS2_PKS4_PS4_lPiSA_PS2_21rocsparse_index_base_20rocsparse_fill_mode_20rocsparse_diag_type_b
; %bb.0:
	s_clause 0x3
	s_load_b128 s[4:7], s[0:1], 0x58
	s_load_b64 s[2:3], s[0:1], 0x48
	s_load_b128 s[16:19], s[0:1], 0x10
	s_load_b64 s[22:23], s[0:1], 0x30
	s_waitcnt lgkmcnt(0)
	s_bitcmp1_b32 s7, 0
	s_cselect_b32 s7, -1, 0
	s_delay_alu instid0(SALU_CYCLE_1)
	s_and_b32 vcc_lo, exec_lo, s7
	s_cbranch_vccnz .LBB48_2
; %bb.1:
	s_load_b32 s16, s[16:17], 0x0
.LBB48_2:
	s_load_b64 s[24:25], s[0:1], 0x4
	v_mov_b32_e32 v5, 0
	s_waitcnt lgkmcnt(0)
	v_cvt_f32_u32_e32 v1, s24
	s_sub_i32 s8, 0, s24
	s_delay_alu instid0(VALU_DEP_1) | instskip(SKIP_2) | instid1(VALU_DEP_1)
	v_rcp_iflag_f32_e32 v1, v1
	s_waitcnt_depctr 0xfff
	v_mul_f32_e32 v1, 0x4f7ffffe, v1
	v_cvt_u32_f32_e32 v1, v1
	s_delay_alu instid0(VALU_DEP_1) | instskip(NEXT) | instid1(VALU_DEP_1)
	v_readfirstlane_b32 s7, v1
	s_mul_i32 s8, s8, s7
	s_delay_alu instid0(SALU_CYCLE_1) | instskip(NEXT) | instid1(SALU_CYCLE_1)
	s_mul_hi_u32 s8, s7, s8
	s_add_i32 s7, s7, s8
	s_delay_alu instid0(SALU_CYCLE_1) | instskip(NEXT) | instid1(SALU_CYCLE_1)
	s_mul_hi_u32 s7, s15, s7
	s_mul_i32 s8, s7, s24
	s_add_i32 s9, s7, 1
	s_sub_i32 s8, s15, s8
	s_delay_alu instid0(SALU_CYCLE_1)
	s_sub_i32 s10, s8, s24
	s_cmp_ge_u32 s8, s24
	s_cselect_b32 s7, s9, s7
	s_cselect_b32 s8, s10, s8
	s_add_i32 s9, s7, 1
	s_cmp_ge_u32 s8, s24
	s_cselect_b32 s17, s9, s7
	s_delay_alu instid0(SALU_CYCLE_1) | instskip(SKIP_2) | instid1(SALU_CYCLE_1)
	s_mul_i32 s7, s17, s24
	v_lshl_or_b32 v1, s17, 8, v0
	s_sub_i32 s8, s15, s7
	s_ashr_i32 s9, s8, 31
	s_delay_alu instid0(VALU_DEP_1) | instskip(SKIP_1) | instid1(SALU_CYCLE_1)
	v_ashrrev_i32_e32 v2, 31, v1
	s_lshl_b64 s[8:9], s[8:9], 2
	s_add_u32 s2, s2, s8
	s_addc_u32 s3, s3, s9
	s_load_b32 s20, s[2:3], 0x0
	s_load_b128 s[8:11], s[0:1], 0x38
	s_waitcnt lgkmcnt(0)
	s_ashr_i32 s21, s20, 31
	s_delay_alu instid0(SALU_CYCLE_1)
	s_lshl_b64 s[2:3], s[20:21], 3
	s_mul_i32 s17, s21, s8
	s_add_u32 s2, s18, s2
	s_addc_u32 s3, s19, s3
	s_mul_i32 s18, s20, s8
	s_load_b128 s[12:15], s[2:3], 0x0
	s_mul_i32 s2, s20, s9
	s_mul_hi_u32 s3, s20, s8
	s_delay_alu instid0(SALU_CYCLE_1) | instskip(SKIP_2) | instid1(VALU_DEP_1)
	s_add_i32 s3, s3, s2
	v_cmp_gt_i32_e64 s2, s25, v1
	s_add_i32 s19, s3, s17
	s_and_saveexec_b32 s3, s2
	s_cbranch_execz .LBB48_4
; %bb.3:
	v_add_co_u32 v3, vcc_lo, s18, v1
	v_add_co_ci_u32_e32 v4, vcc_lo, s19, v2, vcc_lo
	s_delay_alu instid0(VALU_DEP_1) | instskip(NEXT) | instid1(VALU_DEP_1)
	v_lshlrev_b64 v[3:4], 2, v[3:4]
	v_add_co_u32 v3, vcc_lo, s22, v3
	s_delay_alu instid0(VALU_DEP_2)
	v_add_co_ci_u32_e32 v4, vcc_lo, s23, v4, vcc_lo
	global_load_b32 v3, v[3:4], off
	s_waitcnt vmcnt(0)
	v_mul_f32_e32 v5, s16, v3
.LBB48_4:
	s_or_b32 exec_lo, exec_lo, s3
	v_lshlrev_b64 v[2:3], 2, v[1:2]
	s_waitcnt lgkmcnt(0)
	v_cmp_ge_i64_e64 s3, s[12:13], s[14:15]
	v_mov_b32_e32 v13, 1.0
	s_delay_alu instid0(VALU_DEP_3) | instskip(NEXT) | instid1(VALU_DEP_4)
	v_add_co_u32 v2, vcc_lo, s22, v2
	v_add_co_ci_u32_e32 v3, vcc_lo, s23, v3, vcc_lo
	s_delay_alu instid0(VALU_DEP_4)
	s_and_b32 vcc_lo, exec_lo, s3
	v_cmp_eq_u32_e64 s3, 0, v0
	s_cbranch_vccnz .LBB48_45
; %bb.5:
	s_clause 0x1
	s_load_b128 s[28:31], s[0:1], 0x20
	s_load_b64 s[16:17], s[0:1], 0x50
	v_dual_mov_b32 v1, 0 :: v_dual_lshlrev_b32 v4, 2, v0
	s_sub_u32 s12, s12, s4
	s_subb_u32 s13, s13, 0
	s_sub_u32 s14, s14, s4
	s_subb_u32 s15, s15, 0
	s_cmp_lg_u32 s6, 0
	v_cmp_ne_u32_e64 s0, 0, v0
	v_or_b32_e32 v6, 0x400, v4
	s_cselect_b32 s21, -1, 0
	s_add_i32 s26, s20, s4
	v_mov_b32_e32 v11, 1.0
	s_cmp_eq_u32 s6, 0
	s_mov_b64 s[22:23], s[12:13]
	s_waitcnt lgkmcnt(0)
	v_add_co_u32 v7, s1, s28, v4
	s_delay_alu instid0(VALU_DEP_1) | instskip(SKIP_1) | instid1(VALU_DEP_1)
	v_add_co_ci_u32_e64 v8, null, s29, 0, s1
	v_add_co_u32 v9, s1, s30, v4
	v_add_co_ci_u32_e64 v10, null, s31, 0, s1
	s_cselect_b32 s1, -1, 0
	s_branch .LBB48_7
.LBB48_6:                               ;   in Loop: Header=BB48_7 Depth=1
	s_add_u32 s22, s22, 1
	s_addc_u32 s23, s23, 0
	s_delay_alu instid0(SALU_CYCLE_1) | instskip(SKIP_2) | instid1(VALU_DEP_3)
	v_cmp_ge_i64_e64 s13, s[22:23], s[14:15]
	v_mov_b32_e32 v5, v14
	v_mov_b32_e32 v11, v13
	s_and_not1_b32 vcc_lo, exec_lo, s13
	s_cbranch_vccz .LBB48_46
.LBB48_7:                               ; =>This Loop Header: Depth=1
                                        ;     Child Loop BB48_43 Depth 2
                                        ;       Child Loop BB48_44 Depth 3
	s_sub_i32 s13, s22, s12
	s_delay_alu instid0(SALU_CYCLE_1) | instskip(NEXT) | instid1(SALU_CYCLE_1)
	s_and_b32 s13, s13, 0xff
	s_cmp_lg_u32 s13, 0
	s_cbranch_scc1 .LBB48_11
; %bb.8:                                ;   in Loop: Header=BB48_7 Depth=1
	s_sub_u32 s24, s14, s22
	s_subb_u32 s25, s15, s23
	v_dual_mov_b32 v13, -1 :: v_dual_mov_b32 v12, -1.0
	v_cmp_gt_i64_e32 vcc_lo, s[24:25], v[0:1]
	s_and_saveexec_b32 s24, vcc_lo
	s_cbranch_execz .LBB48_10
; %bb.9:                                ;   in Loop: Header=BB48_7 Depth=1
	s_lshl_b64 s[28:29], s[22:23], 2
	s_delay_alu instid0(SALU_CYCLE_1)
	v_add_co_u32 v12, vcc_lo, v7, s28
	v_add_co_ci_u32_e32 v13, vcc_lo, s29, v8, vcc_lo
	global_load_b32 v14, v[12:13], off
	v_add_co_u32 v12, vcc_lo, v9, s28
	v_add_co_ci_u32_e32 v13, vcc_lo, s29, v10, vcc_lo
	global_load_b32 v12, v[12:13], off
	s_waitcnt vmcnt(1)
	v_subrev_nc_u32_e32 v13, s4, v14
.LBB48_10:                              ;   in Loop: Header=BB48_7 Depth=1
	s_or_b32 exec_lo, exec_lo, s24
	ds_store_b32 v4, v13
	s_waitcnt vmcnt(0)
	ds_store_b32 v6, v12
.LBB48_11:                              ;   in Loop: Header=BB48_7 Depth=1
	s_lshl_b32 s13, s13, 2
	s_waitcnt lgkmcnt(0)
	v_mov_b32_e32 v12, s13
	s_waitcnt_vscnt null, 0x0
	s_barrier
	buffer_gl0_inv
	ds_load_2addr_stride64_b32 v[12:13], v12 offset1:4
	s_waitcnt lgkmcnt(0)
	v_readfirstlane_b32 s13, v12
	v_cmp_neq_f32_e32 vcc_lo, 0, v13
	s_delay_alu instid0(VALU_DEP_2) | instskip(SKIP_1) | instid1(SALU_CYCLE_1)
	s_cmp_lg_u32 s13, s20
	s_cselect_b32 s24, -1, 0
	s_or_b32 s24, s21, s24
	s_delay_alu instid0(SALU_CYCLE_1) | instskip(SKIP_2) | instid1(SALU_CYCLE_1)
	s_or_b32 vcc_lo, vcc_lo, s24
	v_cndmask_b32_e32 v12, 1.0, v13, vcc_lo
	s_or_b32 s24, s0, vcc_lo
	s_xor_b32 s25, s24, -1
	s_delay_alu instid0(SALU_CYCLE_1)
	s_and_saveexec_b32 s24, s25
	s_cbranch_execz .LBB48_15
; %bb.12:                               ;   in Loop: Header=BB48_7 Depth=1
	v_mbcnt_lo_u32_b32 v12, exec_lo, 0
	s_mov_b32 s25, exec_lo
	s_delay_alu instid0(VALU_DEP_1)
	v_cmpx_eq_u32_e32 0, v12
	s_cbranch_execz .LBB48_14
; %bb.13:                               ;   in Loop: Header=BB48_7 Depth=1
	v_mov_b32_e32 v12, s26
	global_atomic_min_i32 v1, v12, s[16:17]
.LBB48_14:                              ;   in Loop: Header=BB48_7 Depth=1
	s_or_b32 exec_lo, exec_lo, s25
	v_mov_b32_e32 v12, 1.0
.LBB48_15:                              ;   in Loop: Header=BB48_7 Depth=1
	s_or_b32 exec_lo, exec_lo, s24
	s_cmp_lt_i32 s5, 1
	s_mov_b32 s24, 0
	s_cbranch_scc1 .LBB48_20
; %bb.16:                               ;   in Loop: Header=BB48_7 Depth=1
	s_cmp_eq_u32 s5, 1
	s_cbranch_scc0 .LBB48_21
; %bb.17:                               ;   in Loop: Header=BB48_7 Depth=1
	v_mov_b32_e32 v13, v11
	s_cmp_ge_i32 s13, s20
	s_mov_b32 s25, 0
	s_cbranch_scc0 .LBB48_23
; %bb.18:                               ;   in Loop: Header=BB48_7 Depth=1
	s_cmp_eq_u32 s13, s20
	s_cbranch_scc0 .LBB48_22
; %bb.19:                               ;   in Loop: Header=BB48_7 Depth=1
	v_div_scale_f32 v13, null, v12, v12, 1.0
	s_delay_alu instid0(VALU_DEP_1) | instskip(SKIP_2) | instid1(VALU_DEP_1)
	v_rcp_f32_e32 v14, v13
	s_waitcnt_depctr 0xfff
	v_fma_f32 v15, -v13, v14, 1.0
	v_fmac_f32_e32 v14, v15, v14
	v_div_scale_f32 v15, vcc_lo, 1.0, v12, 1.0
	s_delay_alu instid0(VALU_DEP_1) | instskip(NEXT) | instid1(VALU_DEP_1)
	v_mul_f32_e32 v16, v15, v14
	v_fma_f32 v17, -v13, v16, v15
	s_delay_alu instid0(VALU_DEP_1) | instskip(NEXT) | instid1(VALU_DEP_1)
	v_fmac_f32_e32 v16, v17, v14
	v_fma_f32 v13, -v13, v16, v15
	s_delay_alu instid0(VALU_DEP_1) | instskip(NEXT) | instid1(VALU_DEP_1)
	v_div_fmas_f32 v13, v13, v14, v16
	v_div_fixup_f32 v13, v13, v12, 1.0
	s_delay_alu instid0(VALU_DEP_1)
	v_cndmask_b32_e64 v13, v11, v13, s1
	s_branch .LBB48_23
.LBB48_20:                              ;   in Loop: Header=BB48_7 Depth=1
	s_mov_b32 s25, 0
                                        ; implicit-def: $vgpr14
                                        ; implicit-def: $vgpr13
                                        ; implicit-def: $sgpr27
	s_cbranch_execnz .LBB48_24
	s_branch .LBB48_26
.LBB48_21:                              ;   in Loop: Header=BB48_7 Depth=1
	s_mov_b32 s25, -1
                                        ; implicit-def: $vgpr14
                                        ; implicit-def: $vgpr13
                                        ; implicit-def: $sgpr27
	s_branch .LBB48_26
.LBB48_22:                              ;   in Loop: Header=BB48_7 Depth=1
	s_mov_b32 s25, -1
                                        ; implicit-def: $vgpr13
.LBB48_23:                              ;   in Loop: Header=BB48_7 Depth=1
	v_mov_b32_e32 v14, v5
	s_mov_b32 s27, 4
	s_branch .LBB48_26
.LBB48_24:                              ;   in Loop: Header=BB48_7 Depth=1
	s_cmp_eq_u32 s5, 0
	s_cbranch_scc1 .LBB48_30
; %bb.25:                               ;   in Loop: Header=BB48_7 Depth=1
	s_mov_b32 s25, -1
                                        ; implicit-def: $vgpr14
                                        ; implicit-def: $vgpr13
                                        ; implicit-def: $sgpr27
.LBB48_26:                              ;   in Loop: Header=BB48_7 Depth=1
	s_delay_alu instid0(SALU_CYCLE_1)
	s_and_b32 vcc_lo, exec_lo, s25
	s_cbranch_vccnz .LBB48_33
.LBB48_27:                              ;   in Loop: Header=BB48_7 Depth=1
	s_and_b32 vcc_lo, exec_lo, s24
	s_cbranch_vccnz .LBB48_38
.LBB48_28:                              ;   in Loop: Header=BB48_7 Depth=1
	s_cmp_gt_i32 s27, 3
	s_mov_b32 s13, -1
	s_cbranch_scc1 .LBB48_39
.LBB48_29:                              ;   in Loop: Header=BB48_7 Depth=1
	s_cmp_eq_u32 s27, 0
	s_cselect_b32 s24, -1, 0
	s_delay_alu instid0(SALU_CYCLE_1)
	s_and_not1_b32 vcc_lo, exec_lo, s24
	s_cbranch_vccz .LBB48_6
	s_branch .LBB48_40
.LBB48_30:                              ;   in Loop: Header=BB48_7 Depth=1
	s_cmp_le_i32 s13, s20
	s_mov_b32 s25, 0
	s_cbranch_scc0 .LBB48_32
; %bb.31:                               ;   in Loop: Header=BB48_7 Depth=1
	s_cmp_lg_u32 s13, s20
	s_mov_b32 s24, -1
	s_cselect_b32 s25, -1, 0
.LBB48_32:                              ;   in Loop: Header=BB48_7 Depth=1
	v_dual_mov_b32 v14, v5 :: v_dual_mov_b32 v13, v11
	s_mov_b32 s27, 2
	s_and_b32 vcc_lo, exec_lo, s25
	s_cbranch_vccz .LBB48_27
.LBB48_33:                              ;   in Loop: Header=BB48_7 Depth=1
	s_and_saveexec_b32 s27, s3
	s_cbranch_execz .LBB48_35
; %bb.34:                               ;   in Loop: Header=BB48_7 Depth=1
	s_add_i32 s24, s13, s7
	s_delay_alu instid0(SALU_CYCLE_1) | instskip(NEXT) | instid1(SALU_CYCLE_1)
	s_ashr_i32 s25, s24, 31
	s_lshl_b64 s[24:25], s[24:25], 2
	s_delay_alu instid0(SALU_CYCLE_1)
	s_add_u32 s24, s10, s24
	s_addc_u32 s25, s11, s25
	global_load_b32 v13, v1, s[24:25] glc
	s_waitcnt vmcnt(0)
	v_cmp_ne_u32_e32 vcc_lo, 0, v13
	s_cbranch_vccz .LBB48_41
.LBB48_35:                              ;   in Loop: Header=BB48_7 Depth=1
	s_or_b32 exec_lo, exec_lo, s27
	v_mov_b32_e32 v14, 0
	s_waitcnt_vscnt null, 0x0
	s_barrier
	buffer_gl0_inv
	buffer_gl1_inv
	buffer_gl0_inv
	s_and_saveexec_b32 s24, s2
	s_cbranch_execz .LBB48_37
; %bb.36:                               ;   in Loop: Header=BB48_7 Depth=1
	s_mul_i32 s25, s13, s9
	s_mul_hi_u32 s27, s13, s8
	s_ashr_i32 s28, s13, 31
	s_add_i32 s25, s27, s25
	s_mul_i32 s28, s28, s8
	s_delay_alu instid0(SALU_CYCLE_1) | instskip(SKIP_1) | instid1(SALU_CYCLE_1)
	s_add_i32 s29, s25, s28
	s_mul_i32 s28, s13, s8
	s_lshl_b64 s[28:29], s[28:29], 2
	s_delay_alu instid0(SALU_CYCLE_1)
	v_add_co_u32 v13, vcc_lo, v2, s28
	v_add_co_ci_u32_e32 v14, vcc_lo, s29, v3, vcc_lo
	global_load_b32 v13, v[13:14], off
	s_waitcnt vmcnt(0)
	v_fma_f32 v14, -v12, v13, v5
.LBB48_37:                              ;   in Loop: Header=BB48_7 Depth=1
	s_or_b32 exec_lo, exec_lo, s24
	v_mov_b32_e32 v13, v11
	s_mov_b32 s27, 0
	s_branch .LBB48_28
.LBB48_38:                              ;   in Loop: Header=BB48_7 Depth=1
	v_div_scale_f32 v13, null, v12, v12, 1.0
	v_div_scale_f32 v16, vcc_lo, 1.0, v12, 1.0
	s_mov_b32 s27, 2
	s_delay_alu instid0(VALU_DEP_2) | instskip(SKIP_2) | instid1(VALU_DEP_1)
	v_rcp_f32_e32 v14, v13
	s_waitcnt_depctr 0xfff
	v_fma_f32 v15, -v13, v14, 1.0
	v_fmac_f32_e32 v14, v15, v14
	s_delay_alu instid0(VALU_DEP_1) | instskip(NEXT) | instid1(VALU_DEP_1)
	v_mul_f32_e32 v15, v16, v14
	v_fma_f32 v17, -v13, v15, v16
	s_delay_alu instid0(VALU_DEP_1) | instskip(NEXT) | instid1(VALU_DEP_1)
	v_fmac_f32_e32 v15, v17, v14
	v_fma_f32 v13, -v13, v15, v16
	s_delay_alu instid0(VALU_DEP_1) | instskip(SKIP_1) | instid1(VALU_DEP_2)
	v_div_fmas_f32 v13, v13, v14, v15
	v_mov_b32_e32 v14, v5
	v_div_fixup_f32 v12, v13, v12, 1.0
	s_delay_alu instid0(VALU_DEP_1)
	v_cndmask_b32_e64 v13, v11, v12, s1
	s_cmp_gt_i32 s27, 3
	s_mov_b32 s13, -1
	s_cbranch_scc0 .LBB48_29
.LBB48_39:                              ;   in Loop: Header=BB48_7 Depth=1
	s_branch .LBB48_6
.LBB48_40:                              ;   in Loop: Header=BB48_7 Depth=1
                                        ; implicit-def: $sgpr22_sgpr23
	v_mov_b32_e32 v5, v14
	v_mov_b32_e32 v11, v13
	s_and_not1_b32 vcc_lo, exec_lo, s13
	s_cbranch_vccnz .LBB48_7
	s_branch .LBB48_46
.LBB48_41:                              ;   in Loop: Header=BB48_7 Depth=1
	s_mov_b32 s28, 0
	s_branch .LBB48_43
	.p2align	6
.LBB48_42:                              ;   in Loop: Header=BB48_43 Depth=2
	global_load_b32 v13, v1, s[24:25] glc
	s_cmpk_lt_u32 s28, 0xf43
	s_cselect_b32 s29, -1, 0
	s_delay_alu instid0(SALU_CYCLE_1)
	s_cmp_lg_u32 s29, 0
	s_addc_u32 s28, s28, 0
	s_waitcnt vmcnt(0)
	v_cmp_ne_u32_e32 vcc_lo, 0, v13
	s_cbranch_vccnz .LBB48_35
.LBB48_43:                              ;   Parent Loop BB48_7 Depth=1
                                        ; =>  This Loop Header: Depth=2
                                        ;       Child Loop BB48_44 Depth 3
	s_cmp_eq_u32 s28, 0
	s_mov_b32 s29, s28
	s_cbranch_scc1 .LBB48_42
.LBB48_44:                              ;   Parent Loop BB48_7 Depth=1
                                        ;     Parent Loop BB48_43 Depth=2
                                        ; =>    This Inner Loop Header: Depth=3
	s_add_i32 s29, s29, -1
	s_sleep 1
	s_cmp_eq_u32 s29, 0
	s_cbranch_scc0 .LBB48_44
	s_branch .LBB48_42
.LBB48_45:
	v_mov_b32_e32 v14, v5
.LBB48_46:
	s_and_saveexec_b32 s0, s2
	s_cbranch_execz .LBB48_48
; %bb.47:
	s_delay_alu instid0(VALU_DEP_1) | instskip(SKIP_3) | instid1(VALU_DEP_1)
	v_mul_f32_e32 v1, v13, v14
	s_cmp_eq_u32 s6, 0
	s_cselect_b32 vcc_lo, -1, 0
	s_lshl_b64 s[2:3], s[18:19], 2
	v_cndmask_b32_e32 v4, v14, v1, vcc_lo
	v_add_co_u32 v1, vcc_lo, v2, s2
	v_add_co_ci_u32_e32 v2, vcc_lo, s3, v3, vcc_lo
	global_store_b32 v[1:2], v4, off
.LBB48_48:
	s_or_b32 exec_lo, exec_lo, s0
	s_waitcnt_vscnt null, 0x0
	buffer_gl1_inv
	buffer_gl0_inv
	s_barrier
	buffer_gl0_inv
	s_mov_b32 s0, exec_lo
	v_cmpx_eq_u32_e32 0, v0
	s_cbranch_execz .LBB48_50
; %bb.49:
	s_add_i32 s0, s20, s7
	v_dual_mov_b32 v0, 0 :: v_dual_mov_b32 v1, 1
	s_ashr_i32 s1, s0, 31
	s_delay_alu instid0(SALU_CYCLE_1) | instskip(NEXT) | instid1(SALU_CYCLE_1)
	s_lshl_b64 s[0:1], s[0:1], 2
	s_add_u32 s0, s10, s0
	s_addc_u32 s1, s11, s1
	global_store_b32 v0, v1, s[0:1]
.LBB48_50:
	s_nop 0
	s_sendmsg sendmsg(MSG_DEALLOC_VGPRS)
	s_endpgm
	.section	.rodata,"a",@progbits
	.p2align	6, 0x0
	.amdhsa_kernel _ZN9rocsparseL5csrsmILj256ELj64ELb1ElifEEv20rocsparse_operation_T3_S2_NS_24const_host_device_scalarIT4_EEPKT2_PKS2_PKS4_PS4_lPiSA_PS2_21rocsparse_index_base_20rocsparse_fill_mode_20rocsparse_diag_type_b
		.amdhsa_group_segment_fixed_size 2048
		.amdhsa_private_segment_fixed_size 0
		.amdhsa_kernarg_size 104
		.amdhsa_user_sgpr_count 15
		.amdhsa_user_sgpr_dispatch_ptr 0
		.amdhsa_user_sgpr_queue_ptr 0
		.amdhsa_user_sgpr_kernarg_segment_ptr 1
		.amdhsa_user_sgpr_dispatch_id 0
		.amdhsa_user_sgpr_private_segment_size 0
		.amdhsa_wavefront_size32 1
		.amdhsa_uses_dynamic_stack 0
		.amdhsa_enable_private_segment 0
		.amdhsa_system_sgpr_workgroup_id_x 1
		.amdhsa_system_sgpr_workgroup_id_y 0
		.amdhsa_system_sgpr_workgroup_id_z 0
		.amdhsa_system_sgpr_workgroup_info 0
		.amdhsa_system_vgpr_workitem_id 0
		.amdhsa_next_free_vgpr 18
		.amdhsa_next_free_sgpr 32
		.amdhsa_reserve_vcc 1
		.amdhsa_float_round_mode_32 0
		.amdhsa_float_round_mode_16_64 0
		.amdhsa_float_denorm_mode_32 3
		.amdhsa_float_denorm_mode_16_64 3
		.amdhsa_dx10_clamp 1
		.amdhsa_ieee_mode 1
		.amdhsa_fp16_overflow 0
		.amdhsa_workgroup_processor_mode 1
		.amdhsa_memory_ordered 1
		.amdhsa_forward_progress 0
		.amdhsa_shared_vgpr_count 0
		.amdhsa_exception_fp_ieee_invalid_op 0
		.amdhsa_exception_fp_denorm_src 0
		.amdhsa_exception_fp_ieee_div_zero 0
		.amdhsa_exception_fp_ieee_overflow 0
		.amdhsa_exception_fp_ieee_underflow 0
		.amdhsa_exception_fp_ieee_inexact 0
		.amdhsa_exception_int_div_zero 0
	.end_amdhsa_kernel
	.section	.text._ZN9rocsparseL5csrsmILj256ELj64ELb1ElifEEv20rocsparse_operation_T3_S2_NS_24const_host_device_scalarIT4_EEPKT2_PKS2_PKS4_PS4_lPiSA_PS2_21rocsparse_index_base_20rocsparse_fill_mode_20rocsparse_diag_type_b,"axG",@progbits,_ZN9rocsparseL5csrsmILj256ELj64ELb1ElifEEv20rocsparse_operation_T3_S2_NS_24const_host_device_scalarIT4_EEPKT2_PKS2_PKS4_PS4_lPiSA_PS2_21rocsparse_index_base_20rocsparse_fill_mode_20rocsparse_diag_type_b,comdat
.Lfunc_end48:
	.size	_ZN9rocsparseL5csrsmILj256ELj64ELb1ElifEEv20rocsparse_operation_T3_S2_NS_24const_host_device_scalarIT4_EEPKT2_PKS2_PKS4_PS4_lPiSA_PS2_21rocsparse_index_base_20rocsparse_fill_mode_20rocsparse_diag_type_b, .Lfunc_end48-_ZN9rocsparseL5csrsmILj256ELj64ELb1ElifEEv20rocsparse_operation_T3_S2_NS_24const_host_device_scalarIT4_EEPKT2_PKS2_PKS4_PS4_lPiSA_PS2_21rocsparse_index_base_20rocsparse_fill_mode_20rocsparse_diag_type_b
                                        ; -- End function
	.section	.AMDGPU.csdata,"",@progbits
; Kernel info:
; codeLenInByte = 1768
; NumSgprs: 34
; NumVgprs: 18
; ScratchSize: 0
; MemoryBound: 0
; FloatMode: 240
; IeeeMode: 1
; LDSByteSize: 2048 bytes/workgroup (compile time only)
; SGPRBlocks: 4
; VGPRBlocks: 2
; NumSGPRsForWavesPerEU: 34
; NumVGPRsForWavesPerEU: 18
; Occupancy: 16
; WaveLimiterHint : 1
; COMPUTE_PGM_RSRC2:SCRATCH_EN: 0
; COMPUTE_PGM_RSRC2:USER_SGPR: 15
; COMPUTE_PGM_RSRC2:TRAP_HANDLER: 0
; COMPUTE_PGM_RSRC2:TGID_X_EN: 1
; COMPUTE_PGM_RSRC2:TGID_Y_EN: 0
; COMPUTE_PGM_RSRC2:TGID_Z_EN: 0
; COMPUTE_PGM_RSRC2:TIDIG_COMP_CNT: 0
	.section	.text._ZN9rocsparseL5csrsmILj256ELj64ELb0ElifEEv20rocsparse_operation_T3_S2_NS_24const_host_device_scalarIT4_EEPKT2_PKS2_PKS4_PS4_lPiSA_PS2_21rocsparse_index_base_20rocsparse_fill_mode_20rocsparse_diag_type_b,"axG",@progbits,_ZN9rocsparseL5csrsmILj256ELj64ELb0ElifEEv20rocsparse_operation_T3_S2_NS_24const_host_device_scalarIT4_EEPKT2_PKS2_PKS4_PS4_lPiSA_PS2_21rocsparse_index_base_20rocsparse_fill_mode_20rocsparse_diag_type_b,comdat
	.globl	_ZN9rocsparseL5csrsmILj256ELj64ELb0ElifEEv20rocsparse_operation_T3_S2_NS_24const_host_device_scalarIT4_EEPKT2_PKS2_PKS4_PS4_lPiSA_PS2_21rocsparse_index_base_20rocsparse_fill_mode_20rocsparse_diag_type_b ; -- Begin function _ZN9rocsparseL5csrsmILj256ELj64ELb0ElifEEv20rocsparse_operation_T3_S2_NS_24const_host_device_scalarIT4_EEPKT2_PKS2_PKS4_PS4_lPiSA_PS2_21rocsparse_index_base_20rocsparse_fill_mode_20rocsparse_diag_type_b
	.p2align	8
	.type	_ZN9rocsparseL5csrsmILj256ELj64ELb0ElifEEv20rocsparse_operation_T3_S2_NS_24const_host_device_scalarIT4_EEPKT2_PKS2_PKS4_PS4_lPiSA_PS2_21rocsparse_index_base_20rocsparse_fill_mode_20rocsparse_diag_type_b,@function
_ZN9rocsparseL5csrsmILj256ELj64ELb0ElifEEv20rocsparse_operation_T3_S2_NS_24const_host_device_scalarIT4_EEPKT2_PKS2_PKS4_PS4_lPiSA_PS2_21rocsparse_index_base_20rocsparse_fill_mode_20rocsparse_diag_type_b: ; @_ZN9rocsparseL5csrsmILj256ELj64ELb0ElifEEv20rocsparse_operation_T3_S2_NS_24const_host_device_scalarIT4_EEPKT2_PKS2_PKS4_PS4_lPiSA_PS2_21rocsparse_index_base_20rocsparse_fill_mode_20rocsparse_diag_type_b
; %bb.0:
	s_clause 0x3
	s_load_b128 s[4:7], s[0:1], 0x58
	s_load_b64 s[2:3], s[0:1], 0x48
	s_load_b128 s[16:19], s[0:1], 0x10
	s_load_b64 s[22:23], s[0:1], 0x30
	s_waitcnt lgkmcnt(0)
	s_bitcmp1_b32 s7, 0
	s_cselect_b32 s7, -1, 0
	s_delay_alu instid0(SALU_CYCLE_1)
	s_and_b32 vcc_lo, exec_lo, s7
	s_cbranch_vccnz .LBB49_2
; %bb.1:
	s_load_b32 s16, s[16:17], 0x0
.LBB49_2:
	s_load_b64 s[24:25], s[0:1], 0x4
	v_mov_b32_e32 v5, 0
	s_waitcnt lgkmcnt(0)
	v_cvt_f32_u32_e32 v1, s24
	s_sub_i32 s8, 0, s24
	s_delay_alu instid0(VALU_DEP_1) | instskip(SKIP_2) | instid1(VALU_DEP_1)
	v_rcp_iflag_f32_e32 v1, v1
	s_waitcnt_depctr 0xfff
	v_mul_f32_e32 v1, 0x4f7ffffe, v1
	v_cvt_u32_f32_e32 v1, v1
	s_delay_alu instid0(VALU_DEP_1) | instskip(NEXT) | instid1(VALU_DEP_1)
	v_readfirstlane_b32 s7, v1
	s_mul_i32 s8, s8, s7
	s_delay_alu instid0(SALU_CYCLE_1) | instskip(NEXT) | instid1(SALU_CYCLE_1)
	s_mul_hi_u32 s8, s7, s8
	s_add_i32 s7, s7, s8
	s_delay_alu instid0(SALU_CYCLE_1) | instskip(NEXT) | instid1(SALU_CYCLE_1)
	s_mul_hi_u32 s7, s15, s7
	s_mul_i32 s8, s7, s24
	s_add_i32 s9, s7, 1
	s_sub_i32 s8, s15, s8
	s_delay_alu instid0(SALU_CYCLE_1)
	s_sub_i32 s10, s8, s24
	s_cmp_ge_u32 s8, s24
	s_cselect_b32 s7, s9, s7
	s_cselect_b32 s8, s10, s8
	s_add_i32 s9, s7, 1
	s_cmp_ge_u32 s8, s24
	s_cselect_b32 s17, s9, s7
	s_delay_alu instid0(SALU_CYCLE_1) | instskip(SKIP_2) | instid1(SALU_CYCLE_1)
	s_mul_i32 s7, s17, s24
	v_lshl_or_b32 v1, s17, 8, v0
	s_sub_i32 s8, s15, s7
	s_ashr_i32 s9, s8, 31
	s_delay_alu instid0(VALU_DEP_1) | instskip(SKIP_1) | instid1(SALU_CYCLE_1)
	v_ashrrev_i32_e32 v2, 31, v1
	s_lshl_b64 s[8:9], s[8:9], 2
	s_add_u32 s2, s2, s8
	s_addc_u32 s3, s3, s9
	s_load_b32 s20, s[2:3], 0x0
	s_load_b128 s[8:11], s[0:1], 0x38
	s_waitcnt lgkmcnt(0)
	s_ashr_i32 s21, s20, 31
	s_delay_alu instid0(SALU_CYCLE_1)
	s_lshl_b64 s[2:3], s[20:21], 3
	s_mul_i32 s17, s21, s8
	s_add_u32 s2, s18, s2
	s_addc_u32 s3, s19, s3
	s_mul_i32 s18, s20, s8
	s_load_b128 s[12:15], s[2:3], 0x0
	s_mul_i32 s2, s20, s9
	s_mul_hi_u32 s3, s20, s8
	s_delay_alu instid0(SALU_CYCLE_1) | instskip(SKIP_2) | instid1(VALU_DEP_1)
	s_add_i32 s3, s3, s2
	v_cmp_gt_i32_e64 s2, s25, v1
	s_add_i32 s19, s3, s17
	s_and_saveexec_b32 s3, s2
	s_cbranch_execz .LBB49_4
; %bb.3:
	v_add_co_u32 v3, vcc_lo, s18, v1
	v_add_co_ci_u32_e32 v4, vcc_lo, s19, v2, vcc_lo
	s_delay_alu instid0(VALU_DEP_1) | instskip(NEXT) | instid1(VALU_DEP_1)
	v_lshlrev_b64 v[3:4], 2, v[3:4]
	v_add_co_u32 v3, vcc_lo, s22, v3
	s_delay_alu instid0(VALU_DEP_2)
	v_add_co_ci_u32_e32 v4, vcc_lo, s23, v4, vcc_lo
	global_load_b32 v3, v[3:4], off
	s_waitcnt vmcnt(0)
	v_mul_f32_e32 v5, s16, v3
.LBB49_4:
	s_or_b32 exec_lo, exec_lo, s3
	v_lshlrev_b64 v[2:3], 2, v[1:2]
	s_waitcnt lgkmcnt(0)
	v_cmp_ge_i64_e64 s3, s[12:13], s[14:15]
	v_mov_b32_e32 v13, 1.0
	s_delay_alu instid0(VALU_DEP_3) | instskip(NEXT) | instid1(VALU_DEP_4)
	v_add_co_u32 v2, vcc_lo, s22, v2
	v_add_co_ci_u32_e32 v3, vcc_lo, s23, v3, vcc_lo
	s_delay_alu instid0(VALU_DEP_4)
	s_and_b32 vcc_lo, exec_lo, s3
	v_cmp_eq_u32_e64 s3, 0, v0
	s_cbranch_vccnz .LBB49_42
; %bb.5:
	s_clause 0x1
	s_load_b128 s[28:31], s[0:1], 0x20
	s_load_b64 s[16:17], s[0:1], 0x50
	v_dual_mov_b32 v1, 0 :: v_dual_lshlrev_b32 v4, 2, v0
	s_sub_u32 s12, s12, s4
	s_subb_u32 s13, s13, 0
	s_sub_u32 s14, s14, s4
	s_subb_u32 s15, s15, 0
	s_cmp_lg_u32 s6, 0
	v_cmp_ne_u32_e64 s0, 0, v0
	v_or_b32_e32 v6, 0x400, v4
	s_cselect_b32 s21, -1, 0
	s_add_i32 s26, s20, s4
	v_mov_b32_e32 v11, 1.0
	s_cmp_eq_u32 s6, 0
	s_mov_b64 s[22:23], s[12:13]
	s_waitcnt lgkmcnt(0)
	v_add_co_u32 v7, s1, s28, v4
	s_delay_alu instid0(VALU_DEP_1) | instskip(SKIP_1) | instid1(VALU_DEP_1)
	v_add_co_ci_u32_e64 v8, null, s29, 0, s1
	v_add_co_u32 v9, s1, s30, v4
	v_add_co_ci_u32_e64 v10, null, s31, 0, s1
	s_cselect_b32 s1, -1, 0
	s_branch .LBB49_7
.LBB49_6:                               ;   in Loop: Header=BB49_7 Depth=1
	s_add_u32 s22, s22, 1
	s_addc_u32 s23, s23, 0
	s_delay_alu instid0(SALU_CYCLE_1) | instskip(SKIP_2) | instid1(VALU_DEP_3)
	v_cmp_ge_i64_e64 s13, s[22:23], s[14:15]
	v_mov_b32_e32 v5, v14
	v_mov_b32_e32 v11, v13
	s_and_not1_b32 vcc_lo, exec_lo, s13
	s_cbranch_vccz .LBB49_43
.LBB49_7:                               ; =>This Loop Header: Depth=1
                                        ;     Child Loop BB49_35 Depth 2
	s_sub_i32 s13, s22, s12
	s_delay_alu instid0(SALU_CYCLE_1) | instskip(NEXT) | instid1(SALU_CYCLE_1)
	s_and_b32 s13, s13, 0xff
	s_cmp_lg_u32 s13, 0
	s_cbranch_scc1 .LBB49_11
; %bb.8:                                ;   in Loop: Header=BB49_7 Depth=1
	s_sub_u32 s24, s14, s22
	s_subb_u32 s25, s15, s23
	v_dual_mov_b32 v13, -1 :: v_dual_mov_b32 v12, -1.0
	v_cmp_gt_i64_e32 vcc_lo, s[24:25], v[0:1]
	s_and_saveexec_b32 s24, vcc_lo
	s_cbranch_execz .LBB49_10
; %bb.9:                                ;   in Loop: Header=BB49_7 Depth=1
	s_lshl_b64 s[28:29], s[22:23], 2
	s_delay_alu instid0(SALU_CYCLE_1)
	v_add_co_u32 v12, vcc_lo, v7, s28
	v_add_co_ci_u32_e32 v13, vcc_lo, s29, v8, vcc_lo
	global_load_b32 v14, v[12:13], off
	v_add_co_u32 v12, vcc_lo, v9, s28
	v_add_co_ci_u32_e32 v13, vcc_lo, s29, v10, vcc_lo
	global_load_b32 v12, v[12:13], off
	s_waitcnt vmcnt(1)
	v_subrev_nc_u32_e32 v13, s4, v14
.LBB49_10:                              ;   in Loop: Header=BB49_7 Depth=1
	s_or_b32 exec_lo, exec_lo, s24
	ds_store_b32 v4, v13
	s_waitcnt vmcnt(0)
	ds_store_b32 v6, v12
.LBB49_11:                              ;   in Loop: Header=BB49_7 Depth=1
	s_lshl_b32 s13, s13, 2
	s_waitcnt lgkmcnt(0)
	v_mov_b32_e32 v12, s13
	s_waitcnt_vscnt null, 0x0
	s_barrier
	buffer_gl0_inv
	ds_load_2addr_stride64_b32 v[12:13], v12 offset1:4
	s_waitcnt lgkmcnt(0)
	v_readfirstlane_b32 s13, v12
	v_cmp_neq_f32_e32 vcc_lo, 0, v13
	s_delay_alu instid0(VALU_DEP_2) | instskip(SKIP_1) | instid1(SALU_CYCLE_1)
	s_cmp_lg_u32 s13, s20
	s_cselect_b32 s24, -1, 0
	s_or_b32 s24, s21, s24
	s_delay_alu instid0(SALU_CYCLE_1) | instskip(SKIP_2) | instid1(SALU_CYCLE_1)
	s_or_b32 vcc_lo, vcc_lo, s24
	v_cndmask_b32_e32 v12, 1.0, v13, vcc_lo
	s_or_b32 s24, s0, vcc_lo
	s_xor_b32 s25, s24, -1
	s_delay_alu instid0(SALU_CYCLE_1)
	s_and_saveexec_b32 s24, s25
	s_cbranch_execz .LBB49_15
; %bb.12:                               ;   in Loop: Header=BB49_7 Depth=1
	v_mbcnt_lo_u32_b32 v12, exec_lo, 0
	s_mov_b32 s25, exec_lo
	s_delay_alu instid0(VALU_DEP_1)
	v_cmpx_eq_u32_e32 0, v12
	s_cbranch_execz .LBB49_14
; %bb.13:                               ;   in Loop: Header=BB49_7 Depth=1
	v_mov_b32_e32 v12, s26
	global_atomic_min_i32 v1, v12, s[16:17]
.LBB49_14:                              ;   in Loop: Header=BB49_7 Depth=1
	s_or_b32 exec_lo, exec_lo, s25
	v_mov_b32_e32 v12, 1.0
.LBB49_15:                              ;   in Loop: Header=BB49_7 Depth=1
	s_or_b32 exec_lo, exec_lo, s24
	s_cmp_lt_i32 s5, 1
	s_mov_b32 s24, 0
	s_cbranch_scc1 .LBB49_20
; %bb.16:                               ;   in Loop: Header=BB49_7 Depth=1
	s_cmp_eq_u32 s5, 1
	s_cbranch_scc0 .LBB49_21
; %bb.17:                               ;   in Loop: Header=BB49_7 Depth=1
	v_mov_b32_e32 v13, v11
	s_cmp_ge_i32 s13, s20
	s_mov_b32 s25, 0
	s_cbranch_scc0 .LBB49_23
; %bb.18:                               ;   in Loop: Header=BB49_7 Depth=1
	s_cmp_eq_u32 s13, s20
	s_cbranch_scc0 .LBB49_22
; %bb.19:                               ;   in Loop: Header=BB49_7 Depth=1
	v_div_scale_f32 v13, null, v12, v12, 1.0
	s_delay_alu instid0(VALU_DEP_1) | instskip(SKIP_2) | instid1(VALU_DEP_1)
	v_rcp_f32_e32 v14, v13
	s_waitcnt_depctr 0xfff
	v_fma_f32 v15, -v13, v14, 1.0
	v_fmac_f32_e32 v14, v15, v14
	v_div_scale_f32 v15, vcc_lo, 1.0, v12, 1.0
	s_delay_alu instid0(VALU_DEP_1) | instskip(NEXT) | instid1(VALU_DEP_1)
	v_mul_f32_e32 v16, v15, v14
	v_fma_f32 v17, -v13, v16, v15
	s_delay_alu instid0(VALU_DEP_1) | instskip(NEXT) | instid1(VALU_DEP_1)
	v_fmac_f32_e32 v16, v17, v14
	v_fma_f32 v13, -v13, v16, v15
	s_delay_alu instid0(VALU_DEP_1) | instskip(NEXT) | instid1(VALU_DEP_1)
	v_div_fmas_f32 v13, v13, v14, v16
	v_div_fixup_f32 v13, v13, v12, 1.0
	s_delay_alu instid0(VALU_DEP_1)
	v_cndmask_b32_e64 v13, v11, v13, s1
	s_branch .LBB49_23
.LBB49_20:                              ;   in Loop: Header=BB49_7 Depth=1
	s_mov_b32 s25, 0
                                        ; implicit-def: $vgpr14
                                        ; implicit-def: $vgpr13
                                        ; implicit-def: $sgpr27
	s_cbranch_execnz .LBB49_24
	s_branch .LBB49_26
.LBB49_21:                              ;   in Loop: Header=BB49_7 Depth=1
	s_mov_b32 s25, -1
                                        ; implicit-def: $vgpr14
                                        ; implicit-def: $vgpr13
                                        ; implicit-def: $sgpr27
	s_branch .LBB49_26
.LBB49_22:                              ;   in Loop: Header=BB49_7 Depth=1
	s_mov_b32 s25, -1
                                        ; implicit-def: $vgpr13
.LBB49_23:                              ;   in Loop: Header=BB49_7 Depth=1
	v_mov_b32_e32 v14, v5
	s_mov_b32 s27, 4
	s_branch .LBB49_26
.LBB49_24:                              ;   in Loop: Header=BB49_7 Depth=1
	s_cmp_eq_u32 s5, 0
	s_cbranch_scc1 .LBB49_30
; %bb.25:                               ;   in Loop: Header=BB49_7 Depth=1
	s_mov_b32 s25, -1
                                        ; implicit-def: $vgpr14
                                        ; implicit-def: $vgpr13
                                        ; implicit-def: $sgpr27
.LBB49_26:                              ;   in Loop: Header=BB49_7 Depth=1
	s_delay_alu instid0(SALU_CYCLE_1)
	s_and_b32 vcc_lo, exec_lo, s25
	s_cbranch_vccnz .LBB49_33
.LBB49_27:                              ;   in Loop: Header=BB49_7 Depth=1
	s_and_b32 vcc_lo, exec_lo, s24
	s_cbranch_vccnz .LBB49_39
.LBB49_28:                              ;   in Loop: Header=BB49_7 Depth=1
	s_cmp_gt_i32 s27, 3
	s_mov_b32 s13, -1
	s_cbranch_scc1 .LBB49_40
.LBB49_29:                              ;   in Loop: Header=BB49_7 Depth=1
	s_cmp_eq_u32 s27, 0
	s_cselect_b32 s24, -1, 0
	s_delay_alu instid0(SALU_CYCLE_1)
	s_and_not1_b32 vcc_lo, exec_lo, s24
	s_cbranch_vccz .LBB49_6
	s_branch .LBB49_41
.LBB49_30:                              ;   in Loop: Header=BB49_7 Depth=1
	s_cmp_le_i32 s13, s20
	s_mov_b32 s25, 0
	s_cbranch_scc0 .LBB49_32
; %bb.31:                               ;   in Loop: Header=BB49_7 Depth=1
	s_cmp_lg_u32 s13, s20
	s_mov_b32 s24, -1
	s_cselect_b32 s25, -1, 0
.LBB49_32:                              ;   in Loop: Header=BB49_7 Depth=1
	v_dual_mov_b32 v14, v5 :: v_dual_mov_b32 v13, v11
	s_mov_b32 s27, 2
	s_and_b32 vcc_lo, exec_lo, s25
	s_cbranch_vccz .LBB49_27
.LBB49_33:                              ;   in Loop: Header=BB49_7 Depth=1
	s_and_saveexec_b32 s27, s3
	s_cbranch_execz .LBB49_36
; %bb.34:                               ;   in Loop: Header=BB49_7 Depth=1
	s_add_i32 s24, s13, s7
	s_delay_alu instid0(SALU_CYCLE_1) | instskip(NEXT) | instid1(SALU_CYCLE_1)
	s_ashr_i32 s25, s24, 31
	s_lshl_b64 s[24:25], s[24:25], 2
	s_delay_alu instid0(SALU_CYCLE_1)
	s_add_u32 s24, s10, s24
	s_addc_u32 s25, s11, s25
	global_load_b32 v13, v1, s[24:25] glc
	s_waitcnt vmcnt(0)
	v_cmp_ne_u32_e32 vcc_lo, 0, v13
	s_cbranch_vccnz .LBB49_36
.LBB49_35:                              ;   Parent Loop BB49_7 Depth=1
                                        ; =>  This Inner Loop Header: Depth=2
	global_load_b32 v13, v1, s[24:25] glc
	s_waitcnt vmcnt(0)
	v_cmp_eq_u32_e32 vcc_lo, 0, v13
	s_cbranch_vccnz .LBB49_35
.LBB49_36:                              ;   in Loop: Header=BB49_7 Depth=1
	s_or_b32 exec_lo, exec_lo, s27
	v_mov_b32_e32 v14, 0
	s_waitcnt_vscnt null, 0x0
	s_barrier
	buffer_gl0_inv
	buffer_gl1_inv
	buffer_gl0_inv
	s_and_saveexec_b32 s24, s2
	s_cbranch_execz .LBB49_38
; %bb.37:                               ;   in Loop: Header=BB49_7 Depth=1
	s_mul_i32 s25, s13, s9
	s_mul_hi_u32 s27, s13, s8
	s_ashr_i32 s28, s13, 31
	s_add_i32 s25, s27, s25
	s_mul_i32 s28, s28, s8
	s_delay_alu instid0(SALU_CYCLE_1) | instskip(SKIP_1) | instid1(SALU_CYCLE_1)
	s_add_i32 s29, s25, s28
	s_mul_i32 s28, s13, s8
	s_lshl_b64 s[28:29], s[28:29], 2
	s_delay_alu instid0(SALU_CYCLE_1)
	v_add_co_u32 v13, vcc_lo, v2, s28
	v_add_co_ci_u32_e32 v14, vcc_lo, s29, v3, vcc_lo
	global_load_b32 v13, v[13:14], off
	s_waitcnt vmcnt(0)
	v_fma_f32 v14, -v12, v13, v5
.LBB49_38:                              ;   in Loop: Header=BB49_7 Depth=1
	s_or_b32 exec_lo, exec_lo, s24
	v_mov_b32_e32 v13, v11
	s_mov_b32 s27, 0
	s_branch .LBB49_28
.LBB49_39:                              ;   in Loop: Header=BB49_7 Depth=1
	v_div_scale_f32 v13, null, v12, v12, 1.0
	v_div_scale_f32 v16, vcc_lo, 1.0, v12, 1.0
	s_mov_b32 s27, 2
	s_delay_alu instid0(VALU_DEP_2) | instskip(SKIP_2) | instid1(VALU_DEP_1)
	v_rcp_f32_e32 v14, v13
	s_waitcnt_depctr 0xfff
	v_fma_f32 v15, -v13, v14, 1.0
	v_fmac_f32_e32 v14, v15, v14
	s_delay_alu instid0(VALU_DEP_1) | instskip(NEXT) | instid1(VALU_DEP_1)
	v_mul_f32_e32 v15, v16, v14
	v_fma_f32 v17, -v13, v15, v16
	s_delay_alu instid0(VALU_DEP_1) | instskip(NEXT) | instid1(VALU_DEP_1)
	v_fmac_f32_e32 v15, v17, v14
	v_fma_f32 v13, -v13, v15, v16
	s_delay_alu instid0(VALU_DEP_1) | instskip(SKIP_1) | instid1(VALU_DEP_2)
	v_div_fmas_f32 v13, v13, v14, v15
	v_mov_b32_e32 v14, v5
	v_div_fixup_f32 v12, v13, v12, 1.0
	s_delay_alu instid0(VALU_DEP_1)
	v_cndmask_b32_e64 v13, v11, v12, s1
	s_cmp_gt_i32 s27, 3
	s_mov_b32 s13, -1
	s_cbranch_scc0 .LBB49_29
.LBB49_40:                              ;   in Loop: Header=BB49_7 Depth=1
	s_branch .LBB49_6
.LBB49_41:                              ;   in Loop: Header=BB49_7 Depth=1
                                        ; implicit-def: $sgpr22_sgpr23
	v_mov_b32_e32 v5, v14
	v_mov_b32_e32 v11, v13
	s_and_not1_b32 vcc_lo, exec_lo, s13
	s_cbranch_vccnz .LBB49_7
	s_branch .LBB49_43
.LBB49_42:
	v_mov_b32_e32 v14, v5
.LBB49_43:
	s_and_saveexec_b32 s0, s2
	s_cbranch_execz .LBB49_45
; %bb.44:
	s_delay_alu instid0(VALU_DEP_1) | instskip(SKIP_3) | instid1(VALU_DEP_1)
	v_mul_f32_e32 v1, v13, v14
	s_cmp_eq_u32 s6, 0
	s_cselect_b32 vcc_lo, -1, 0
	s_lshl_b64 s[2:3], s[18:19], 2
	v_cndmask_b32_e32 v4, v14, v1, vcc_lo
	v_add_co_u32 v1, vcc_lo, v2, s2
	v_add_co_ci_u32_e32 v2, vcc_lo, s3, v3, vcc_lo
	global_store_b32 v[1:2], v4, off
.LBB49_45:
	s_or_b32 exec_lo, exec_lo, s0
	s_waitcnt_vscnt null, 0x0
	buffer_gl1_inv
	buffer_gl0_inv
	s_barrier
	buffer_gl0_inv
	s_mov_b32 s0, exec_lo
	v_cmpx_eq_u32_e32 0, v0
	s_cbranch_execz .LBB49_47
; %bb.46:
	s_add_i32 s0, s20, s7
	v_dual_mov_b32 v0, 0 :: v_dual_mov_b32 v1, 1
	s_ashr_i32 s1, s0, 31
	s_delay_alu instid0(SALU_CYCLE_1) | instskip(NEXT) | instid1(SALU_CYCLE_1)
	s_lshl_b64 s[0:1], s[0:1], 2
	s_add_u32 s0, s10, s0
	s_addc_u32 s1, s11, s1
	global_store_b32 v0, v1, s[0:1]
.LBB49_47:
	s_nop 0
	s_sendmsg sendmsg(MSG_DEALLOC_VGPRS)
	s_endpgm
	.section	.rodata,"a",@progbits
	.p2align	6, 0x0
	.amdhsa_kernel _ZN9rocsparseL5csrsmILj256ELj64ELb0ElifEEv20rocsparse_operation_T3_S2_NS_24const_host_device_scalarIT4_EEPKT2_PKS2_PKS4_PS4_lPiSA_PS2_21rocsparse_index_base_20rocsparse_fill_mode_20rocsparse_diag_type_b
		.amdhsa_group_segment_fixed_size 2048
		.amdhsa_private_segment_fixed_size 0
		.amdhsa_kernarg_size 104
		.amdhsa_user_sgpr_count 15
		.amdhsa_user_sgpr_dispatch_ptr 0
		.amdhsa_user_sgpr_queue_ptr 0
		.amdhsa_user_sgpr_kernarg_segment_ptr 1
		.amdhsa_user_sgpr_dispatch_id 0
		.amdhsa_user_sgpr_private_segment_size 0
		.amdhsa_wavefront_size32 1
		.amdhsa_uses_dynamic_stack 0
		.amdhsa_enable_private_segment 0
		.amdhsa_system_sgpr_workgroup_id_x 1
		.amdhsa_system_sgpr_workgroup_id_y 0
		.amdhsa_system_sgpr_workgroup_id_z 0
		.amdhsa_system_sgpr_workgroup_info 0
		.amdhsa_system_vgpr_workitem_id 0
		.amdhsa_next_free_vgpr 18
		.amdhsa_next_free_sgpr 32
		.amdhsa_reserve_vcc 1
		.amdhsa_float_round_mode_32 0
		.amdhsa_float_round_mode_16_64 0
		.amdhsa_float_denorm_mode_32 3
		.amdhsa_float_denorm_mode_16_64 3
		.amdhsa_dx10_clamp 1
		.amdhsa_ieee_mode 1
		.amdhsa_fp16_overflow 0
		.amdhsa_workgroup_processor_mode 1
		.amdhsa_memory_ordered 1
		.amdhsa_forward_progress 0
		.amdhsa_shared_vgpr_count 0
		.amdhsa_exception_fp_ieee_invalid_op 0
		.amdhsa_exception_fp_denorm_src 0
		.amdhsa_exception_fp_ieee_div_zero 0
		.amdhsa_exception_fp_ieee_overflow 0
		.amdhsa_exception_fp_ieee_underflow 0
		.amdhsa_exception_fp_ieee_inexact 0
		.amdhsa_exception_int_div_zero 0
	.end_amdhsa_kernel
	.section	.text._ZN9rocsparseL5csrsmILj256ELj64ELb0ElifEEv20rocsparse_operation_T3_S2_NS_24const_host_device_scalarIT4_EEPKT2_PKS2_PKS4_PS4_lPiSA_PS2_21rocsparse_index_base_20rocsparse_fill_mode_20rocsparse_diag_type_b,"axG",@progbits,_ZN9rocsparseL5csrsmILj256ELj64ELb0ElifEEv20rocsparse_operation_T3_S2_NS_24const_host_device_scalarIT4_EEPKT2_PKS2_PKS4_PS4_lPiSA_PS2_21rocsparse_index_base_20rocsparse_fill_mode_20rocsparse_diag_type_b,comdat
.Lfunc_end49:
	.size	_ZN9rocsparseL5csrsmILj256ELj64ELb0ElifEEv20rocsparse_operation_T3_S2_NS_24const_host_device_scalarIT4_EEPKT2_PKS2_PKS4_PS4_lPiSA_PS2_21rocsparse_index_base_20rocsparse_fill_mode_20rocsparse_diag_type_b, .Lfunc_end49-_ZN9rocsparseL5csrsmILj256ELj64ELb0ElifEEv20rocsparse_operation_T3_S2_NS_24const_host_device_scalarIT4_EEPKT2_PKS2_PKS4_PS4_lPiSA_PS2_21rocsparse_index_base_20rocsparse_fill_mode_20rocsparse_diag_type_b
                                        ; -- End function
	.section	.AMDGPU.csdata,"",@progbits
; Kernel info:
; codeLenInByte = 1708
; NumSgprs: 34
; NumVgprs: 18
; ScratchSize: 0
; MemoryBound: 0
; FloatMode: 240
; IeeeMode: 1
; LDSByteSize: 2048 bytes/workgroup (compile time only)
; SGPRBlocks: 4
; VGPRBlocks: 2
; NumSGPRsForWavesPerEU: 34
; NumVGPRsForWavesPerEU: 18
; Occupancy: 16
; WaveLimiterHint : 1
; COMPUTE_PGM_RSRC2:SCRATCH_EN: 0
; COMPUTE_PGM_RSRC2:USER_SGPR: 15
; COMPUTE_PGM_RSRC2:TRAP_HANDLER: 0
; COMPUTE_PGM_RSRC2:TGID_X_EN: 1
; COMPUTE_PGM_RSRC2:TGID_Y_EN: 0
; COMPUTE_PGM_RSRC2:TGID_Z_EN: 0
; COMPUTE_PGM_RSRC2:TIDIG_COMP_CNT: 0
	.section	.text._ZN9rocsparseL5csrsmILj512ELj64ELb1ElifEEv20rocsparse_operation_T3_S2_NS_24const_host_device_scalarIT4_EEPKT2_PKS2_PKS4_PS4_lPiSA_PS2_21rocsparse_index_base_20rocsparse_fill_mode_20rocsparse_diag_type_b,"axG",@progbits,_ZN9rocsparseL5csrsmILj512ELj64ELb1ElifEEv20rocsparse_operation_T3_S2_NS_24const_host_device_scalarIT4_EEPKT2_PKS2_PKS4_PS4_lPiSA_PS2_21rocsparse_index_base_20rocsparse_fill_mode_20rocsparse_diag_type_b,comdat
	.globl	_ZN9rocsparseL5csrsmILj512ELj64ELb1ElifEEv20rocsparse_operation_T3_S2_NS_24const_host_device_scalarIT4_EEPKT2_PKS2_PKS4_PS4_lPiSA_PS2_21rocsparse_index_base_20rocsparse_fill_mode_20rocsparse_diag_type_b ; -- Begin function _ZN9rocsparseL5csrsmILj512ELj64ELb1ElifEEv20rocsparse_operation_T3_S2_NS_24const_host_device_scalarIT4_EEPKT2_PKS2_PKS4_PS4_lPiSA_PS2_21rocsparse_index_base_20rocsparse_fill_mode_20rocsparse_diag_type_b
	.p2align	8
	.type	_ZN9rocsparseL5csrsmILj512ELj64ELb1ElifEEv20rocsparse_operation_T3_S2_NS_24const_host_device_scalarIT4_EEPKT2_PKS2_PKS4_PS4_lPiSA_PS2_21rocsparse_index_base_20rocsparse_fill_mode_20rocsparse_diag_type_b,@function
_ZN9rocsparseL5csrsmILj512ELj64ELb1ElifEEv20rocsparse_operation_T3_S2_NS_24const_host_device_scalarIT4_EEPKT2_PKS2_PKS4_PS4_lPiSA_PS2_21rocsparse_index_base_20rocsparse_fill_mode_20rocsparse_diag_type_b: ; @_ZN9rocsparseL5csrsmILj512ELj64ELb1ElifEEv20rocsparse_operation_T3_S2_NS_24const_host_device_scalarIT4_EEPKT2_PKS2_PKS4_PS4_lPiSA_PS2_21rocsparse_index_base_20rocsparse_fill_mode_20rocsparse_diag_type_b
; %bb.0:
	s_clause 0x3
	s_load_b128 s[4:7], s[0:1], 0x58
	s_load_b64 s[2:3], s[0:1], 0x48
	s_load_b128 s[16:19], s[0:1], 0x10
	s_load_b64 s[22:23], s[0:1], 0x30
	s_waitcnt lgkmcnt(0)
	s_bitcmp1_b32 s7, 0
	s_cselect_b32 s7, -1, 0
	s_delay_alu instid0(SALU_CYCLE_1)
	s_and_b32 vcc_lo, exec_lo, s7
	s_cbranch_vccnz .LBB50_2
; %bb.1:
	s_load_b32 s16, s[16:17], 0x0
.LBB50_2:
	s_load_b64 s[24:25], s[0:1], 0x4
	v_mov_b32_e32 v5, 0
	s_waitcnt lgkmcnt(0)
	v_cvt_f32_u32_e32 v1, s24
	s_sub_i32 s8, 0, s24
	s_delay_alu instid0(VALU_DEP_1) | instskip(SKIP_2) | instid1(VALU_DEP_1)
	v_rcp_iflag_f32_e32 v1, v1
	s_waitcnt_depctr 0xfff
	v_mul_f32_e32 v1, 0x4f7ffffe, v1
	v_cvt_u32_f32_e32 v1, v1
	s_delay_alu instid0(VALU_DEP_1) | instskip(NEXT) | instid1(VALU_DEP_1)
	v_readfirstlane_b32 s7, v1
	s_mul_i32 s8, s8, s7
	s_delay_alu instid0(SALU_CYCLE_1) | instskip(NEXT) | instid1(SALU_CYCLE_1)
	s_mul_hi_u32 s8, s7, s8
	s_add_i32 s7, s7, s8
	s_delay_alu instid0(SALU_CYCLE_1) | instskip(NEXT) | instid1(SALU_CYCLE_1)
	s_mul_hi_u32 s7, s15, s7
	s_mul_i32 s8, s7, s24
	s_add_i32 s9, s7, 1
	s_sub_i32 s8, s15, s8
	s_delay_alu instid0(SALU_CYCLE_1)
	s_sub_i32 s10, s8, s24
	s_cmp_ge_u32 s8, s24
	s_cselect_b32 s7, s9, s7
	s_cselect_b32 s8, s10, s8
	s_add_i32 s9, s7, 1
	s_cmp_ge_u32 s8, s24
	s_cselect_b32 s17, s9, s7
	s_delay_alu instid0(SALU_CYCLE_1) | instskip(SKIP_2) | instid1(SALU_CYCLE_1)
	s_mul_i32 s7, s17, s24
	v_lshl_or_b32 v1, s17, 9, v0
	s_sub_i32 s8, s15, s7
	s_ashr_i32 s9, s8, 31
	s_delay_alu instid0(VALU_DEP_1) | instskip(SKIP_1) | instid1(SALU_CYCLE_1)
	v_ashrrev_i32_e32 v2, 31, v1
	s_lshl_b64 s[8:9], s[8:9], 2
	s_add_u32 s2, s2, s8
	s_addc_u32 s3, s3, s9
	s_load_b32 s20, s[2:3], 0x0
	s_load_b128 s[8:11], s[0:1], 0x38
	s_waitcnt lgkmcnt(0)
	s_ashr_i32 s21, s20, 31
	s_delay_alu instid0(SALU_CYCLE_1)
	s_lshl_b64 s[2:3], s[20:21], 3
	s_mul_i32 s17, s21, s8
	s_add_u32 s2, s18, s2
	s_addc_u32 s3, s19, s3
	s_mul_i32 s18, s20, s8
	s_load_b128 s[12:15], s[2:3], 0x0
	s_mul_i32 s2, s20, s9
	s_mul_hi_u32 s3, s20, s8
	s_delay_alu instid0(SALU_CYCLE_1) | instskip(SKIP_2) | instid1(VALU_DEP_1)
	s_add_i32 s3, s3, s2
	v_cmp_gt_i32_e64 s2, s25, v1
	s_add_i32 s19, s3, s17
	s_and_saveexec_b32 s3, s2
	s_cbranch_execz .LBB50_4
; %bb.3:
	v_add_co_u32 v3, vcc_lo, s18, v1
	v_add_co_ci_u32_e32 v4, vcc_lo, s19, v2, vcc_lo
	s_delay_alu instid0(VALU_DEP_1) | instskip(NEXT) | instid1(VALU_DEP_1)
	v_lshlrev_b64 v[3:4], 2, v[3:4]
	v_add_co_u32 v3, vcc_lo, s22, v3
	s_delay_alu instid0(VALU_DEP_2)
	v_add_co_ci_u32_e32 v4, vcc_lo, s23, v4, vcc_lo
	global_load_b32 v3, v[3:4], off
	s_waitcnt vmcnt(0)
	v_mul_f32_e32 v5, s16, v3
.LBB50_4:
	s_or_b32 exec_lo, exec_lo, s3
	v_lshlrev_b64 v[2:3], 2, v[1:2]
	s_waitcnt lgkmcnt(0)
	v_cmp_ge_i64_e64 s3, s[12:13], s[14:15]
	v_mov_b32_e32 v13, 1.0
	s_delay_alu instid0(VALU_DEP_3) | instskip(NEXT) | instid1(VALU_DEP_4)
	v_add_co_u32 v2, vcc_lo, s22, v2
	v_add_co_ci_u32_e32 v3, vcc_lo, s23, v3, vcc_lo
	s_delay_alu instid0(VALU_DEP_4)
	s_and_b32 vcc_lo, exec_lo, s3
	v_cmp_eq_u32_e64 s3, 0, v0
	s_cbranch_vccnz .LBB50_45
; %bb.5:
	s_clause 0x1
	s_load_b128 s[28:31], s[0:1], 0x20
	s_load_b64 s[16:17], s[0:1], 0x50
	v_dual_mov_b32 v1, 0 :: v_dual_lshlrev_b32 v4, 2, v0
	s_sub_u32 s12, s12, s4
	s_subb_u32 s13, s13, 0
	s_sub_u32 s14, s14, s4
	s_subb_u32 s15, s15, 0
	s_cmp_lg_u32 s6, 0
	v_cmp_ne_u32_e64 s0, 0, v0
	v_or_b32_e32 v6, 0x800, v4
	s_cselect_b32 s21, -1, 0
	s_add_i32 s26, s20, s4
	v_mov_b32_e32 v11, 1.0
	s_cmp_eq_u32 s6, 0
	s_mov_b64 s[22:23], s[12:13]
	s_waitcnt lgkmcnt(0)
	v_add_co_u32 v7, s1, s28, v4
	s_delay_alu instid0(VALU_DEP_1) | instskip(SKIP_1) | instid1(VALU_DEP_1)
	v_add_co_ci_u32_e64 v8, null, s29, 0, s1
	v_add_co_u32 v9, s1, s30, v4
	v_add_co_ci_u32_e64 v10, null, s31, 0, s1
	s_cselect_b32 s1, -1, 0
	s_branch .LBB50_7
.LBB50_6:                               ;   in Loop: Header=BB50_7 Depth=1
	s_add_u32 s22, s22, 1
	s_addc_u32 s23, s23, 0
	s_delay_alu instid0(SALU_CYCLE_1) | instskip(SKIP_2) | instid1(VALU_DEP_3)
	v_cmp_ge_i64_e64 s13, s[22:23], s[14:15]
	v_mov_b32_e32 v5, v14
	v_mov_b32_e32 v11, v13
	s_and_not1_b32 vcc_lo, exec_lo, s13
	s_cbranch_vccz .LBB50_46
.LBB50_7:                               ; =>This Loop Header: Depth=1
                                        ;     Child Loop BB50_43 Depth 2
                                        ;       Child Loop BB50_44 Depth 3
	s_sub_i32 s13, s22, s12
	s_delay_alu instid0(SALU_CYCLE_1) | instskip(NEXT) | instid1(SALU_CYCLE_1)
	s_and_b32 s13, s13, 0x1ff
	s_cmp_lg_u32 s13, 0
	s_cbranch_scc1 .LBB50_11
; %bb.8:                                ;   in Loop: Header=BB50_7 Depth=1
	s_sub_u32 s24, s14, s22
	s_subb_u32 s25, s15, s23
	v_dual_mov_b32 v13, -1 :: v_dual_mov_b32 v12, -1.0
	v_cmp_gt_i64_e32 vcc_lo, s[24:25], v[0:1]
	s_and_saveexec_b32 s24, vcc_lo
	s_cbranch_execz .LBB50_10
; %bb.9:                                ;   in Loop: Header=BB50_7 Depth=1
	s_lshl_b64 s[28:29], s[22:23], 2
	s_delay_alu instid0(SALU_CYCLE_1)
	v_add_co_u32 v12, vcc_lo, v7, s28
	v_add_co_ci_u32_e32 v13, vcc_lo, s29, v8, vcc_lo
	global_load_b32 v14, v[12:13], off
	v_add_co_u32 v12, vcc_lo, v9, s28
	v_add_co_ci_u32_e32 v13, vcc_lo, s29, v10, vcc_lo
	global_load_b32 v12, v[12:13], off
	s_waitcnt vmcnt(1)
	v_subrev_nc_u32_e32 v13, s4, v14
.LBB50_10:                              ;   in Loop: Header=BB50_7 Depth=1
	s_or_b32 exec_lo, exec_lo, s24
	ds_store_b32 v4, v13
	s_waitcnt vmcnt(0)
	ds_store_b32 v6, v12
.LBB50_11:                              ;   in Loop: Header=BB50_7 Depth=1
	s_lshl_b32 s13, s13, 2
	s_waitcnt lgkmcnt(0)
	v_mov_b32_e32 v12, s13
	s_waitcnt_vscnt null, 0x0
	s_barrier
	buffer_gl0_inv
	ds_load_2addr_stride64_b32 v[12:13], v12 offset1:8
	s_waitcnt lgkmcnt(0)
	v_readfirstlane_b32 s13, v12
	v_cmp_neq_f32_e32 vcc_lo, 0, v13
	s_delay_alu instid0(VALU_DEP_2) | instskip(SKIP_1) | instid1(SALU_CYCLE_1)
	s_cmp_lg_u32 s13, s20
	s_cselect_b32 s24, -1, 0
	s_or_b32 s24, s21, s24
	s_delay_alu instid0(SALU_CYCLE_1) | instskip(SKIP_2) | instid1(SALU_CYCLE_1)
	s_or_b32 vcc_lo, vcc_lo, s24
	v_cndmask_b32_e32 v12, 1.0, v13, vcc_lo
	s_or_b32 s24, s0, vcc_lo
	s_xor_b32 s25, s24, -1
	s_delay_alu instid0(SALU_CYCLE_1)
	s_and_saveexec_b32 s24, s25
	s_cbranch_execz .LBB50_15
; %bb.12:                               ;   in Loop: Header=BB50_7 Depth=1
	v_mbcnt_lo_u32_b32 v12, exec_lo, 0
	s_mov_b32 s25, exec_lo
	s_delay_alu instid0(VALU_DEP_1)
	v_cmpx_eq_u32_e32 0, v12
	s_cbranch_execz .LBB50_14
; %bb.13:                               ;   in Loop: Header=BB50_7 Depth=1
	v_mov_b32_e32 v12, s26
	global_atomic_min_i32 v1, v12, s[16:17]
.LBB50_14:                              ;   in Loop: Header=BB50_7 Depth=1
	s_or_b32 exec_lo, exec_lo, s25
	v_mov_b32_e32 v12, 1.0
.LBB50_15:                              ;   in Loop: Header=BB50_7 Depth=1
	s_or_b32 exec_lo, exec_lo, s24
	s_cmp_lt_i32 s5, 1
	s_mov_b32 s24, 0
	s_cbranch_scc1 .LBB50_20
; %bb.16:                               ;   in Loop: Header=BB50_7 Depth=1
	s_cmp_eq_u32 s5, 1
	s_cbranch_scc0 .LBB50_21
; %bb.17:                               ;   in Loop: Header=BB50_7 Depth=1
	v_mov_b32_e32 v13, v11
	s_cmp_ge_i32 s13, s20
	s_mov_b32 s25, 0
	s_cbranch_scc0 .LBB50_23
; %bb.18:                               ;   in Loop: Header=BB50_7 Depth=1
	s_cmp_eq_u32 s13, s20
	s_cbranch_scc0 .LBB50_22
; %bb.19:                               ;   in Loop: Header=BB50_7 Depth=1
	v_div_scale_f32 v13, null, v12, v12, 1.0
	s_delay_alu instid0(VALU_DEP_1) | instskip(SKIP_2) | instid1(VALU_DEP_1)
	v_rcp_f32_e32 v14, v13
	s_waitcnt_depctr 0xfff
	v_fma_f32 v15, -v13, v14, 1.0
	v_fmac_f32_e32 v14, v15, v14
	v_div_scale_f32 v15, vcc_lo, 1.0, v12, 1.0
	s_delay_alu instid0(VALU_DEP_1) | instskip(NEXT) | instid1(VALU_DEP_1)
	v_mul_f32_e32 v16, v15, v14
	v_fma_f32 v17, -v13, v16, v15
	s_delay_alu instid0(VALU_DEP_1) | instskip(NEXT) | instid1(VALU_DEP_1)
	v_fmac_f32_e32 v16, v17, v14
	v_fma_f32 v13, -v13, v16, v15
	s_delay_alu instid0(VALU_DEP_1) | instskip(NEXT) | instid1(VALU_DEP_1)
	v_div_fmas_f32 v13, v13, v14, v16
	v_div_fixup_f32 v13, v13, v12, 1.0
	s_delay_alu instid0(VALU_DEP_1)
	v_cndmask_b32_e64 v13, v11, v13, s1
	s_branch .LBB50_23
.LBB50_20:                              ;   in Loop: Header=BB50_7 Depth=1
	s_mov_b32 s25, 0
                                        ; implicit-def: $vgpr14
                                        ; implicit-def: $vgpr13
                                        ; implicit-def: $sgpr27
	s_cbranch_execnz .LBB50_24
	s_branch .LBB50_26
.LBB50_21:                              ;   in Loop: Header=BB50_7 Depth=1
	s_mov_b32 s25, -1
                                        ; implicit-def: $vgpr14
                                        ; implicit-def: $vgpr13
                                        ; implicit-def: $sgpr27
	s_branch .LBB50_26
.LBB50_22:                              ;   in Loop: Header=BB50_7 Depth=1
	s_mov_b32 s25, -1
                                        ; implicit-def: $vgpr13
.LBB50_23:                              ;   in Loop: Header=BB50_7 Depth=1
	v_mov_b32_e32 v14, v5
	s_mov_b32 s27, 4
	s_branch .LBB50_26
.LBB50_24:                              ;   in Loop: Header=BB50_7 Depth=1
	s_cmp_eq_u32 s5, 0
	s_cbranch_scc1 .LBB50_30
; %bb.25:                               ;   in Loop: Header=BB50_7 Depth=1
	s_mov_b32 s25, -1
                                        ; implicit-def: $vgpr14
                                        ; implicit-def: $vgpr13
                                        ; implicit-def: $sgpr27
.LBB50_26:                              ;   in Loop: Header=BB50_7 Depth=1
	s_delay_alu instid0(SALU_CYCLE_1)
	s_and_b32 vcc_lo, exec_lo, s25
	s_cbranch_vccnz .LBB50_33
.LBB50_27:                              ;   in Loop: Header=BB50_7 Depth=1
	s_and_b32 vcc_lo, exec_lo, s24
	s_cbranch_vccnz .LBB50_38
.LBB50_28:                              ;   in Loop: Header=BB50_7 Depth=1
	s_cmp_gt_i32 s27, 3
	s_mov_b32 s13, -1
	s_cbranch_scc1 .LBB50_39
.LBB50_29:                              ;   in Loop: Header=BB50_7 Depth=1
	s_cmp_eq_u32 s27, 0
	s_cselect_b32 s24, -1, 0
	s_delay_alu instid0(SALU_CYCLE_1)
	s_and_not1_b32 vcc_lo, exec_lo, s24
	s_cbranch_vccz .LBB50_6
	s_branch .LBB50_40
.LBB50_30:                              ;   in Loop: Header=BB50_7 Depth=1
	s_cmp_le_i32 s13, s20
	s_mov_b32 s25, 0
	s_cbranch_scc0 .LBB50_32
; %bb.31:                               ;   in Loop: Header=BB50_7 Depth=1
	s_cmp_lg_u32 s13, s20
	s_mov_b32 s24, -1
	s_cselect_b32 s25, -1, 0
.LBB50_32:                              ;   in Loop: Header=BB50_7 Depth=1
	v_dual_mov_b32 v14, v5 :: v_dual_mov_b32 v13, v11
	s_mov_b32 s27, 2
	s_and_b32 vcc_lo, exec_lo, s25
	s_cbranch_vccz .LBB50_27
.LBB50_33:                              ;   in Loop: Header=BB50_7 Depth=1
	s_and_saveexec_b32 s27, s3
	s_cbranch_execz .LBB50_35
; %bb.34:                               ;   in Loop: Header=BB50_7 Depth=1
	s_add_i32 s24, s13, s7
	s_delay_alu instid0(SALU_CYCLE_1) | instskip(NEXT) | instid1(SALU_CYCLE_1)
	s_ashr_i32 s25, s24, 31
	s_lshl_b64 s[24:25], s[24:25], 2
	s_delay_alu instid0(SALU_CYCLE_1)
	s_add_u32 s24, s10, s24
	s_addc_u32 s25, s11, s25
	global_load_b32 v13, v1, s[24:25] glc
	s_waitcnt vmcnt(0)
	v_cmp_ne_u32_e32 vcc_lo, 0, v13
	s_cbranch_vccz .LBB50_41
.LBB50_35:                              ;   in Loop: Header=BB50_7 Depth=1
	s_or_b32 exec_lo, exec_lo, s27
	v_mov_b32_e32 v14, 0
	s_waitcnt_vscnt null, 0x0
	s_barrier
	buffer_gl0_inv
	buffer_gl1_inv
	buffer_gl0_inv
	s_and_saveexec_b32 s24, s2
	s_cbranch_execz .LBB50_37
; %bb.36:                               ;   in Loop: Header=BB50_7 Depth=1
	s_mul_i32 s25, s13, s9
	s_mul_hi_u32 s27, s13, s8
	s_ashr_i32 s28, s13, 31
	s_add_i32 s25, s27, s25
	s_mul_i32 s28, s28, s8
	s_delay_alu instid0(SALU_CYCLE_1) | instskip(SKIP_1) | instid1(SALU_CYCLE_1)
	s_add_i32 s29, s25, s28
	s_mul_i32 s28, s13, s8
	s_lshl_b64 s[28:29], s[28:29], 2
	s_delay_alu instid0(SALU_CYCLE_1)
	v_add_co_u32 v13, vcc_lo, v2, s28
	v_add_co_ci_u32_e32 v14, vcc_lo, s29, v3, vcc_lo
	global_load_b32 v13, v[13:14], off
	s_waitcnt vmcnt(0)
	v_fma_f32 v14, -v12, v13, v5
.LBB50_37:                              ;   in Loop: Header=BB50_7 Depth=1
	s_or_b32 exec_lo, exec_lo, s24
	v_mov_b32_e32 v13, v11
	s_mov_b32 s27, 0
	s_branch .LBB50_28
.LBB50_38:                              ;   in Loop: Header=BB50_7 Depth=1
	v_div_scale_f32 v13, null, v12, v12, 1.0
	v_div_scale_f32 v16, vcc_lo, 1.0, v12, 1.0
	s_mov_b32 s27, 2
	s_delay_alu instid0(VALU_DEP_2) | instskip(SKIP_2) | instid1(VALU_DEP_1)
	v_rcp_f32_e32 v14, v13
	s_waitcnt_depctr 0xfff
	v_fma_f32 v15, -v13, v14, 1.0
	v_fmac_f32_e32 v14, v15, v14
	s_delay_alu instid0(VALU_DEP_1) | instskip(NEXT) | instid1(VALU_DEP_1)
	v_mul_f32_e32 v15, v16, v14
	v_fma_f32 v17, -v13, v15, v16
	s_delay_alu instid0(VALU_DEP_1) | instskip(NEXT) | instid1(VALU_DEP_1)
	v_fmac_f32_e32 v15, v17, v14
	v_fma_f32 v13, -v13, v15, v16
	s_delay_alu instid0(VALU_DEP_1) | instskip(SKIP_1) | instid1(VALU_DEP_2)
	v_div_fmas_f32 v13, v13, v14, v15
	v_mov_b32_e32 v14, v5
	v_div_fixup_f32 v12, v13, v12, 1.0
	s_delay_alu instid0(VALU_DEP_1)
	v_cndmask_b32_e64 v13, v11, v12, s1
	s_cmp_gt_i32 s27, 3
	s_mov_b32 s13, -1
	s_cbranch_scc0 .LBB50_29
.LBB50_39:                              ;   in Loop: Header=BB50_7 Depth=1
	s_branch .LBB50_6
.LBB50_40:                              ;   in Loop: Header=BB50_7 Depth=1
                                        ; implicit-def: $sgpr22_sgpr23
	v_mov_b32_e32 v5, v14
	v_mov_b32_e32 v11, v13
	s_and_not1_b32 vcc_lo, exec_lo, s13
	s_cbranch_vccnz .LBB50_7
	s_branch .LBB50_46
.LBB50_41:                              ;   in Loop: Header=BB50_7 Depth=1
	s_mov_b32 s28, 0
	s_branch .LBB50_43
	.p2align	6
.LBB50_42:                              ;   in Loop: Header=BB50_43 Depth=2
	global_load_b32 v13, v1, s[24:25] glc
	s_cmpk_lt_u32 s28, 0xf43
	s_cselect_b32 s29, -1, 0
	s_delay_alu instid0(SALU_CYCLE_1)
	s_cmp_lg_u32 s29, 0
	s_addc_u32 s28, s28, 0
	s_waitcnt vmcnt(0)
	v_cmp_ne_u32_e32 vcc_lo, 0, v13
	s_cbranch_vccnz .LBB50_35
.LBB50_43:                              ;   Parent Loop BB50_7 Depth=1
                                        ; =>  This Loop Header: Depth=2
                                        ;       Child Loop BB50_44 Depth 3
	s_cmp_eq_u32 s28, 0
	s_mov_b32 s29, s28
	s_cbranch_scc1 .LBB50_42
.LBB50_44:                              ;   Parent Loop BB50_7 Depth=1
                                        ;     Parent Loop BB50_43 Depth=2
                                        ; =>    This Inner Loop Header: Depth=3
	s_add_i32 s29, s29, -1
	s_sleep 1
	s_cmp_eq_u32 s29, 0
	s_cbranch_scc0 .LBB50_44
	s_branch .LBB50_42
.LBB50_45:
	v_mov_b32_e32 v14, v5
.LBB50_46:
	s_and_saveexec_b32 s0, s2
	s_cbranch_execz .LBB50_48
; %bb.47:
	s_delay_alu instid0(VALU_DEP_1) | instskip(SKIP_3) | instid1(VALU_DEP_1)
	v_mul_f32_e32 v1, v13, v14
	s_cmp_eq_u32 s6, 0
	s_cselect_b32 vcc_lo, -1, 0
	s_lshl_b64 s[2:3], s[18:19], 2
	v_cndmask_b32_e32 v4, v14, v1, vcc_lo
	v_add_co_u32 v1, vcc_lo, v2, s2
	v_add_co_ci_u32_e32 v2, vcc_lo, s3, v3, vcc_lo
	global_store_b32 v[1:2], v4, off
.LBB50_48:
	s_or_b32 exec_lo, exec_lo, s0
	s_waitcnt_vscnt null, 0x0
	buffer_gl1_inv
	buffer_gl0_inv
	s_barrier
	buffer_gl0_inv
	s_mov_b32 s0, exec_lo
	v_cmpx_eq_u32_e32 0, v0
	s_cbranch_execz .LBB50_50
; %bb.49:
	s_add_i32 s0, s20, s7
	v_dual_mov_b32 v0, 0 :: v_dual_mov_b32 v1, 1
	s_ashr_i32 s1, s0, 31
	s_delay_alu instid0(SALU_CYCLE_1) | instskip(NEXT) | instid1(SALU_CYCLE_1)
	s_lshl_b64 s[0:1], s[0:1], 2
	s_add_u32 s0, s10, s0
	s_addc_u32 s1, s11, s1
	global_store_b32 v0, v1, s[0:1]
.LBB50_50:
	s_nop 0
	s_sendmsg sendmsg(MSG_DEALLOC_VGPRS)
	s_endpgm
	.section	.rodata,"a",@progbits
	.p2align	6, 0x0
	.amdhsa_kernel _ZN9rocsparseL5csrsmILj512ELj64ELb1ElifEEv20rocsparse_operation_T3_S2_NS_24const_host_device_scalarIT4_EEPKT2_PKS2_PKS4_PS4_lPiSA_PS2_21rocsparse_index_base_20rocsparse_fill_mode_20rocsparse_diag_type_b
		.amdhsa_group_segment_fixed_size 4096
		.amdhsa_private_segment_fixed_size 0
		.amdhsa_kernarg_size 104
		.amdhsa_user_sgpr_count 15
		.amdhsa_user_sgpr_dispatch_ptr 0
		.amdhsa_user_sgpr_queue_ptr 0
		.amdhsa_user_sgpr_kernarg_segment_ptr 1
		.amdhsa_user_sgpr_dispatch_id 0
		.amdhsa_user_sgpr_private_segment_size 0
		.amdhsa_wavefront_size32 1
		.amdhsa_uses_dynamic_stack 0
		.amdhsa_enable_private_segment 0
		.amdhsa_system_sgpr_workgroup_id_x 1
		.amdhsa_system_sgpr_workgroup_id_y 0
		.amdhsa_system_sgpr_workgroup_id_z 0
		.amdhsa_system_sgpr_workgroup_info 0
		.amdhsa_system_vgpr_workitem_id 0
		.amdhsa_next_free_vgpr 18
		.amdhsa_next_free_sgpr 32
		.amdhsa_reserve_vcc 1
		.amdhsa_float_round_mode_32 0
		.amdhsa_float_round_mode_16_64 0
		.amdhsa_float_denorm_mode_32 3
		.amdhsa_float_denorm_mode_16_64 3
		.amdhsa_dx10_clamp 1
		.amdhsa_ieee_mode 1
		.amdhsa_fp16_overflow 0
		.amdhsa_workgroup_processor_mode 1
		.amdhsa_memory_ordered 1
		.amdhsa_forward_progress 0
		.amdhsa_shared_vgpr_count 0
		.amdhsa_exception_fp_ieee_invalid_op 0
		.amdhsa_exception_fp_denorm_src 0
		.amdhsa_exception_fp_ieee_div_zero 0
		.amdhsa_exception_fp_ieee_overflow 0
		.amdhsa_exception_fp_ieee_underflow 0
		.amdhsa_exception_fp_ieee_inexact 0
		.amdhsa_exception_int_div_zero 0
	.end_amdhsa_kernel
	.section	.text._ZN9rocsparseL5csrsmILj512ELj64ELb1ElifEEv20rocsparse_operation_T3_S2_NS_24const_host_device_scalarIT4_EEPKT2_PKS2_PKS4_PS4_lPiSA_PS2_21rocsparse_index_base_20rocsparse_fill_mode_20rocsparse_diag_type_b,"axG",@progbits,_ZN9rocsparseL5csrsmILj512ELj64ELb1ElifEEv20rocsparse_operation_T3_S2_NS_24const_host_device_scalarIT4_EEPKT2_PKS2_PKS4_PS4_lPiSA_PS2_21rocsparse_index_base_20rocsparse_fill_mode_20rocsparse_diag_type_b,comdat
.Lfunc_end50:
	.size	_ZN9rocsparseL5csrsmILj512ELj64ELb1ElifEEv20rocsparse_operation_T3_S2_NS_24const_host_device_scalarIT4_EEPKT2_PKS2_PKS4_PS4_lPiSA_PS2_21rocsparse_index_base_20rocsparse_fill_mode_20rocsparse_diag_type_b, .Lfunc_end50-_ZN9rocsparseL5csrsmILj512ELj64ELb1ElifEEv20rocsparse_operation_T3_S2_NS_24const_host_device_scalarIT4_EEPKT2_PKS2_PKS4_PS4_lPiSA_PS2_21rocsparse_index_base_20rocsparse_fill_mode_20rocsparse_diag_type_b
                                        ; -- End function
	.section	.AMDGPU.csdata,"",@progbits
; Kernel info:
; codeLenInByte = 1768
; NumSgprs: 34
; NumVgprs: 18
; ScratchSize: 0
; MemoryBound: 0
; FloatMode: 240
; IeeeMode: 1
; LDSByteSize: 4096 bytes/workgroup (compile time only)
; SGPRBlocks: 4
; VGPRBlocks: 2
; NumSGPRsForWavesPerEU: 34
; NumVGPRsForWavesPerEU: 18
; Occupancy: 16
; WaveLimiterHint : 1
; COMPUTE_PGM_RSRC2:SCRATCH_EN: 0
; COMPUTE_PGM_RSRC2:USER_SGPR: 15
; COMPUTE_PGM_RSRC2:TRAP_HANDLER: 0
; COMPUTE_PGM_RSRC2:TGID_X_EN: 1
; COMPUTE_PGM_RSRC2:TGID_Y_EN: 0
; COMPUTE_PGM_RSRC2:TGID_Z_EN: 0
; COMPUTE_PGM_RSRC2:TIDIG_COMP_CNT: 0
	.section	.text._ZN9rocsparseL5csrsmILj512ELj64ELb0ElifEEv20rocsparse_operation_T3_S2_NS_24const_host_device_scalarIT4_EEPKT2_PKS2_PKS4_PS4_lPiSA_PS2_21rocsparse_index_base_20rocsparse_fill_mode_20rocsparse_diag_type_b,"axG",@progbits,_ZN9rocsparseL5csrsmILj512ELj64ELb0ElifEEv20rocsparse_operation_T3_S2_NS_24const_host_device_scalarIT4_EEPKT2_PKS2_PKS4_PS4_lPiSA_PS2_21rocsparse_index_base_20rocsparse_fill_mode_20rocsparse_diag_type_b,comdat
	.globl	_ZN9rocsparseL5csrsmILj512ELj64ELb0ElifEEv20rocsparse_operation_T3_S2_NS_24const_host_device_scalarIT4_EEPKT2_PKS2_PKS4_PS4_lPiSA_PS2_21rocsparse_index_base_20rocsparse_fill_mode_20rocsparse_diag_type_b ; -- Begin function _ZN9rocsparseL5csrsmILj512ELj64ELb0ElifEEv20rocsparse_operation_T3_S2_NS_24const_host_device_scalarIT4_EEPKT2_PKS2_PKS4_PS4_lPiSA_PS2_21rocsparse_index_base_20rocsparse_fill_mode_20rocsparse_diag_type_b
	.p2align	8
	.type	_ZN9rocsparseL5csrsmILj512ELj64ELb0ElifEEv20rocsparse_operation_T3_S2_NS_24const_host_device_scalarIT4_EEPKT2_PKS2_PKS4_PS4_lPiSA_PS2_21rocsparse_index_base_20rocsparse_fill_mode_20rocsparse_diag_type_b,@function
_ZN9rocsparseL5csrsmILj512ELj64ELb0ElifEEv20rocsparse_operation_T3_S2_NS_24const_host_device_scalarIT4_EEPKT2_PKS2_PKS4_PS4_lPiSA_PS2_21rocsparse_index_base_20rocsparse_fill_mode_20rocsparse_diag_type_b: ; @_ZN9rocsparseL5csrsmILj512ELj64ELb0ElifEEv20rocsparse_operation_T3_S2_NS_24const_host_device_scalarIT4_EEPKT2_PKS2_PKS4_PS4_lPiSA_PS2_21rocsparse_index_base_20rocsparse_fill_mode_20rocsparse_diag_type_b
; %bb.0:
	s_clause 0x3
	s_load_b128 s[4:7], s[0:1], 0x58
	s_load_b64 s[2:3], s[0:1], 0x48
	s_load_b128 s[16:19], s[0:1], 0x10
	s_load_b64 s[22:23], s[0:1], 0x30
	s_waitcnt lgkmcnt(0)
	s_bitcmp1_b32 s7, 0
	s_cselect_b32 s7, -1, 0
	s_delay_alu instid0(SALU_CYCLE_1)
	s_and_b32 vcc_lo, exec_lo, s7
	s_cbranch_vccnz .LBB51_2
; %bb.1:
	s_load_b32 s16, s[16:17], 0x0
.LBB51_2:
	s_load_b64 s[24:25], s[0:1], 0x4
	v_mov_b32_e32 v5, 0
	s_waitcnt lgkmcnt(0)
	v_cvt_f32_u32_e32 v1, s24
	s_sub_i32 s8, 0, s24
	s_delay_alu instid0(VALU_DEP_1) | instskip(SKIP_2) | instid1(VALU_DEP_1)
	v_rcp_iflag_f32_e32 v1, v1
	s_waitcnt_depctr 0xfff
	v_mul_f32_e32 v1, 0x4f7ffffe, v1
	v_cvt_u32_f32_e32 v1, v1
	s_delay_alu instid0(VALU_DEP_1) | instskip(NEXT) | instid1(VALU_DEP_1)
	v_readfirstlane_b32 s7, v1
	s_mul_i32 s8, s8, s7
	s_delay_alu instid0(SALU_CYCLE_1) | instskip(NEXT) | instid1(SALU_CYCLE_1)
	s_mul_hi_u32 s8, s7, s8
	s_add_i32 s7, s7, s8
	s_delay_alu instid0(SALU_CYCLE_1) | instskip(NEXT) | instid1(SALU_CYCLE_1)
	s_mul_hi_u32 s7, s15, s7
	s_mul_i32 s8, s7, s24
	s_add_i32 s9, s7, 1
	s_sub_i32 s8, s15, s8
	s_delay_alu instid0(SALU_CYCLE_1)
	s_sub_i32 s10, s8, s24
	s_cmp_ge_u32 s8, s24
	s_cselect_b32 s7, s9, s7
	s_cselect_b32 s8, s10, s8
	s_add_i32 s9, s7, 1
	s_cmp_ge_u32 s8, s24
	s_cselect_b32 s17, s9, s7
	s_delay_alu instid0(SALU_CYCLE_1) | instskip(SKIP_2) | instid1(SALU_CYCLE_1)
	s_mul_i32 s7, s17, s24
	v_lshl_or_b32 v1, s17, 9, v0
	s_sub_i32 s8, s15, s7
	s_ashr_i32 s9, s8, 31
	s_delay_alu instid0(VALU_DEP_1) | instskip(SKIP_1) | instid1(SALU_CYCLE_1)
	v_ashrrev_i32_e32 v2, 31, v1
	s_lshl_b64 s[8:9], s[8:9], 2
	s_add_u32 s2, s2, s8
	s_addc_u32 s3, s3, s9
	s_load_b32 s20, s[2:3], 0x0
	s_load_b128 s[8:11], s[0:1], 0x38
	s_waitcnt lgkmcnt(0)
	s_ashr_i32 s21, s20, 31
	s_delay_alu instid0(SALU_CYCLE_1)
	s_lshl_b64 s[2:3], s[20:21], 3
	s_mul_i32 s17, s21, s8
	s_add_u32 s2, s18, s2
	s_addc_u32 s3, s19, s3
	s_mul_i32 s18, s20, s8
	s_load_b128 s[12:15], s[2:3], 0x0
	s_mul_i32 s2, s20, s9
	s_mul_hi_u32 s3, s20, s8
	s_delay_alu instid0(SALU_CYCLE_1) | instskip(SKIP_2) | instid1(VALU_DEP_1)
	s_add_i32 s3, s3, s2
	v_cmp_gt_i32_e64 s2, s25, v1
	s_add_i32 s19, s3, s17
	s_and_saveexec_b32 s3, s2
	s_cbranch_execz .LBB51_4
; %bb.3:
	v_add_co_u32 v3, vcc_lo, s18, v1
	v_add_co_ci_u32_e32 v4, vcc_lo, s19, v2, vcc_lo
	s_delay_alu instid0(VALU_DEP_1) | instskip(NEXT) | instid1(VALU_DEP_1)
	v_lshlrev_b64 v[3:4], 2, v[3:4]
	v_add_co_u32 v3, vcc_lo, s22, v3
	s_delay_alu instid0(VALU_DEP_2)
	v_add_co_ci_u32_e32 v4, vcc_lo, s23, v4, vcc_lo
	global_load_b32 v3, v[3:4], off
	s_waitcnt vmcnt(0)
	v_mul_f32_e32 v5, s16, v3
.LBB51_4:
	s_or_b32 exec_lo, exec_lo, s3
	v_lshlrev_b64 v[2:3], 2, v[1:2]
	s_waitcnt lgkmcnt(0)
	v_cmp_ge_i64_e64 s3, s[12:13], s[14:15]
	v_mov_b32_e32 v13, 1.0
	s_delay_alu instid0(VALU_DEP_3) | instskip(NEXT) | instid1(VALU_DEP_4)
	v_add_co_u32 v2, vcc_lo, s22, v2
	v_add_co_ci_u32_e32 v3, vcc_lo, s23, v3, vcc_lo
	s_delay_alu instid0(VALU_DEP_4)
	s_and_b32 vcc_lo, exec_lo, s3
	v_cmp_eq_u32_e64 s3, 0, v0
	s_cbranch_vccnz .LBB51_42
; %bb.5:
	s_clause 0x1
	s_load_b128 s[28:31], s[0:1], 0x20
	s_load_b64 s[16:17], s[0:1], 0x50
	v_dual_mov_b32 v1, 0 :: v_dual_lshlrev_b32 v4, 2, v0
	s_sub_u32 s12, s12, s4
	s_subb_u32 s13, s13, 0
	s_sub_u32 s14, s14, s4
	s_subb_u32 s15, s15, 0
	s_cmp_lg_u32 s6, 0
	v_cmp_ne_u32_e64 s0, 0, v0
	v_or_b32_e32 v6, 0x800, v4
	s_cselect_b32 s21, -1, 0
	s_add_i32 s26, s20, s4
	v_mov_b32_e32 v11, 1.0
	s_cmp_eq_u32 s6, 0
	s_mov_b64 s[22:23], s[12:13]
	s_waitcnt lgkmcnt(0)
	v_add_co_u32 v7, s1, s28, v4
	s_delay_alu instid0(VALU_DEP_1) | instskip(SKIP_1) | instid1(VALU_DEP_1)
	v_add_co_ci_u32_e64 v8, null, s29, 0, s1
	v_add_co_u32 v9, s1, s30, v4
	v_add_co_ci_u32_e64 v10, null, s31, 0, s1
	s_cselect_b32 s1, -1, 0
	s_branch .LBB51_7
.LBB51_6:                               ;   in Loop: Header=BB51_7 Depth=1
	s_add_u32 s22, s22, 1
	s_addc_u32 s23, s23, 0
	s_delay_alu instid0(SALU_CYCLE_1) | instskip(SKIP_2) | instid1(VALU_DEP_3)
	v_cmp_ge_i64_e64 s13, s[22:23], s[14:15]
	v_mov_b32_e32 v5, v14
	v_mov_b32_e32 v11, v13
	s_and_not1_b32 vcc_lo, exec_lo, s13
	s_cbranch_vccz .LBB51_43
.LBB51_7:                               ; =>This Loop Header: Depth=1
                                        ;     Child Loop BB51_35 Depth 2
	s_sub_i32 s13, s22, s12
	s_delay_alu instid0(SALU_CYCLE_1) | instskip(NEXT) | instid1(SALU_CYCLE_1)
	s_and_b32 s13, s13, 0x1ff
	s_cmp_lg_u32 s13, 0
	s_cbranch_scc1 .LBB51_11
; %bb.8:                                ;   in Loop: Header=BB51_7 Depth=1
	s_sub_u32 s24, s14, s22
	s_subb_u32 s25, s15, s23
	v_dual_mov_b32 v13, -1 :: v_dual_mov_b32 v12, -1.0
	v_cmp_gt_i64_e32 vcc_lo, s[24:25], v[0:1]
	s_and_saveexec_b32 s24, vcc_lo
	s_cbranch_execz .LBB51_10
; %bb.9:                                ;   in Loop: Header=BB51_7 Depth=1
	s_lshl_b64 s[28:29], s[22:23], 2
	s_delay_alu instid0(SALU_CYCLE_1)
	v_add_co_u32 v12, vcc_lo, v7, s28
	v_add_co_ci_u32_e32 v13, vcc_lo, s29, v8, vcc_lo
	global_load_b32 v14, v[12:13], off
	v_add_co_u32 v12, vcc_lo, v9, s28
	v_add_co_ci_u32_e32 v13, vcc_lo, s29, v10, vcc_lo
	global_load_b32 v12, v[12:13], off
	s_waitcnt vmcnt(1)
	v_subrev_nc_u32_e32 v13, s4, v14
.LBB51_10:                              ;   in Loop: Header=BB51_7 Depth=1
	s_or_b32 exec_lo, exec_lo, s24
	ds_store_b32 v4, v13
	s_waitcnt vmcnt(0)
	ds_store_b32 v6, v12
.LBB51_11:                              ;   in Loop: Header=BB51_7 Depth=1
	s_lshl_b32 s13, s13, 2
	s_waitcnt lgkmcnt(0)
	v_mov_b32_e32 v12, s13
	s_waitcnt_vscnt null, 0x0
	s_barrier
	buffer_gl0_inv
	ds_load_2addr_stride64_b32 v[12:13], v12 offset1:8
	s_waitcnt lgkmcnt(0)
	v_readfirstlane_b32 s13, v12
	v_cmp_neq_f32_e32 vcc_lo, 0, v13
	s_delay_alu instid0(VALU_DEP_2) | instskip(SKIP_1) | instid1(SALU_CYCLE_1)
	s_cmp_lg_u32 s13, s20
	s_cselect_b32 s24, -1, 0
	s_or_b32 s24, s21, s24
	s_delay_alu instid0(SALU_CYCLE_1) | instskip(SKIP_2) | instid1(SALU_CYCLE_1)
	s_or_b32 vcc_lo, vcc_lo, s24
	v_cndmask_b32_e32 v12, 1.0, v13, vcc_lo
	s_or_b32 s24, s0, vcc_lo
	s_xor_b32 s25, s24, -1
	s_delay_alu instid0(SALU_CYCLE_1)
	s_and_saveexec_b32 s24, s25
	s_cbranch_execz .LBB51_15
; %bb.12:                               ;   in Loop: Header=BB51_7 Depth=1
	v_mbcnt_lo_u32_b32 v12, exec_lo, 0
	s_mov_b32 s25, exec_lo
	s_delay_alu instid0(VALU_DEP_1)
	v_cmpx_eq_u32_e32 0, v12
	s_cbranch_execz .LBB51_14
; %bb.13:                               ;   in Loop: Header=BB51_7 Depth=1
	v_mov_b32_e32 v12, s26
	global_atomic_min_i32 v1, v12, s[16:17]
.LBB51_14:                              ;   in Loop: Header=BB51_7 Depth=1
	s_or_b32 exec_lo, exec_lo, s25
	v_mov_b32_e32 v12, 1.0
.LBB51_15:                              ;   in Loop: Header=BB51_7 Depth=1
	s_or_b32 exec_lo, exec_lo, s24
	s_cmp_lt_i32 s5, 1
	s_mov_b32 s24, 0
	s_cbranch_scc1 .LBB51_20
; %bb.16:                               ;   in Loop: Header=BB51_7 Depth=1
	s_cmp_eq_u32 s5, 1
	s_cbranch_scc0 .LBB51_21
; %bb.17:                               ;   in Loop: Header=BB51_7 Depth=1
	v_mov_b32_e32 v13, v11
	s_cmp_ge_i32 s13, s20
	s_mov_b32 s25, 0
	s_cbranch_scc0 .LBB51_23
; %bb.18:                               ;   in Loop: Header=BB51_7 Depth=1
	s_cmp_eq_u32 s13, s20
	s_cbranch_scc0 .LBB51_22
; %bb.19:                               ;   in Loop: Header=BB51_7 Depth=1
	v_div_scale_f32 v13, null, v12, v12, 1.0
	s_delay_alu instid0(VALU_DEP_1) | instskip(SKIP_2) | instid1(VALU_DEP_1)
	v_rcp_f32_e32 v14, v13
	s_waitcnt_depctr 0xfff
	v_fma_f32 v15, -v13, v14, 1.0
	v_fmac_f32_e32 v14, v15, v14
	v_div_scale_f32 v15, vcc_lo, 1.0, v12, 1.0
	s_delay_alu instid0(VALU_DEP_1) | instskip(NEXT) | instid1(VALU_DEP_1)
	v_mul_f32_e32 v16, v15, v14
	v_fma_f32 v17, -v13, v16, v15
	s_delay_alu instid0(VALU_DEP_1) | instskip(NEXT) | instid1(VALU_DEP_1)
	v_fmac_f32_e32 v16, v17, v14
	v_fma_f32 v13, -v13, v16, v15
	s_delay_alu instid0(VALU_DEP_1) | instskip(NEXT) | instid1(VALU_DEP_1)
	v_div_fmas_f32 v13, v13, v14, v16
	v_div_fixup_f32 v13, v13, v12, 1.0
	s_delay_alu instid0(VALU_DEP_1)
	v_cndmask_b32_e64 v13, v11, v13, s1
	s_branch .LBB51_23
.LBB51_20:                              ;   in Loop: Header=BB51_7 Depth=1
	s_mov_b32 s25, 0
                                        ; implicit-def: $vgpr14
                                        ; implicit-def: $vgpr13
                                        ; implicit-def: $sgpr27
	s_cbranch_execnz .LBB51_24
	s_branch .LBB51_26
.LBB51_21:                              ;   in Loop: Header=BB51_7 Depth=1
	s_mov_b32 s25, -1
                                        ; implicit-def: $vgpr14
                                        ; implicit-def: $vgpr13
                                        ; implicit-def: $sgpr27
	s_branch .LBB51_26
.LBB51_22:                              ;   in Loop: Header=BB51_7 Depth=1
	s_mov_b32 s25, -1
                                        ; implicit-def: $vgpr13
.LBB51_23:                              ;   in Loop: Header=BB51_7 Depth=1
	v_mov_b32_e32 v14, v5
	s_mov_b32 s27, 4
	s_branch .LBB51_26
.LBB51_24:                              ;   in Loop: Header=BB51_7 Depth=1
	s_cmp_eq_u32 s5, 0
	s_cbranch_scc1 .LBB51_30
; %bb.25:                               ;   in Loop: Header=BB51_7 Depth=1
	s_mov_b32 s25, -1
                                        ; implicit-def: $vgpr14
                                        ; implicit-def: $vgpr13
                                        ; implicit-def: $sgpr27
.LBB51_26:                              ;   in Loop: Header=BB51_7 Depth=1
	s_delay_alu instid0(SALU_CYCLE_1)
	s_and_b32 vcc_lo, exec_lo, s25
	s_cbranch_vccnz .LBB51_33
.LBB51_27:                              ;   in Loop: Header=BB51_7 Depth=1
	s_and_b32 vcc_lo, exec_lo, s24
	s_cbranch_vccnz .LBB51_39
.LBB51_28:                              ;   in Loop: Header=BB51_7 Depth=1
	s_cmp_gt_i32 s27, 3
	s_mov_b32 s13, -1
	s_cbranch_scc1 .LBB51_40
.LBB51_29:                              ;   in Loop: Header=BB51_7 Depth=1
	s_cmp_eq_u32 s27, 0
	s_cselect_b32 s24, -1, 0
	s_delay_alu instid0(SALU_CYCLE_1)
	s_and_not1_b32 vcc_lo, exec_lo, s24
	s_cbranch_vccz .LBB51_6
	s_branch .LBB51_41
.LBB51_30:                              ;   in Loop: Header=BB51_7 Depth=1
	s_cmp_le_i32 s13, s20
	s_mov_b32 s25, 0
	s_cbranch_scc0 .LBB51_32
; %bb.31:                               ;   in Loop: Header=BB51_7 Depth=1
	s_cmp_lg_u32 s13, s20
	s_mov_b32 s24, -1
	s_cselect_b32 s25, -1, 0
.LBB51_32:                              ;   in Loop: Header=BB51_7 Depth=1
	v_dual_mov_b32 v14, v5 :: v_dual_mov_b32 v13, v11
	s_mov_b32 s27, 2
	s_and_b32 vcc_lo, exec_lo, s25
	s_cbranch_vccz .LBB51_27
.LBB51_33:                              ;   in Loop: Header=BB51_7 Depth=1
	s_and_saveexec_b32 s27, s3
	s_cbranch_execz .LBB51_36
; %bb.34:                               ;   in Loop: Header=BB51_7 Depth=1
	s_add_i32 s24, s13, s7
	s_delay_alu instid0(SALU_CYCLE_1) | instskip(NEXT) | instid1(SALU_CYCLE_1)
	s_ashr_i32 s25, s24, 31
	s_lshl_b64 s[24:25], s[24:25], 2
	s_delay_alu instid0(SALU_CYCLE_1)
	s_add_u32 s24, s10, s24
	s_addc_u32 s25, s11, s25
	global_load_b32 v13, v1, s[24:25] glc
	s_waitcnt vmcnt(0)
	v_cmp_ne_u32_e32 vcc_lo, 0, v13
	s_cbranch_vccnz .LBB51_36
.LBB51_35:                              ;   Parent Loop BB51_7 Depth=1
                                        ; =>  This Inner Loop Header: Depth=2
	global_load_b32 v13, v1, s[24:25] glc
	s_waitcnt vmcnt(0)
	v_cmp_eq_u32_e32 vcc_lo, 0, v13
	s_cbranch_vccnz .LBB51_35
.LBB51_36:                              ;   in Loop: Header=BB51_7 Depth=1
	s_or_b32 exec_lo, exec_lo, s27
	v_mov_b32_e32 v14, 0
	s_waitcnt_vscnt null, 0x0
	s_barrier
	buffer_gl0_inv
	buffer_gl1_inv
	buffer_gl0_inv
	s_and_saveexec_b32 s24, s2
	s_cbranch_execz .LBB51_38
; %bb.37:                               ;   in Loop: Header=BB51_7 Depth=1
	s_mul_i32 s25, s13, s9
	s_mul_hi_u32 s27, s13, s8
	s_ashr_i32 s28, s13, 31
	s_add_i32 s25, s27, s25
	s_mul_i32 s28, s28, s8
	s_delay_alu instid0(SALU_CYCLE_1) | instskip(SKIP_1) | instid1(SALU_CYCLE_1)
	s_add_i32 s29, s25, s28
	s_mul_i32 s28, s13, s8
	s_lshl_b64 s[28:29], s[28:29], 2
	s_delay_alu instid0(SALU_CYCLE_1)
	v_add_co_u32 v13, vcc_lo, v2, s28
	v_add_co_ci_u32_e32 v14, vcc_lo, s29, v3, vcc_lo
	global_load_b32 v13, v[13:14], off
	s_waitcnt vmcnt(0)
	v_fma_f32 v14, -v12, v13, v5
.LBB51_38:                              ;   in Loop: Header=BB51_7 Depth=1
	s_or_b32 exec_lo, exec_lo, s24
	v_mov_b32_e32 v13, v11
	s_mov_b32 s27, 0
	s_branch .LBB51_28
.LBB51_39:                              ;   in Loop: Header=BB51_7 Depth=1
	v_div_scale_f32 v13, null, v12, v12, 1.0
	v_div_scale_f32 v16, vcc_lo, 1.0, v12, 1.0
	s_mov_b32 s27, 2
	s_delay_alu instid0(VALU_DEP_2) | instskip(SKIP_2) | instid1(VALU_DEP_1)
	v_rcp_f32_e32 v14, v13
	s_waitcnt_depctr 0xfff
	v_fma_f32 v15, -v13, v14, 1.0
	v_fmac_f32_e32 v14, v15, v14
	s_delay_alu instid0(VALU_DEP_1) | instskip(NEXT) | instid1(VALU_DEP_1)
	v_mul_f32_e32 v15, v16, v14
	v_fma_f32 v17, -v13, v15, v16
	s_delay_alu instid0(VALU_DEP_1) | instskip(NEXT) | instid1(VALU_DEP_1)
	v_fmac_f32_e32 v15, v17, v14
	v_fma_f32 v13, -v13, v15, v16
	s_delay_alu instid0(VALU_DEP_1) | instskip(SKIP_1) | instid1(VALU_DEP_2)
	v_div_fmas_f32 v13, v13, v14, v15
	v_mov_b32_e32 v14, v5
	v_div_fixup_f32 v12, v13, v12, 1.0
	s_delay_alu instid0(VALU_DEP_1)
	v_cndmask_b32_e64 v13, v11, v12, s1
	s_cmp_gt_i32 s27, 3
	s_mov_b32 s13, -1
	s_cbranch_scc0 .LBB51_29
.LBB51_40:                              ;   in Loop: Header=BB51_7 Depth=1
	s_branch .LBB51_6
.LBB51_41:                              ;   in Loop: Header=BB51_7 Depth=1
                                        ; implicit-def: $sgpr22_sgpr23
	v_mov_b32_e32 v5, v14
	v_mov_b32_e32 v11, v13
	s_and_not1_b32 vcc_lo, exec_lo, s13
	s_cbranch_vccnz .LBB51_7
	s_branch .LBB51_43
.LBB51_42:
	v_mov_b32_e32 v14, v5
.LBB51_43:
	s_and_saveexec_b32 s0, s2
	s_cbranch_execz .LBB51_45
; %bb.44:
	s_delay_alu instid0(VALU_DEP_1) | instskip(SKIP_3) | instid1(VALU_DEP_1)
	v_mul_f32_e32 v1, v13, v14
	s_cmp_eq_u32 s6, 0
	s_cselect_b32 vcc_lo, -1, 0
	s_lshl_b64 s[2:3], s[18:19], 2
	v_cndmask_b32_e32 v4, v14, v1, vcc_lo
	v_add_co_u32 v1, vcc_lo, v2, s2
	v_add_co_ci_u32_e32 v2, vcc_lo, s3, v3, vcc_lo
	global_store_b32 v[1:2], v4, off
.LBB51_45:
	s_or_b32 exec_lo, exec_lo, s0
	s_waitcnt_vscnt null, 0x0
	buffer_gl1_inv
	buffer_gl0_inv
	s_barrier
	buffer_gl0_inv
	s_mov_b32 s0, exec_lo
	v_cmpx_eq_u32_e32 0, v0
	s_cbranch_execz .LBB51_47
; %bb.46:
	s_add_i32 s0, s20, s7
	v_dual_mov_b32 v0, 0 :: v_dual_mov_b32 v1, 1
	s_ashr_i32 s1, s0, 31
	s_delay_alu instid0(SALU_CYCLE_1) | instskip(NEXT) | instid1(SALU_CYCLE_1)
	s_lshl_b64 s[0:1], s[0:1], 2
	s_add_u32 s0, s10, s0
	s_addc_u32 s1, s11, s1
	global_store_b32 v0, v1, s[0:1]
.LBB51_47:
	s_nop 0
	s_sendmsg sendmsg(MSG_DEALLOC_VGPRS)
	s_endpgm
	.section	.rodata,"a",@progbits
	.p2align	6, 0x0
	.amdhsa_kernel _ZN9rocsparseL5csrsmILj512ELj64ELb0ElifEEv20rocsparse_operation_T3_S2_NS_24const_host_device_scalarIT4_EEPKT2_PKS2_PKS4_PS4_lPiSA_PS2_21rocsparse_index_base_20rocsparse_fill_mode_20rocsparse_diag_type_b
		.amdhsa_group_segment_fixed_size 4096
		.amdhsa_private_segment_fixed_size 0
		.amdhsa_kernarg_size 104
		.amdhsa_user_sgpr_count 15
		.amdhsa_user_sgpr_dispatch_ptr 0
		.amdhsa_user_sgpr_queue_ptr 0
		.amdhsa_user_sgpr_kernarg_segment_ptr 1
		.amdhsa_user_sgpr_dispatch_id 0
		.amdhsa_user_sgpr_private_segment_size 0
		.amdhsa_wavefront_size32 1
		.amdhsa_uses_dynamic_stack 0
		.amdhsa_enable_private_segment 0
		.amdhsa_system_sgpr_workgroup_id_x 1
		.amdhsa_system_sgpr_workgroup_id_y 0
		.amdhsa_system_sgpr_workgroup_id_z 0
		.amdhsa_system_sgpr_workgroup_info 0
		.amdhsa_system_vgpr_workitem_id 0
		.amdhsa_next_free_vgpr 18
		.amdhsa_next_free_sgpr 32
		.amdhsa_reserve_vcc 1
		.amdhsa_float_round_mode_32 0
		.amdhsa_float_round_mode_16_64 0
		.amdhsa_float_denorm_mode_32 3
		.amdhsa_float_denorm_mode_16_64 3
		.amdhsa_dx10_clamp 1
		.amdhsa_ieee_mode 1
		.amdhsa_fp16_overflow 0
		.amdhsa_workgroup_processor_mode 1
		.amdhsa_memory_ordered 1
		.amdhsa_forward_progress 0
		.amdhsa_shared_vgpr_count 0
		.amdhsa_exception_fp_ieee_invalid_op 0
		.amdhsa_exception_fp_denorm_src 0
		.amdhsa_exception_fp_ieee_div_zero 0
		.amdhsa_exception_fp_ieee_overflow 0
		.amdhsa_exception_fp_ieee_underflow 0
		.amdhsa_exception_fp_ieee_inexact 0
		.amdhsa_exception_int_div_zero 0
	.end_amdhsa_kernel
	.section	.text._ZN9rocsparseL5csrsmILj512ELj64ELb0ElifEEv20rocsparse_operation_T3_S2_NS_24const_host_device_scalarIT4_EEPKT2_PKS2_PKS4_PS4_lPiSA_PS2_21rocsparse_index_base_20rocsparse_fill_mode_20rocsparse_diag_type_b,"axG",@progbits,_ZN9rocsparseL5csrsmILj512ELj64ELb0ElifEEv20rocsparse_operation_T3_S2_NS_24const_host_device_scalarIT4_EEPKT2_PKS2_PKS4_PS4_lPiSA_PS2_21rocsparse_index_base_20rocsparse_fill_mode_20rocsparse_diag_type_b,comdat
.Lfunc_end51:
	.size	_ZN9rocsparseL5csrsmILj512ELj64ELb0ElifEEv20rocsparse_operation_T3_S2_NS_24const_host_device_scalarIT4_EEPKT2_PKS2_PKS4_PS4_lPiSA_PS2_21rocsparse_index_base_20rocsparse_fill_mode_20rocsparse_diag_type_b, .Lfunc_end51-_ZN9rocsparseL5csrsmILj512ELj64ELb0ElifEEv20rocsparse_operation_T3_S2_NS_24const_host_device_scalarIT4_EEPKT2_PKS2_PKS4_PS4_lPiSA_PS2_21rocsparse_index_base_20rocsparse_fill_mode_20rocsparse_diag_type_b
                                        ; -- End function
	.section	.AMDGPU.csdata,"",@progbits
; Kernel info:
; codeLenInByte = 1708
; NumSgprs: 34
; NumVgprs: 18
; ScratchSize: 0
; MemoryBound: 0
; FloatMode: 240
; IeeeMode: 1
; LDSByteSize: 4096 bytes/workgroup (compile time only)
; SGPRBlocks: 4
; VGPRBlocks: 2
; NumSGPRsForWavesPerEU: 34
; NumVGPRsForWavesPerEU: 18
; Occupancy: 16
; WaveLimiterHint : 1
; COMPUTE_PGM_RSRC2:SCRATCH_EN: 0
; COMPUTE_PGM_RSRC2:USER_SGPR: 15
; COMPUTE_PGM_RSRC2:TRAP_HANDLER: 0
; COMPUTE_PGM_RSRC2:TGID_X_EN: 1
; COMPUTE_PGM_RSRC2:TGID_Y_EN: 0
; COMPUTE_PGM_RSRC2:TGID_Z_EN: 0
; COMPUTE_PGM_RSRC2:TIDIG_COMP_CNT: 0
	.section	.text._ZN9rocsparseL5csrsmILj1024ELj64ELb1ElifEEv20rocsparse_operation_T3_S2_NS_24const_host_device_scalarIT4_EEPKT2_PKS2_PKS4_PS4_lPiSA_PS2_21rocsparse_index_base_20rocsparse_fill_mode_20rocsparse_diag_type_b,"axG",@progbits,_ZN9rocsparseL5csrsmILj1024ELj64ELb1ElifEEv20rocsparse_operation_T3_S2_NS_24const_host_device_scalarIT4_EEPKT2_PKS2_PKS4_PS4_lPiSA_PS2_21rocsparse_index_base_20rocsparse_fill_mode_20rocsparse_diag_type_b,comdat
	.globl	_ZN9rocsparseL5csrsmILj1024ELj64ELb1ElifEEv20rocsparse_operation_T3_S2_NS_24const_host_device_scalarIT4_EEPKT2_PKS2_PKS4_PS4_lPiSA_PS2_21rocsparse_index_base_20rocsparse_fill_mode_20rocsparse_diag_type_b ; -- Begin function _ZN9rocsparseL5csrsmILj1024ELj64ELb1ElifEEv20rocsparse_operation_T3_S2_NS_24const_host_device_scalarIT4_EEPKT2_PKS2_PKS4_PS4_lPiSA_PS2_21rocsparse_index_base_20rocsparse_fill_mode_20rocsparse_diag_type_b
	.p2align	8
	.type	_ZN9rocsparseL5csrsmILj1024ELj64ELb1ElifEEv20rocsparse_operation_T3_S2_NS_24const_host_device_scalarIT4_EEPKT2_PKS2_PKS4_PS4_lPiSA_PS2_21rocsparse_index_base_20rocsparse_fill_mode_20rocsparse_diag_type_b,@function
_ZN9rocsparseL5csrsmILj1024ELj64ELb1ElifEEv20rocsparse_operation_T3_S2_NS_24const_host_device_scalarIT4_EEPKT2_PKS2_PKS4_PS4_lPiSA_PS2_21rocsparse_index_base_20rocsparse_fill_mode_20rocsparse_diag_type_b: ; @_ZN9rocsparseL5csrsmILj1024ELj64ELb1ElifEEv20rocsparse_operation_T3_S2_NS_24const_host_device_scalarIT4_EEPKT2_PKS2_PKS4_PS4_lPiSA_PS2_21rocsparse_index_base_20rocsparse_fill_mode_20rocsparse_diag_type_b
; %bb.0:
	s_clause 0x3
	s_load_b128 s[4:7], s[0:1], 0x58
	s_load_b64 s[2:3], s[0:1], 0x48
	s_load_b128 s[16:19], s[0:1], 0x10
	s_load_b64 s[22:23], s[0:1], 0x30
	s_waitcnt lgkmcnt(0)
	s_bitcmp1_b32 s7, 0
	s_cselect_b32 s7, -1, 0
	s_delay_alu instid0(SALU_CYCLE_1)
	s_and_b32 vcc_lo, exec_lo, s7
	s_cbranch_vccnz .LBB52_2
; %bb.1:
	s_load_b32 s16, s[16:17], 0x0
.LBB52_2:
	s_load_b64 s[24:25], s[0:1], 0x4
	v_mov_b32_e32 v5, 0
	s_waitcnt lgkmcnt(0)
	v_cvt_f32_u32_e32 v1, s24
	s_sub_i32 s8, 0, s24
	s_delay_alu instid0(VALU_DEP_1) | instskip(SKIP_2) | instid1(VALU_DEP_1)
	v_rcp_iflag_f32_e32 v1, v1
	s_waitcnt_depctr 0xfff
	v_mul_f32_e32 v1, 0x4f7ffffe, v1
	v_cvt_u32_f32_e32 v1, v1
	s_delay_alu instid0(VALU_DEP_1) | instskip(NEXT) | instid1(VALU_DEP_1)
	v_readfirstlane_b32 s7, v1
	s_mul_i32 s8, s8, s7
	s_delay_alu instid0(SALU_CYCLE_1) | instskip(NEXT) | instid1(SALU_CYCLE_1)
	s_mul_hi_u32 s8, s7, s8
	s_add_i32 s7, s7, s8
	s_delay_alu instid0(SALU_CYCLE_1) | instskip(NEXT) | instid1(SALU_CYCLE_1)
	s_mul_hi_u32 s7, s15, s7
	s_mul_i32 s8, s7, s24
	s_add_i32 s9, s7, 1
	s_sub_i32 s8, s15, s8
	s_delay_alu instid0(SALU_CYCLE_1)
	s_sub_i32 s10, s8, s24
	s_cmp_ge_u32 s8, s24
	s_cselect_b32 s7, s9, s7
	s_cselect_b32 s8, s10, s8
	s_add_i32 s9, s7, 1
	s_cmp_ge_u32 s8, s24
	s_cselect_b32 s17, s9, s7
	s_delay_alu instid0(SALU_CYCLE_1) | instskip(SKIP_2) | instid1(SALU_CYCLE_1)
	s_mul_i32 s7, s17, s24
	v_lshl_or_b32 v1, s17, 10, v0
	s_sub_i32 s8, s15, s7
	s_ashr_i32 s9, s8, 31
	s_delay_alu instid0(VALU_DEP_1) | instskip(SKIP_1) | instid1(SALU_CYCLE_1)
	v_ashrrev_i32_e32 v2, 31, v1
	s_lshl_b64 s[8:9], s[8:9], 2
	s_add_u32 s2, s2, s8
	s_addc_u32 s3, s3, s9
	s_load_b32 s20, s[2:3], 0x0
	s_load_b128 s[8:11], s[0:1], 0x38
	s_waitcnt lgkmcnt(0)
	s_ashr_i32 s21, s20, 31
	s_delay_alu instid0(SALU_CYCLE_1)
	s_lshl_b64 s[2:3], s[20:21], 3
	s_mul_i32 s17, s21, s8
	s_add_u32 s2, s18, s2
	s_addc_u32 s3, s19, s3
	s_mul_i32 s18, s20, s8
	s_load_b128 s[12:15], s[2:3], 0x0
	s_mul_i32 s2, s20, s9
	s_mul_hi_u32 s3, s20, s8
	s_delay_alu instid0(SALU_CYCLE_1) | instskip(SKIP_2) | instid1(VALU_DEP_1)
	s_add_i32 s3, s3, s2
	v_cmp_gt_i32_e64 s2, s25, v1
	s_add_i32 s19, s3, s17
	s_and_saveexec_b32 s3, s2
	s_cbranch_execz .LBB52_4
; %bb.3:
	v_add_co_u32 v3, vcc_lo, s18, v1
	v_add_co_ci_u32_e32 v4, vcc_lo, s19, v2, vcc_lo
	s_delay_alu instid0(VALU_DEP_1) | instskip(NEXT) | instid1(VALU_DEP_1)
	v_lshlrev_b64 v[3:4], 2, v[3:4]
	v_add_co_u32 v3, vcc_lo, s22, v3
	s_delay_alu instid0(VALU_DEP_2)
	v_add_co_ci_u32_e32 v4, vcc_lo, s23, v4, vcc_lo
	global_load_b32 v3, v[3:4], off
	s_waitcnt vmcnt(0)
	v_mul_f32_e32 v5, s16, v3
.LBB52_4:
	s_or_b32 exec_lo, exec_lo, s3
	v_lshlrev_b64 v[2:3], 2, v[1:2]
	s_waitcnt lgkmcnt(0)
	v_cmp_ge_i64_e64 s3, s[12:13], s[14:15]
	v_mov_b32_e32 v13, 1.0
	s_delay_alu instid0(VALU_DEP_3) | instskip(NEXT) | instid1(VALU_DEP_4)
	v_add_co_u32 v2, vcc_lo, s22, v2
	v_add_co_ci_u32_e32 v3, vcc_lo, s23, v3, vcc_lo
	s_delay_alu instid0(VALU_DEP_4)
	s_and_b32 vcc_lo, exec_lo, s3
	v_cmp_eq_u32_e64 s3, 0, v0
	s_cbranch_vccnz .LBB52_45
; %bb.5:
	s_clause 0x1
	s_load_b128 s[28:31], s[0:1], 0x20
	s_load_b64 s[16:17], s[0:1], 0x50
	v_dual_mov_b32 v1, 0 :: v_dual_lshlrev_b32 v4, 2, v0
	s_sub_u32 s12, s12, s4
	s_subb_u32 s13, s13, 0
	s_sub_u32 s14, s14, s4
	s_subb_u32 s15, s15, 0
	s_cmp_lg_u32 s6, 0
	v_cmp_ne_u32_e64 s0, 0, v0
	v_or_b32_e32 v6, 0x1000, v4
	s_cselect_b32 s21, -1, 0
	s_add_i32 s26, s20, s4
	v_mov_b32_e32 v11, 1.0
	s_cmp_eq_u32 s6, 0
	s_mov_b64 s[22:23], s[12:13]
	s_waitcnt lgkmcnt(0)
	v_add_co_u32 v7, s1, s28, v4
	s_delay_alu instid0(VALU_DEP_1) | instskip(SKIP_1) | instid1(VALU_DEP_1)
	v_add_co_ci_u32_e64 v8, null, s29, 0, s1
	v_add_co_u32 v9, s1, s30, v4
	v_add_co_ci_u32_e64 v10, null, s31, 0, s1
	s_cselect_b32 s1, -1, 0
	s_branch .LBB52_7
.LBB52_6:                               ;   in Loop: Header=BB52_7 Depth=1
	s_add_u32 s22, s22, 1
	s_addc_u32 s23, s23, 0
	s_delay_alu instid0(SALU_CYCLE_1) | instskip(SKIP_2) | instid1(VALU_DEP_3)
	v_cmp_ge_i64_e64 s13, s[22:23], s[14:15]
	v_mov_b32_e32 v5, v14
	v_mov_b32_e32 v11, v13
	s_and_not1_b32 vcc_lo, exec_lo, s13
	s_cbranch_vccz .LBB52_46
.LBB52_7:                               ; =>This Loop Header: Depth=1
                                        ;     Child Loop BB52_43 Depth 2
                                        ;       Child Loop BB52_44 Depth 3
	s_sub_i32 s13, s22, s12
	s_delay_alu instid0(SALU_CYCLE_1) | instskip(NEXT) | instid1(SALU_CYCLE_1)
	s_and_b32 s13, s13, 0x3ff
	s_cmp_lg_u32 s13, 0
	s_cbranch_scc1 .LBB52_11
; %bb.8:                                ;   in Loop: Header=BB52_7 Depth=1
	s_sub_u32 s24, s14, s22
	s_subb_u32 s25, s15, s23
	v_dual_mov_b32 v13, -1 :: v_dual_mov_b32 v12, -1.0
	v_cmp_gt_i64_e32 vcc_lo, s[24:25], v[0:1]
	s_and_saveexec_b32 s24, vcc_lo
	s_cbranch_execz .LBB52_10
; %bb.9:                                ;   in Loop: Header=BB52_7 Depth=1
	s_lshl_b64 s[28:29], s[22:23], 2
	s_delay_alu instid0(SALU_CYCLE_1)
	v_add_co_u32 v12, vcc_lo, v7, s28
	v_add_co_ci_u32_e32 v13, vcc_lo, s29, v8, vcc_lo
	global_load_b32 v14, v[12:13], off
	v_add_co_u32 v12, vcc_lo, v9, s28
	v_add_co_ci_u32_e32 v13, vcc_lo, s29, v10, vcc_lo
	global_load_b32 v12, v[12:13], off
	s_waitcnt vmcnt(1)
	v_subrev_nc_u32_e32 v13, s4, v14
.LBB52_10:                              ;   in Loop: Header=BB52_7 Depth=1
	s_or_b32 exec_lo, exec_lo, s24
	ds_store_b32 v4, v13
	s_waitcnt vmcnt(0)
	ds_store_b32 v6, v12
.LBB52_11:                              ;   in Loop: Header=BB52_7 Depth=1
	s_lshl_b32 s13, s13, 2
	s_waitcnt lgkmcnt(0)
	v_mov_b32_e32 v12, s13
	s_waitcnt_vscnt null, 0x0
	s_barrier
	buffer_gl0_inv
	ds_load_2addr_stride64_b32 v[12:13], v12 offset1:16
	s_waitcnt lgkmcnt(0)
	v_readfirstlane_b32 s13, v12
	v_cmp_neq_f32_e32 vcc_lo, 0, v13
	s_delay_alu instid0(VALU_DEP_2) | instskip(SKIP_1) | instid1(SALU_CYCLE_1)
	s_cmp_lg_u32 s13, s20
	s_cselect_b32 s24, -1, 0
	s_or_b32 s24, s21, s24
	s_delay_alu instid0(SALU_CYCLE_1) | instskip(SKIP_2) | instid1(SALU_CYCLE_1)
	s_or_b32 vcc_lo, vcc_lo, s24
	v_cndmask_b32_e32 v12, 1.0, v13, vcc_lo
	s_or_b32 s24, s0, vcc_lo
	s_xor_b32 s25, s24, -1
	s_delay_alu instid0(SALU_CYCLE_1)
	s_and_saveexec_b32 s24, s25
	s_cbranch_execz .LBB52_15
; %bb.12:                               ;   in Loop: Header=BB52_7 Depth=1
	v_mbcnt_lo_u32_b32 v12, exec_lo, 0
	s_mov_b32 s25, exec_lo
	s_delay_alu instid0(VALU_DEP_1)
	v_cmpx_eq_u32_e32 0, v12
	s_cbranch_execz .LBB52_14
; %bb.13:                               ;   in Loop: Header=BB52_7 Depth=1
	v_mov_b32_e32 v12, s26
	global_atomic_min_i32 v1, v12, s[16:17]
.LBB52_14:                              ;   in Loop: Header=BB52_7 Depth=1
	s_or_b32 exec_lo, exec_lo, s25
	v_mov_b32_e32 v12, 1.0
.LBB52_15:                              ;   in Loop: Header=BB52_7 Depth=1
	s_or_b32 exec_lo, exec_lo, s24
	s_cmp_lt_i32 s5, 1
	s_mov_b32 s24, 0
	s_cbranch_scc1 .LBB52_20
; %bb.16:                               ;   in Loop: Header=BB52_7 Depth=1
	s_cmp_eq_u32 s5, 1
	s_cbranch_scc0 .LBB52_21
; %bb.17:                               ;   in Loop: Header=BB52_7 Depth=1
	v_mov_b32_e32 v13, v11
	s_cmp_ge_i32 s13, s20
	s_mov_b32 s25, 0
	s_cbranch_scc0 .LBB52_23
; %bb.18:                               ;   in Loop: Header=BB52_7 Depth=1
	s_cmp_eq_u32 s13, s20
	s_cbranch_scc0 .LBB52_22
; %bb.19:                               ;   in Loop: Header=BB52_7 Depth=1
	v_div_scale_f32 v13, null, v12, v12, 1.0
	s_delay_alu instid0(VALU_DEP_1) | instskip(SKIP_2) | instid1(VALU_DEP_1)
	v_rcp_f32_e32 v14, v13
	s_waitcnt_depctr 0xfff
	v_fma_f32 v15, -v13, v14, 1.0
	v_fmac_f32_e32 v14, v15, v14
	v_div_scale_f32 v15, vcc_lo, 1.0, v12, 1.0
	s_delay_alu instid0(VALU_DEP_1) | instskip(NEXT) | instid1(VALU_DEP_1)
	v_mul_f32_e32 v16, v15, v14
	v_fma_f32 v17, -v13, v16, v15
	s_delay_alu instid0(VALU_DEP_1) | instskip(NEXT) | instid1(VALU_DEP_1)
	v_fmac_f32_e32 v16, v17, v14
	v_fma_f32 v13, -v13, v16, v15
	s_delay_alu instid0(VALU_DEP_1) | instskip(NEXT) | instid1(VALU_DEP_1)
	v_div_fmas_f32 v13, v13, v14, v16
	v_div_fixup_f32 v13, v13, v12, 1.0
	s_delay_alu instid0(VALU_DEP_1)
	v_cndmask_b32_e64 v13, v11, v13, s1
	s_branch .LBB52_23
.LBB52_20:                              ;   in Loop: Header=BB52_7 Depth=1
	s_mov_b32 s25, 0
                                        ; implicit-def: $vgpr14
                                        ; implicit-def: $vgpr13
                                        ; implicit-def: $sgpr27
	s_cbranch_execnz .LBB52_24
	s_branch .LBB52_26
.LBB52_21:                              ;   in Loop: Header=BB52_7 Depth=1
	s_mov_b32 s25, -1
                                        ; implicit-def: $vgpr14
                                        ; implicit-def: $vgpr13
                                        ; implicit-def: $sgpr27
	s_branch .LBB52_26
.LBB52_22:                              ;   in Loop: Header=BB52_7 Depth=1
	s_mov_b32 s25, -1
                                        ; implicit-def: $vgpr13
.LBB52_23:                              ;   in Loop: Header=BB52_7 Depth=1
	v_mov_b32_e32 v14, v5
	s_mov_b32 s27, 4
	s_branch .LBB52_26
.LBB52_24:                              ;   in Loop: Header=BB52_7 Depth=1
	s_cmp_eq_u32 s5, 0
	s_cbranch_scc1 .LBB52_30
; %bb.25:                               ;   in Loop: Header=BB52_7 Depth=1
	s_mov_b32 s25, -1
                                        ; implicit-def: $vgpr14
                                        ; implicit-def: $vgpr13
                                        ; implicit-def: $sgpr27
.LBB52_26:                              ;   in Loop: Header=BB52_7 Depth=1
	s_delay_alu instid0(SALU_CYCLE_1)
	s_and_b32 vcc_lo, exec_lo, s25
	s_cbranch_vccnz .LBB52_33
.LBB52_27:                              ;   in Loop: Header=BB52_7 Depth=1
	s_and_b32 vcc_lo, exec_lo, s24
	s_cbranch_vccnz .LBB52_38
.LBB52_28:                              ;   in Loop: Header=BB52_7 Depth=1
	s_cmp_gt_i32 s27, 3
	s_mov_b32 s13, -1
	s_cbranch_scc1 .LBB52_39
.LBB52_29:                              ;   in Loop: Header=BB52_7 Depth=1
	s_cmp_eq_u32 s27, 0
	s_cselect_b32 s24, -1, 0
	s_delay_alu instid0(SALU_CYCLE_1)
	s_and_not1_b32 vcc_lo, exec_lo, s24
	s_cbranch_vccz .LBB52_6
	s_branch .LBB52_40
.LBB52_30:                              ;   in Loop: Header=BB52_7 Depth=1
	s_cmp_le_i32 s13, s20
	s_mov_b32 s25, 0
	s_cbranch_scc0 .LBB52_32
; %bb.31:                               ;   in Loop: Header=BB52_7 Depth=1
	s_cmp_lg_u32 s13, s20
	s_mov_b32 s24, -1
	s_cselect_b32 s25, -1, 0
.LBB52_32:                              ;   in Loop: Header=BB52_7 Depth=1
	v_dual_mov_b32 v14, v5 :: v_dual_mov_b32 v13, v11
	s_mov_b32 s27, 2
	s_and_b32 vcc_lo, exec_lo, s25
	s_cbranch_vccz .LBB52_27
.LBB52_33:                              ;   in Loop: Header=BB52_7 Depth=1
	s_and_saveexec_b32 s27, s3
	s_cbranch_execz .LBB52_35
; %bb.34:                               ;   in Loop: Header=BB52_7 Depth=1
	s_add_i32 s24, s13, s7
	s_delay_alu instid0(SALU_CYCLE_1) | instskip(NEXT) | instid1(SALU_CYCLE_1)
	s_ashr_i32 s25, s24, 31
	s_lshl_b64 s[24:25], s[24:25], 2
	s_delay_alu instid0(SALU_CYCLE_1)
	s_add_u32 s24, s10, s24
	s_addc_u32 s25, s11, s25
	global_load_b32 v13, v1, s[24:25] glc
	s_waitcnt vmcnt(0)
	v_cmp_ne_u32_e32 vcc_lo, 0, v13
	s_cbranch_vccz .LBB52_41
.LBB52_35:                              ;   in Loop: Header=BB52_7 Depth=1
	s_or_b32 exec_lo, exec_lo, s27
	v_mov_b32_e32 v14, 0
	s_waitcnt_vscnt null, 0x0
	s_barrier
	buffer_gl0_inv
	buffer_gl1_inv
	buffer_gl0_inv
	s_and_saveexec_b32 s24, s2
	s_cbranch_execz .LBB52_37
; %bb.36:                               ;   in Loop: Header=BB52_7 Depth=1
	s_mul_i32 s25, s13, s9
	s_mul_hi_u32 s27, s13, s8
	s_ashr_i32 s28, s13, 31
	s_add_i32 s25, s27, s25
	s_mul_i32 s28, s28, s8
	s_delay_alu instid0(SALU_CYCLE_1) | instskip(SKIP_1) | instid1(SALU_CYCLE_1)
	s_add_i32 s29, s25, s28
	s_mul_i32 s28, s13, s8
	s_lshl_b64 s[28:29], s[28:29], 2
	s_delay_alu instid0(SALU_CYCLE_1)
	v_add_co_u32 v13, vcc_lo, v2, s28
	v_add_co_ci_u32_e32 v14, vcc_lo, s29, v3, vcc_lo
	global_load_b32 v13, v[13:14], off
	s_waitcnt vmcnt(0)
	v_fma_f32 v14, -v12, v13, v5
.LBB52_37:                              ;   in Loop: Header=BB52_7 Depth=1
	s_or_b32 exec_lo, exec_lo, s24
	v_mov_b32_e32 v13, v11
	s_mov_b32 s27, 0
	s_branch .LBB52_28
.LBB52_38:                              ;   in Loop: Header=BB52_7 Depth=1
	v_div_scale_f32 v13, null, v12, v12, 1.0
	v_div_scale_f32 v16, vcc_lo, 1.0, v12, 1.0
	s_mov_b32 s27, 2
	s_delay_alu instid0(VALU_DEP_2) | instskip(SKIP_2) | instid1(VALU_DEP_1)
	v_rcp_f32_e32 v14, v13
	s_waitcnt_depctr 0xfff
	v_fma_f32 v15, -v13, v14, 1.0
	v_fmac_f32_e32 v14, v15, v14
	s_delay_alu instid0(VALU_DEP_1) | instskip(NEXT) | instid1(VALU_DEP_1)
	v_mul_f32_e32 v15, v16, v14
	v_fma_f32 v17, -v13, v15, v16
	s_delay_alu instid0(VALU_DEP_1) | instskip(NEXT) | instid1(VALU_DEP_1)
	v_fmac_f32_e32 v15, v17, v14
	v_fma_f32 v13, -v13, v15, v16
	s_delay_alu instid0(VALU_DEP_1) | instskip(SKIP_1) | instid1(VALU_DEP_2)
	v_div_fmas_f32 v13, v13, v14, v15
	v_mov_b32_e32 v14, v5
	v_div_fixup_f32 v12, v13, v12, 1.0
	s_delay_alu instid0(VALU_DEP_1)
	v_cndmask_b32_e64 v13, v11, v12, s1
	s_cmp_gt_i32 s27, 3
	s_mov_b32 s13, -1
	s_cbranch_scc0 .LBB52_29
.LBB52_39:                              ;   in Loop: Header=BB52_7 Depth=1
	s_branch .LBB52_6
.LBB52_40:                              ;   in Loop: Header=BB52_7 Depth=1
                                        ; implicit-def: $sgpr22_sgpr23
	v_mov_b32_e32 v5, v14
	v_mov_b32_e32 v11, v13
	s_and_not1_b32 vcc_lo, exec_lo, s13
	s_cbranch_vccnz .LBB52_7
	s_branch .LBB52_46
.LBB52_41:                              ;   in Loop: Header=BB52_7 Depth=1
	s_mov_b32 s28, 0
	s_branch .LBB52_43
	.p2align	6
.LBB52_42:                              ;   in Loop: Header=BB52_43 Depth=2
	global_load_b32 v13, v1, s[24:25] glc
	s_cmpk_lt_u32 s28, 0xf43
	s_cselect_b32 s29, -1, 0
	s_delay_alu instid0(SALU_CYCLE_1)
	s_cmp_lg_u32 s29, 0
	s_addc_u32 s28, s28, 0
	s_waitcnt vmcnt(0)
	v_cmp_ne_u32_e32 vcc_lo, 0, v13
	s_cbranch_vccnz .LBB52_35
.LBB52_43:                              ;   Parent Loop BB52_7 Depth=1
                                        ; =>  This Loop Header: Depth=2
                                        ;       Child Loop BB52_44 Depth 3
	s_cmp_eq_u32 s28, 0
	s_mov_b32 s29, s28
	s_cbranch_scc1 .LBB52_42
.LBB52_44:                              ;   Parent Loop BB52_7 Depth=1
                                        ;     Parent Loop BB52_43 Depth=2
                                        ; =>    This Inner Loop Header: Depth=3
	s_add_i32 s29, s29, -1
	s_sleep 1
	s_cmp_eq_u32 s29, 0
	s_cbranch_scc0 .LBB52_44
	s_branch .LBB52_42
.LBB52_45:
	v_mov_b32_e32 v14, v5
.LBB52_46:
	s_and_saveexec_b32 s0, s2
	s_cbranch_execz .LBB52_48
; %bb.47:
	s_delay_alu instid0(VALU_DEP_1) | instskip(SKIP_3) | instid1(VALU_DEP_1)
	v_mul_f32_e32 v1, v13, v14
	s_cmp_eq_u32 s6, 0
	s_cselect_b32 vcc_lo, -1, 0
	s_lshl_b64 s[2:3], s[18:19], 2
	v_cndmask_b32_e32 v4, v14, v1, vcc_lo
	v_add_co_u32 v1, vcc_lo, v2, s2
	v_add_co_ci_u32_e32 v2, vcc_lo, s3, v3, vcc_lo
	global_store_b32 v[1:2], v4, off
.LBB52_48:
	s_or_b32 exec_lo, exec_lo, s0
	s_waitcnt_vscnt null, 0x0
	buffer_gl1_inv
	buffer_gl0_inv
	s_barrier
	buffer_gl0_inv
	s_mov_b32 s0, exec_lo
	v_cmpx_eq_u32_e32 0, v0
	s_cbranch_execz .LBB52_50
; %bb.49:
	s_add_i32 s0, s20, s7
	v_dual_mov_b32 v0, 0 :: v_dual_mov_b32 v1, 1
	s_ashr_i32 s1, s0, 31
	s_delay_alu instid0(SALU_CYCLE_1) | instskip(NEXT) | instid1(SALU_CYCLE_1)
	s_lshl_b64 s[0:1], s[0:1], 2
	s_add_u32 s0, s10, s0
	s_addc_u32 s1, s11, s1
	global_store_b32 v0, v1, s[0:1]
.LBB52_50:
	s_nop 0
	s_sendmsg sendmsg(MSG_DEALLOC_VGPRS)
	s_endpgm
	.section	.rodata,"a",@progbits
	.p2align	6, 0x0
	.amdhsa_kernel _ZN9rocsparseL5csrsmILj1024ELj64ELb1ElifEEv20rocsparse_operation_T3_S2_NS_24const_host_device_scalarIT4_EEPKT2_PKS2_PKS4_PS4_lPiSA_PS2_21rocsparse_index_base_20rocsparse_fill_mode_20rocsparse_diag_type_b
		.amdhsa_group_segment_fixed_size 8192
		.amdhsa_private_segment_fixed_size 0
		.amdhsa_kernarg_size 104
		.amdhsa_user_sgpr_count 15
		.amdhsa_user_sgpr_dispatch_ptr 0
		.amdhsa_user_sgpr_queue_ptr 0
		.amdhsa_user_sgpr_kernarg_segment_ptr 1
		.amdhsa_user_sgpr_dispatch_id 0
		.amdhsa_user_sgpr_private_segment_size 0
		.amdhsa_wavefront_size32 1
		.amdhsa_uses_dynamic_stack 0
		.amdhsa_enable_private_segment 0
		.amdhsa_system_sgpr_workgroup_id_x 1
		.amdhsa_system_sgpr_workgroup_id_y 0
		.amdhsa_system_sgpr_workgroup_id_z 0
		.amdhsa_system_sgpr_workgroup_info 0
		.amdhsa_system_vgpr_workitem_id 0
		.amdhsa_next_free_vgpr 18
		.amdhsa_next_free_sgpr 32
		.amdhsa_reserve_vcc 1
		.amdhsa_float_round_mode_32 0
		.amdhsa_float_round_mode_16_64 0
		.amdhsa_float_denorm_mode_32 3
		.amdhsa_float_denorm_mode_16_64 3
		.amdhsa_dx10_clamp 1
		.amdhsa_ieee_mode 1
		.amdhsa_fp16_overflow 0
		.amdhsa_workgroup_processor_mode 1
		.amdhsa_memory_ordered 1
		.amdhsa_forward_progress 0
		.amdhsa_shared_vgpr_count 0
		.amdhsa_exception_fp_ieee_invalid_op 0
		.amdhsa_exception_fp_denorm_src 0
		.amdhsa_exception_fp_ieee_div_zero 0
		.amdhsa_exception_fp_ieee_overflow 0
		.amdhsa_exception_fp_ieee_underflow 0
		.amdhsa_exception_fp_ieee_inexact 0
		.amdhsa_exception_int_div_zero 0
	.end_amdhsa_kernel
	.section	.text._ZN9rocsparseL5csrsmILj1024ELj64ELb1ElifEEv20rocsparse_operation_T3_S2_NS_24const_host_device_scalarIT4_EEPKT2_PKS2_PKS4_PS4_lPiSA_PS2_21rocsparse_index_base_20rocsparse_fill_mode_20rocsparse_diag_type_b,"axG",@progbits,_ZN9rocsparseL5csrsmILj1024ELj64ELb1ElifEEv20rocsparse_operation_T3_S2_NS_24const_host_device_scalarIT4_EEPKT2_PKS2_PKS4_PS4_lPiSA_PS2_21rocsparse_index_base_20rocsparse_fill_mode_20rocsparse_diag_type_b,comdat
.Lfunc_end52:
	.size	_ZN9rocsparseL5csrsmILj1024ELj64ELb1ElifEEv20rocsparse_operation_T3_S2_NS_24const_host_device_scalarIT4_EEPKT2_PKS2_PKS4_PS4_lPiSA_PS2_21rocsparse_index_base_20rocsparse_fill_mode_20rocsparse_diag_type_b, .Lfunc_end52-_ZN9rocsparseL5csrsmILj1024ELj64ELb1ElifEEv20rocsparse_operation_T3_S2_NS_24const_host_device_scalarIT4_EEPKT2_PKS2_PKS4_PS4_lPiSA_PS2_21rocsparse_index_base_20rocsparse_fill_mode_20rocsparse_diag_type_b
                                        ; -- End function
	.section	.AMDGPU.csdata,"",@progbits
; Kernel info:
; codeLenInByte = 1768
; NumSgprs: 34
; NumVgprs: 18
; ScratchSize: 0
; MemoryBound: 0
; FloatMode: 240
; IeeeMode: 1
; LDSByteSize: 8192 bytes/workgroup (compile time only)
; SGPRBlocks: 4
; VGPRBlocks: 2
; NumSGPRsForWavesPerEU: 34
; NumVGPRsForWavesPerEU: 18
; Occupancy: 16
; WaveLimiterHint : 1
; COMPUTE_PGM_RSRC2:SCRATCH_EN: 0
; COMPUTE_PGM_RSRC2:USER_SGPR: 15
; COMPUTE_PGM_RSRC2:TRAP_HANDLER: 0
; COMPUTE_PGM_RSRC2:TGID_X_EN: 1
; COMPUTE_PGM_RSRC2:TGID_Y_EN: 0
; COMPUTE_PGM_RSRC2:TGID_Z_EN: 0
; COMPUTE_PGM_RSRC2:TIDIG_COMP_CNT: 0
	.section	.text._ZN9rocsparseL5csrsmILj1024ELj64ELb0ElifEEv20rocsparse_operation_T3_S2_NS_24const_host_device_scalarIT4_EEPKT2_PKS2_PKS4_PS4_lPiSA_PS2_21rocsparse_index_base_20rocsparse_fill_mode_20rocsparse_diag_type_b,"axG",@progbits,_ZN9rocsparseL5csrsmILj1024ELj64ELb0ElifEEv20rocsparse_operation_T3_S2_NS_24const_host_device_scalarIT4_EEPKT2_PKS2_PKS4_PS4_lPiSA_PS2_21rocsparse_index_base_20rocsparse_fill_mode_20rocsparse_diag_type_b,comdat
	.globl	_ZN9rocsparseL5csrsmILj1024ELj64ELb0ElifEEv20rocsparse_operation_T3_S2_NS_24const_host_device_scalarIT4_EEPKT2_PKS2_PKS4_PS4_lPiSA_PS2_21rocsparse_index_base_20rocsparse_fill_mode_20rocsparse_diag_type_b ; -- Begin function _ZN9rocsparseL5csrsmILj1024ELj64ELb0ElifEEv20rocsparse_operation_T3_S2_NS_24const_host_device_scalarIT4_EEPKT2_PKS2_PKS4_PS4_lPiSA_PS2_21rocsparse_index_base_20rocsparse_fill_mode_20rocsparse_diag_type_b
	.p2align	8
	.type	_ZN9rocsparseL5csrsmILj1024ELj64ELb0ElifEEv20rocsparse_operation_T3_S2_NS_24const_host_device_scalarIT4_EEPKT2_PKS2_PKS4_PS4_lPiSA_PS2_21rocsparse_index_base_20rocsparse_fill_mode_20rocsparse_diag_type_b,@function
_ZN9rocsparseL5csrsmILj1024ELj64ELb0ElifEEv20rocsparse_operation_T3_S2_NS_24const_host_device_scalarIT4_EEPKT2_PKS2_PKS4_PS4_lPiSA_PS2_21rocsparse_index_base_20rocsparse_fill_mode_20rocsparse_diag_type_b: ; @_ZN9rocsparseL5csrsmILj1024ELj64ELb0ElifEEv20rocsparse_operation_T3_S2_NS_24const_host_device_scalarIT4_EEPKT2_PKS2_PKS4_PS4_lPiSA_PS2_21rocsparse_index_base_20rocsparse_fill_mode_20rocsparse_diag_type_b
; %bb.0:
	s_clause 0x3
	s_load_b128 s[4:7], s[0:1], 0x58
	s_load_b64 s[2:3], s[0:1], 0x48
	s_load_b128 s[16:19], s[0:1], 0x10
	s_load_b64 s[22:23], s[0:1], 0x30
	s_waitcnt lgkmcnt(0)
	s_bitcmp1_b32 s7, 0
	s_cselect_b32 s7, -1, 0
	s_delay_alu instid0(SALU_CYCLE_1)
	s_and_b32 vcc_lo, exec_lo, s7
	s_cbranch_vccnz .LBB53_2
; %bb.1:
	s_load_b32 s16, s[16:17], 0x0
.LBB53_2:
	s_load_b64 s[24:25], s[0:1], 0x4
	v_mov_b32_e32 v5, 0
	s_waitcnt lgkmcnt(0)
	v_cvt_f32_u32_e32 v1, s24
	s_sub_i32 s8, 0, s24
	s_delay_alu instid0(VALU_DEP_1) | instskip(SKIP_2) | instid1(VALU_DEP_1)
	v_rcp_iflag_f32_e32 v1, v1
	s_waitcnt_depctr 0xfff
	v_mul_f32_e32 v1, 0x4f7ffffe, v1
	v_cvt_u32_f32_e32 v1, v1
	s_delay_alu instid0(VALU_DEP_1) | instskip(NEXT) | instid1(VALU_DEP_1)
	v_readfirstlane_b32 s7, v1
	s_mul_i32 s8, s8, s7
	s_delay_alu instid0(SALU_CYCLE_1) | instskip(NEXT) | instid1(SALU_CYCLE_1)
	s_mul_hi_u32 s8, s7, s8
	s_add_i32 s7, s7, s8
	s_delay_alu instid0(SALU_CYCLE_1) | instskip(NEXT) | instid1(SALU_CYCLE_1)
	s_mul_hi_u32 s7, s15, s7
	s_mul_i32 s8, s7, s24
	s_add_i32 s9, s7, 1
	s_sub_i32 s8, s15, s8
	s_delay_alu instid0(SALU_CYCLE_1)
	s_sub_i32 s10, s8, s24
	s_cmp_ge_u32 s8, s24
	s_cselect_b32 s7, s9, s7
	s_cselect_b32 s8, s10, s8
	s_add_i32 s9, s7, 1
	s_cmp_ge_u32 s8, s24
	s_cselect_b32 s17, s9, s7
	s_delay_alu instid0(SALU_CYCLE_1) | instskip(SKIP_2) | instid1(SALU_CYCLE_1)
	s_mul_i32 s7, s17, s24
	v_lshl_or_b32 v1, s17, 10, v0
	s_sub_i32 s8, s15, s7
	s_ashr_i32 s9, s8, 31
	s_delay_alu instid0(VALU_DEP_1) | instskip(SKIP_1) | instid1(SALU_CYCLE_1)
	v_ashrrev_i32_e32 v2, 31, v1
	s_lshl_b64 s[8:9], s[8:9], 2
	s_add_u32 s2, s2, s8
	s_addc_u32 s3, s3, s9
	s_load_b32 s20, s[2:3], 0x0
	s_load_b128 s[8:11], s[0:1], 0x38
	s_waitcnt lgkmcnt(0)
	s_ashr_i32 s21, s20, 31
	s_delay_alu instid0(SALU_CYCLE_1)
	s_lshl_b64 s[2:3], s[20:21], 3
	s_mul_i32 s17, s21, s8
	s_add_u32 s2, s18, s2
	s_addc_u32 s3, s19, s3
	s_mul_i32 s18, s20, s8
	s_load_b128 s[12:15], s[2:3], 0x0
	s_mul_i32 s2, s20, s9
	s_mul_hi_u32 s3, s20, s8
	s_delay_alu instid0(SALU_CYCLE_1) | instskip(SKIP_2) | instid1(VALU_DEP_1)
	s_add_i32 s3, s3, s2
	v_cmp_gt_i32_e64 s2, s25, v1
	s_add_i32 s19, s3, s17
	s_and_saveexec_b32 s3, s2
	s_cbranch_execz .LBB53_4
; %bb.3:
	v_add_co_u32 v3, vcc_lo, s18, v1
	v_add_co_ci_u32_e32 v4, vcc_lo, s19, v2, vcc_lo
	s_delay_alu instid0(VALU_DEP_1) | instskip(NEXT) | instid1(VALU_DEP_1)
	v_lshlrev_b64 v[3:4], 2, v[3:4]
	v_add_co_u32 v3, vcc_lo, s22, v3
	s_delay_alu instid0(VALU_DEP_2)
	v_add_co_ci_u32_e32 v4, vcc_lo, s23, v4, vcc_lo
	global_load_b32 v3, v[3:4], off
	s_waitcnt vmcnt(0)
	v_mul_f32_e32 v5, s16, v3
.LBB53_4:
	s_or_b32 exec_lo, exec_lo, s3
	v_lshlrev_b64 v[2:3], 2, v[1:2]
	s_waitcnt lgkmcnt(0)
	v_cmp_ge_i64_e64 s3, s[12:13], s[14:15]
	v_mov_b32_e32 v13, 1.0
	s_delay_alu instid0(VALU_DEP_3) | instskip(NEXT) | instid1(VALU_DEP_4)
	v_add_co_u32 v2, vcc_lo, s22, v2
	v_add_co_ci_u32_e32 v3, vcc_lo, s23, v3, vcc_lo
	s_delay_alu instid0(VALU_DEP_4)
	s_and_b32 vcc_lo, exec_lo, s3
	v_cmp_eq_u32_e64 s3, 0, v0
	s_cbranch_vccnz .LBB53_42
; %bb.5:
	s_clause 0x1
	s_load_b128 s[28:31], s[0:1], 0x20
	s_load_b64 s[16:17], s[0:1], 0x50
	v_dual_mov_b32 v1, 0 :: v_dual_lshlrev_b32 v4, 2, v0
	s_sub_u32 s12, s12, s4
	s_subb_u32 s13, s13, 0
	s_sub_u32 s14, s14, s4
	s_subb_u32 s15, s15, 0
	s_cmp_lg_u32 s6, 0
	v_cmp_ne_u32_e64 s0, 0, v0
	v_or_b32_e32 v6, 0x1000, v4
	s_cselect_b32 s21, -1, 0
	s_add_i32 s26, s20, s4
	v_mov_b32_e32 v11, 1.0
	s_cmp_eq_u32 s6, 0
	s_mov_b64 s[22:23], s[12:13]
	s_waitcnt lgkmcnt(0)
	v_add_co_u32 v7, s1, s28, v4
	s_delay_alu instid0(VALU_DEP_1) | instskip(SKIP_1) | instid1(VALU_DEP_1)
	v_add_co_ci_u32_e64 v8, null, s29, 0, s1
	v_add_co_u32 v9, s1, s30, v4
	v_add_co_ci_u32_e64 v10, null, s31, 0, s1
	s_cselect_b32 s1, -1, 0
	s_branch .LBB53_7
.LBB53_6:                               ;   in Loop: Header=BB53_7 Depth=1
	s_add_u32 s22, s22, 1
	s_addc_u32 s23, s23, 0
	s_delay_alu instid0(SALU_CYCLE_1) | instskip(SKIP_2) | instid1(VALU_DEP_3)
	v_cmp_ge_i64_e64 s13, s[22:23], s[14:15]
	v_mov_b32_e32 v5, v14
	v_mov_b32_e32 v11, v13
	s_and_not1_b32 vcc_lo, exec_lo, s13
	s_cbranch_vccz .LBB53_43
.LBB53_7:                               ; =>This Loop Header: Depth=1
                                        ;     Child Loop BB53_35 Depth 2
	s_sub_i32 s13, s22, s12
	s_delay_alu instid0(SALU_CYCLE_1) | instskip(NEXT) | instid1(SALU_CYCLE_1)
	s_and_b32 s13, s13, 0x3ff
	s_cmp_lg_u32 s13, 0
	s_cbranch_scc1 .LBB53_11
; %bb.8:                                ;   in Loop: Header=BB53_7 Depth=1
	s_sub_u32 s24, s14, s22
	s_subb_u32 s25, s15, s23
	v_dual_mov_b32 v13, -1 :: v_dual_mov_b32 v12, -1.0
	v_cmp_gt_i64_e32 vcc_lo, s[24:25], v[0:1]
	s_and_saveexec_b32 s24, vcc_lo
	s_cbranch_execz .LBB53_10
; %bb.9:                                ;   in Loop: Header=BB53_7 Depth=1
	s_lshl_b64 s[28:29], s[22:23], 2
	s_delay_alu instid0(SALU_CYCLE_1)
	v_add_co_u32 v12, vcc_lo, v7, s28
	v_add_co_ci_u32_e32 v13, vcc_lo, s29, v8, vcc_lo
	global_load_b32 v14, v[12:13], off
	v_add_co_u32 v12, vcc_lo, v9, s28
	v_add_co_ci_u32_e32 v13, vcc_lo, s29, v10, vcc_lo
	global_load_b32 v12, v[12:13], off
	s_waitcnt vmcnt(1)
	v_subrev_nc_u32_e32 v13, s4, v14
.LBB53_10:                              ;   in Loop: Header=BB53_7 Depth=1
	s_or_b32 exec_lo, exec_lo, s24
	ds_store_b32 v4, v13
	s_waitcnt vmcnt(0)
	ds_store_b32 v6, v12
.LBB53_11:                              ;   in Loop: Header=BB53_7 Depth=1
	s_lshl_b32 s13, s13, 2
	s_waitcnt lgkmcnt(0)
	v_mov_b32_e32 v12, s13
	s_waitcnt_vscnt null, 0x0
	s_barrier
	buffer_gl0_inv
	ds_load_2addr_stride64_b32 v[12:13], v12 offset1:16
	s_waitcnt lgkmcnt(0)
	v_readfirstlane_b32 s13, v12
	v_cmp_neq_f32_e32 vcc_lo, 0, v13
	s_delay_alu instid0(VALU_DEP_2) | instskip(SKIP_1) | instid1(SALU_CYCLE_1)
	s_cmp_lg_u32 s13, s20
	s_cselect_b32 s24, -1, 0
	s_or_b32 s24, s21, s24
	s_delay_alu instid0(SALU_CYCLE_1) | instskip(SKIP_2) | instid1(SALU_CYCLE_1)
	s_or_b32 vcc_lo, vcc_lo, s24
	v_cndmask_b32_e32 v12, 1.0, v13, vcc_lo
	s_or_b32 s24, s0, vcc_lo
	s_xor_b32 s25, s24, -1
	s_delay_alu instid0(SALU_CYCLE_1)
	s_and_saveexec_b32 s24, s25
	s_cbranch_execz .LBB53_15
; %bb.12:                               ;   in Loop: Header=BB53_7 Depth=1
	v_mbcnt_lo_u32_b32 v12, exec_lo, 0
	s_mov_b32 s25, exec_lo
	s_delay_alu instid0(VALU_DEP_1)
	v_cmpx_eq_u32_e32 0, v12
	s_cbranch_execz .LBB53_14
; %bb.13:                               ;   in Loop: Header=BB53_7 Depth=1
	v_mov_b32_e32 v12, s26
	global_atomic_min_i32 v1, v12, s[16:17]
.LBB53_14:                              ;   in Loop: Header=BB53_7 Depth=1
	s_or_b32 exec_lo, exec_lo, s25
	v_mov_b32_e32 v12, 1.0
.LBB53_15:                              ;   in Loop: Header=BB53_7 Depth=1
	s_or_b32 exec_lo, exec_lo, s24
	s_cmp_lt_i32 s5, 1
	s_mov_b32 s24, 0
	s_cbranch_scc1 .LBB53_20
; %bb.16:                               ;   in Loop: Header=BB53_7 Depth=1
	s_cmp_eq_u32 s5, 1
	s_cbranch_scc0 .LBB53_21
; %bb.17:                               ;   in Loop: Header=BB53_7 Depth=1
	v_mov_b32_e32 v13, v11
	s_cmp_ge_i32 s13, s20
	s_mov_b32 s25, 0
	s_cbranch_scc0 .LBB53_23
; %bb.18:                               ;   in Loop: Header=BB53_7 Depth=1
	s_cmp_eq_u32 s13, s20
	s_cbranch_scc0 .LBB53_22
; %bb.19:                               ;   in Loop: Header=BB53_7 Depth=1
	v_div_scale_f32 v13, null, v12, v12, 1.0
	s_delay_alu instid0(VALU_DEP_1) | instskip(SKIP_2) | instid1(VALU_DEP_1)
	v_rcp_f32_e32 v14, v13
	s_waitcnt_depctr 0xfff
	v_fma_f32 v15, -v13, v14, 1.0
	v_fmac_f32_e32 v14, v15, v14
	v_div_scale_f32 v15, vcc_lo, 1.0, v12, 1.0
	s_delay_alu instid0(VALU_DEP_1) | instskip(NEXT) | instid1(VALU_DEP_1)
	v_mul_f32_e32 v16, v15, v14
	v_fma_f32 v17, -v13, v16, v15
	s_delay_alu instid0(VALU_DEP_1) | instskip(NEXT) | instid1(VALU_DEP_1)
	v_fmac_f32_e32 v16, v17, v14
	v_fma_f32 v13, -v13, v16, v15
	s_delay_alu instid0(VALU_DEP_1) | instskip(NEXT) | instid1(VALU_DEP_1)
	v_div_fmas_f32 v13, v13, v14, v16
	v_div_fixup_f32 v13, v13, v12, 1.0
	s_delay_alu instid0(VALU_DEP_1)
	v_cndmask_b32_e64 v13, v11, v13, s1
	s_branch .LBB53_23
.LBB53_20:                              ;   in Loop: Header=BB53_7 Depth=1
	s_mov_b32 s25, 0
                                        ; implicit-def: $vgpr14
                                        ; implicit-def: $vgpr13
                                        ; implicit-def: $sgpr27
	s_cbranch_execnz .LBB53_24
	s_branch .LBB53_26
.LBB53_21:                              ;   in Loop: Header=BB53_7 Depth=1
	s_mov_b32 s25, -1
                                        ; implicit-def: $vgpr14
                                        ; implicit-def: $vgpr13
                                        ; implicit-def: $sgpr27
	s_branch .LBB53_26
.LBB53_22:                              ;   in Loop: Header=BB53_7 Depth=1
	s_mov_b32 s25, -1
                                        ; implicit-def: $vgpr13
.LBB53_23:                              ;   in Loop: Header=BB53_7 Depth=1
	v_mov_b32_e32 v14, v5
	s_mov_b32 s27, 4
	s_branch .LBB53_26
.LBB53_24:                              ;   in Loop: Header=BB53_7 Depth=1
	s_cmp_eq_u32 s5, 0
	s_cbranch_scc1 .LBB53_30
; %bb.25:                               ;   in Loop: Header=BB53_7 Depth=1
	s_mov_b32 s25, -1
                                        ; implicit-def: $vgpr14
                                        ; implicit-def: $vgpr13
                                        ; implicit-def: $sgpr27
.LBB53_26:                              ;   in Loop: Header=BB53_7 Depth=1
	s_delay_alu instid0(SALU_CYCLE_1)
	s_and_b32 vcc_lo, exec_lo, s25
	s_cbranch_vccnz .LBB53_33
.LBB53_27:                              ;   in Loop: Header=BB53_7 Depth=1
	s_and_b32 vcc_lo, exec_lo, s24
	s_cbranch_vccnz .LBB53_39
.LBB53_28:                              ;   in Loop: Header=BB53_7 Depth=1
	s_cmp_gt_i32 s27, 3
	s_mov_b32 s13, -1
	s_cbranch_scc1 .LBB53_40
.LBB53_29:                              ;   in Loop: Header=BB53_7 Depth=1
	s_cmp_eq_u32 s27, 0
	s_cselect_b32 s24, -1, 0
	s_delay_alu instid0(SALU_CYCLE_1)
	s_and_not1_b32 vcc_lo, exec_lo, s24
	s_cbranch_vccz .LBB53_6
	s_branch .LBB53_41
.LBB53_30:                              ;   in Loop: Header=BB53_7 Depth=1
	s_cmp_le_i32 s13, s20
	s_mov_b32 s25, 0
	s_cbranch_scc0 .LBB53_32
; %bb.31:                               ;   in Loop: Header=BB53_7 Depth=1
	s_cmp_lg_u32 s13, s20
	s_mov_b32 s24, -1
	s_cselect_b32 s25, -1, 0
.LBB53_32:                              ;   in Loop: Header=BB53_7 Depth=1
	v_dual_mov_b32 v14, v5 :: v_dual_mov_b32 v13, v11
	s_mov_b32 s27, 2
	s_and_b32 vcc_lo, exec_lo, s25
	s_cbranch_vccz .LBB53_27
.LBB53_33:                              ;   in Loop: Header=BB53_7 Depth=1
	s_and_saveexec_b32 s27, s3
	s_cbranch_execz .LBB53_36
; %bb.34:                               ;   in Loop: Header=BB53_7 Depth=1
	s_add_i32 s24, s13, s7
	s_delay_alu instid0(SALU_CYCLE_1) | instskip(NEXT) | instid1(SALU_CYCLE_1)
	s_ashr_i32 s25, s24, 31
	s_lshl_b64 s[24:25], s[24:25], 2
	s_delay_alu instid0(SALU_CYCLE_1)
	s_add_u32 s24, s10, s24
	s_addc_u32 s25, s11, s25
	global_load_b32 v13, v1, s[24:25] glc
	s_waitcnt vmcnt(0)
	v_cmp_ne_u32_e32 vcc_lo, 0, v13
	s_cbranch_vccnz .LBB53_36
.LBB53_35:                              ;   Parent Loop BB53_7 Depth=1
                                        ; =>  This Inner Loop Header: Depth=2
	global_load_b32 v13, v1, s[24:25] glc
	s_waitcnt vmcnt(0)
	v_cmp_eq_u32_e32 vcc_lo, 0, v13
	s_cbranch_vccnz .LBB53_35
.LBB53_36:                              ;   in Loop: Header=BB53_7 Depth=1
	s_or_b32 exec_lo, exec_lo, s27
	v_mov_b32_e32 v14, 0
	s_waitcnt_vscnt null, 0x0
	s_barrier
	buffer_gl0_inv
	buffer_gl1_inv
	buffer_gl0_inv
	s_and_saveexec_b32 s24, s2
	s_cbranch_execz .LBB53_38
; %bb.37:                               ;   in Loop: Header=BB53_7 Depth=1
	s_mul_i32 s25, s13, s9
	s_mul_hi_u32 s27, s13, s8
	s_ashr_i32 s28, s13, 31
	s_add_i32 s25, s27, s25
	s_mul_i32 s28, s28, s8
	s_delay_alu instid0(SALU_CYCLE_1) | instskip(SKIP_1) | instid1(SALU_CYCLE_1)
	s_add_i32 s29, s25, s28
	s_mul_i32 s28, s13, s8
	s_lshl_b64 s[28:29], s[28:29], 2
	s_delay_alu instid0(SALU_CYCLE_1)
	v_add_co_u32 v13, vcc_lo, v2, s28
	v_add_co_ci_u32_e32 v14, vcc_lo, s29, v3, vcc_lo
	global_load_b32 v13, v[13:14], off
	s_waitcnt vmcnt(0)
	v_fma_f32 v14, -v12, v13, v5
.LBB53_38:                              ;   in Loop: Header=BB53_7 Depth=1
	s_or_b32 exec_lo, exec_lo, s24
	v_mov_b32_e32 v13, v11
	s_mov_b32 s27, 0
	s_branch .LBB53_28
.LBB53_39:                              ;   in Loop: Header=BB53_7 Depth=1
	v_div_scale_f32 v13, null, v12, v12, 1.0
	v_div_scale_f32 v16, vcc_lo, 1.0, v12, 1.0
	s_mov_b32 s27, 2
	s_delay_alu instid0(VALU_DEP_2) | instskip(SKIP_2) | instid1(VALU_DEP_1)
	v_rcp_f32_e32 v14, v13
	s_waitcnt_depctr 0xfff
	v_fma_f32 v15, -v13, v14, 1.0
	v_fmac_f32_e32 v14, v15, v14
	s_delay_alu instid0(VALU_DEP_1) | instskip(NEXT) | instid1(VALU_DEP_1)
	v_mul_f32_e32 v15, v16, v14
	v_fma_f32 v17, -v13, v15, v16
	s_delay_alu instid0(VALU_DEP_1) | instskip(NEXT) | instid1(VALU_DEP_1)
	v_fmac_f32_e32 v15, v17, v14
	v_fma_f32 v13, -v13, v15, v16
	s_delay_alu instid0(VALU_DEP_1) | instskip(SKIP_1) | instid1(VALU_DEP_2)
	v_div_fmas_f32 v13, v13, v14, v15
	v_mov_b32_e32 v14, v5
	v_div_fixup_f32 v12, v13, v12, 1.0
	s_delay_alu instid0(VALU_DEP_1)
	v_cndmask_b32_e64 v13, v11, v12, s1
	s_cmp_gt_i32 s27, 3
	s_mov_b32 s13, -1
	s_cbranch_scc0 .LBB53_29
.LBB53_40:                              ;   in Loop: Header=BB53_7 Depth=1
	s_branch .LBB53_6
.LBB53_41:                              ;   in Loop: Header=BB53_7 Depth=1
                                        ; implicit-def: $sgpr22_sgpr23
	v_mov_b32_e32 v5, v14
	v_mov_b32_e32 v11, v13
	s_and_not1_b32 vcc_lo, exec_lo, s13
	s_cbranch_vccnz .LBB53_7
	s_branch .LBB53_43
.LBB53_42:
	v_mov_b32_e32 v14, v5
.LBB53_43:
	s_and_saveexec_b32 s0, s2
	s_cbranch_execz .LBB53_45
; %bb.44:
	s_delay_alu instid0(VALU_DEP_1) | instskip(SKIP_3) | instid1(VALU_DEP_1)
	v_mul_f32_e32 v1, v13, v14
	s_cmp_eq_u32 s6, 0
	s_cselect_b32 vcc_lo, -1, 0
	s_lshl_b64 s[2:3], s[18:19], 2
	v_cndmask_b32_e32 v4, v14, v1, vcc_lo
	v_add_co_u32 v1, vcc_lo, v2, s2
	v_add_co_ci_u32_e32 v2, vcc_lo, s3, v3, vcc_lo
	global_store_b32 v[1:2], v4, off
.LBB53_45:
	s_or_b32 exec_lo, exec_lo, s0
	s_waitcnt_vscnt null, 0x0
	buffer_gl1_inv
	buffer_gl0_inv
	s_barrier
	buffer_gl0_inv
	s_mov_b32 s0, exec_lo
	v_cmpx_eq_u32_e32 0, v0
	s_cbranch_execz .LBB53_47
; %bb.46:
	s_add_i32 s0, s20, s7
	v_dual_mov_b32 v0, 0 :: v_dual_mov_b32 v1, 1
	s_ashr_i32 s1, s0, 31
	s_delay_alu instid0(SALU_CYCLE_1) | instskip(NEXT) | instid1(SALU_CYCLE_1)
	s_lshl_b64 s[0:1], s[0:1], 2
	s_add_u32 s0, s10, s0
	s_addc_u32 s1, s11, s1
	global_store_b32 v0, v1, s[0:1]
.LBB53_47:
	s_nop 0
	s_sendmsg sendmsg(MSG_DEALLOC_VGPRS)
	s_endpgm
	.section	.rodata,"a",@progbits
	.p2align	6, 0x0
	.amdhsa_kernel _ZN9rocsparseL5csrsmILj1024ELj64ELb0ElifEEv20rocsparse_operation_T3_S2_NS_24const_host_device_scalarIT4_EEPKT2_PKS2_PKS4_PS4_lPiSA_PS2_21rocsparse_index_base_20rocsparse_fill_mode_20rocsparse_diag_type_b
		.amdhsa_group_segment_fixed_size 8192
		.amdhsa_private_segment_fixed_size 0
		.amdhsa_kernarg_size 104
		.amdhsa_user_sgpr_count 15
		.amdhsa_user_sgpr_dispatch_ptr 0
		.amdhsa_user_sgpr_queue_ptr 0
		.amdhsa_user_sgpr_kernarg_segment_ptr 1
		.amdhsa_user_sgpr_dispatch_id 0
		.amdhsa_user_sgpr_private_segment_size 0
		.amdhsa_wavefront_size32 1
		.amdhsa_uses_dynamic_stack 0
		.amdhsa_enable_private_segment 0
		.amdhsa_system_sgpr_workgroup_id_x 1
		.amdhsa_system_sgpr_workgroup_id_y 0
		.amdhsa_system_sgpr_workgroup_id_z 0
		.amdhsa_system_sgpr_workgroup_info 0
		.amdhsa_system_vgpr_workitem_id 0
		.amdhsa_next_free_vgpr 18
		.amdhsa_next_free_sgpr 32
		.amdhsa_reserve_vcc 1
		.amdhsa_float_round_mode_32 0
		.amdhsa_float_round_mode_16_64 0
		.amdhsa_float_denorm_mode_32 3
		.amdhsa_float_denorm_mode_16_64 3
		.amdhsa_dx10_clamp 1
		.amdhsa_ieee_mode 1
		.amdhsa_fp16_overflow 0
		.amdhsa_workgroup_processor_mode 1
		.amdhsa_memory_ordered 1
		.amdhsa_forward_progress 0
		.amdhsa_shared_vgpr_count 0
		.amdhsa_exception_fp_ieee_invalid_op 0
		.amdhsa_exception_fp_denorm_src 0
		.amdhsa_exception_fp_ieee_div_zero 0
		.amdhsa_exception_fp_ieee_overflow 0
		.amdhsa_exception_fp_ieee_underflow 0
		.amdhsa_exception_fp_ieee_inexact 0
		.amdhsa_exception_int_div_zero 0
	.end_amdhsa_kernel
	.section	.text._ZN9rocsparseL5csrsmILj1024ELj64ELb0ElifEEv20rocsparse_operation_T3_S2_NS_24const_host_device_scalarIT4_EEPKT2_PKS2_PKS4_PS4_lPiSA_PS2_21rocsparse_index_base_20rocsparse_fill_mode_20rocsparse_diag_type_b,"axG",@progbits,_ZN9rocsparseL5csrsmILj1024ELj64ELb0ElifEEv20rocsparse_operation_T3_S2_NS_24const_host_device_scalarIT4_EEPKT2_PKS2_PKS4_PS4_lPiSA_PS2_21rocsparse_index_base_20rocsparse_fill_mode_20rocsparse_diag_type_b,comdat
.Lfunc_end53:
	.size	_ZN9rocsparseL5csrsmILj1024ELj64ELb0ElifEEv20rocsparse_operation_T3_S2_NS_24const_host_device_scalarIT4_EEPKT2_PKS2_PKS4_PS4_lPiSA_PS2_21rocsparse_index_base_20rocsparse_fill_mode_20rocsparse_diag_type_b, .Lfunc_end53-_ZN9rocsparseL5csrsmILj1024ELj64ELb0ElifEEv20rocsparse_operation_T3_S2_NS_24const_host_device_scalarIT4_EEPKT2_PKS2_PKS4_PS4_lPiSA_PS2_21rocsparse_index_base_20rocsparse_fill_mode_20rocsparse_diag_type_b
                                        ; -- End function
	.section	.AMDGPU.csdata,"",@progbits
; Kernel info:
; codeLenInByte = 1708
; NumSgprs: 34
; NumVgprs: 18
; ScratchSize: 0
; MemoryBound: 0
; FloatMode: 240
; IeeeMode: 1
; LDSByteSize: 8192 bytes/workgroup (compile time only)
; SGPRBlocks: 4
; VGPRBlocks: 2
; NumSGPRsForWavesPerEU: 34
; NumVGPRsForWavesPerEU: 18
; Occupancy: 16
; WaveLimiterHint : 1
; COMPUTE_PGM_RSRC2:SCRATCH_EN: 0
; COMPUTE_PGM_RSRC2:USER_SGPR: 15
; COMPUTE_PGM_RSRC2:TRAP_HANDLER: 0
; COMPUTE_PGM_RSRC2:TGID_X_EN: 1
; COMPUTE_PGM_RSRC2:TGID_Y_EN: 0
; COMPUTE_PGM_RSRC2:TGID_Z_EN: 0
; COMPUTE_PGM_RSRC2:TIDIG_COMP_CNT: 0
	.section	.text._ZN9rocsparseL5csrsmILj64ELj64ELb1ElidEEv20rocsparse_operation_T3_S2_NS_24const_host_device_scalarIT4_EEPKT2_PKS2_PKS4_PS4_lPiSA_PS2_21rocsparse_index_base_20rocsparse_fill_mode_20rocsparse_diag_type_b,"axG",@progbits,_ZN9rocsparseL5csrsmILj64ELj64ELb1ElidEEv20rocsparse_operation_T3_S2_NS_24const_host_device_scalarIT4_EEPKT2_PKS2_PKS4_PS4_lPiSA_PS2_21rocsparse_index_base_20rocsparse_fill_mode_20rocsparse_diag_type_b,comdat
	.globl	_ZN9rocsparseL5csrsmILj64ELj64ELb1ElidEEv20rocsparse_operation_T3_S2_NS_24const_host_device_scalarIT4_EEPKT2_PKS2_PKS4_PS4_lPiSA_PS2_21rocsparse_index_base_20rocsparse_fill_mode_20rocsparse_diag_type_b ; -- Begin function _ZN9rocsparseL5csrsmILj64ELj64ELb1ElidEEv20rocsparse_operation_T3_S2_NS_24const_host_device_scalarIT4_EEPKT2_PKS2_PKS4_PS4_lPiSA_PS2_21rocsparse_index_base_20rocsparse_fill_mode_20rocsparse_diag_type_b
	.p2align	8
	.type	_ZN9rocsparseL5csrsmILj64ELj64ELb1ElidEEv20rocsparse_operation_T3_S2_NS_24const_host_device_scalarIT4_EEPKT2_PKS2_PKS4_PS4_lPiSA_PS2_21rocsparse_index_base_20rocsparse_fill_mode_20rocsparse_diag_type_b,@function
_ZN9rocsparseL5csrsmILj64ELj64ELb1ElidEEv20rocsparse_operation_T3_S2_NS_24const_host_device_scalarIT4_EEPKT2_PKS2_PKS4_PS4_lPiSA_PS2_21rocsparse_index_base_20rocsparse_fill_mode_20rocsparse_diag_type_b: ; @_ZN9rocsparseL5csrsmILj64ELj64ELb1ElidEEv20rocsparse_operation_T3_S2_NS_24const_host_device_scalarIT4_EEPKT2_PKS2_PKS4_PS4_lPiSA_PS2_21rocsparse_index_base_20rocsparse_fill_mode_20rocsparse_diag_type_b
; %bb.0:
	s_clause 0x3
	s_load_b128 s[4:7], s[0:1], 0x58
	s_load_b128 s[16:19], s[0:1], 0x10
	s_load_b64 s[2:3], s[0:1], 0x48
	s_load_b64 s[20:21], s[0:1], 0x30
	s_waitcnt lgkmcnt(0)
	s_bitcmp1_b32 s7, 0
	v_dual_mov_b32 v4, s16 :: v_dual_mov_b32 v5, s17
	s_cselect_b32 s7, -1, 0
	s_delay_alu instid0(SALU_CYCLE_1)
	s_and_b32 vcc_lo, exec_lo, s7
	s_cbranch_vccnz .LBB54_2
; %bb.1:
	v_dual_mov_b32 v1, s16 :: v_dual_mov_b32 v2, s17
	flat_load_b64 v[4:5], v[1:2]
.LBB54_2:
	s_load_b64 s[22:23], s[0:1], 0x4
	v_mov_b32_e32 v2, 0
	v_mov_b32_e32 v3, 0
	s_waitcnt lgkmcnt(0)
	v_cvt_f32_u32_e32 v1, s22
	s_sub_i32 s8, 0, s22
	s_delay_alu instid0(VALU_DEP_1) | instskip(SKIP_2) | instid1(VALU_DEP_1)
	v_rcp_iflag_f32_e32 v1, v1
	s_waitcnt_depctr 0xfff
	v_mul_f32_e32 v1, 0x4f7ffffe, v1
	v_cvt_u32_f32_e32 v1, v1
	s_delay_alu instid0(VALU_DEP_1) | instskip(NEXT) | instid1(VALU_DEP_1)
	v_readfirstlane_b32 s7, v1
	s_mul_i32 s8, s8, s7
	s_delay_alu instid0(SALU_CYCLE_1) | instskip(NEXT) | instid1(SALU_CYCLE_1)
	s_mul_hi_u32 s8, s7, s8
	s_add_i32 s7, s7, s8
	s_delay_alu instid0(SALU_CYCLE_1) | instskip(NEXT) | instid1(SALU_CYCLE_1)
	s_mul_hi_u32 s7, s15, s7
	s_mul_i32 s8, s7, s22
	s_add_i32 s9, s7, 1
	s_sub_i32 s8, s15, s8
	s_delay_alu instid0(SALU_CYCLE_1)
	s_sub_i32 s10, s8, s22
	s_cmp_ge_u32 s8, s22
	s_cselect_b32 s7, s9, s7
	s_cselect_b32 s8, s10, s8
	s_add_i32 s9, s7, 1
	s_cmp_ge_u32 s8, s22
	s_cselect_b32 s24, s9, s7
	s_delay_alu instid0(SALU_CYCLE_1) | instskip(SKIP_2) | instid1(SALU_CYCLE_1)
	s_mul_i32 s7, s24, s22
	v_lshl_or_b32 v6, s24, 6, v0
	s_sub_i32 s8, s15, s7
	s_ashr_i32 s9, s8, 31
	s_delay_alu instid0(VALU_DEP_1) | instskip(SKIP_1) | instid1(SALU_CYCLE_1)
	v_ashrrev_i32_e32 v7, 31, v6
	s_lshl_b64 s[8:9], s[8:9], 2
	s_add_u32 s2, s2, s8
	s_addc_u32 s3, s3, s9
	s_load_b32 s16, s[2:3], 0x0
	s_load_b128 s[8:11], s[0:1], 0x38
	s_waitcnt lgkmcnt(0)
	s_ashr_i32 s17, s16, 31
	s_delay_alu instid0(SALU_CYCLE_1)
	s_lshl_b64 s[2:3], s[16:17], 3
	s_mul_i32 s17, s17, s8
	s_add_u32 s2, s18, s2
	s_addc_u32 s3, s19, s3
	s_mul_i32 s18, s16, s8
	s_load_b128 s[12:15], s[2:3], 0x0
	s_mul_i32 s2, s16, s9
	s_mul_hi_u32 s3, s16, s8
	s_delay_alu instid0(SALU_CYCLE_1) | instskip(SKIP_2) | instid1(VALU_DEP_1)
	s_add_i32 s3, s3, s2
	v_cmp_gt_i32_e64 s2, s23, v6
	s_add_i32 s19, s3, s17
	s_and_saveexec_b32 s3, s2
	s_cbranch_execz .LBB54_4
; %bb.3:
	v_add_co_u32 v1, vcc_lo, s18, v6
	v_add_co_ci_u32_e32 v2, vcc_lo, s19, v7, vcc_lo
	s_delay_alu instid0(VALU_DEP_1) | instskip(NEXT) | instid1(VALU_DEP_1)
	v_lshlrev_b64 v[1:2], 3, v[1:2]
	v_add_co_u32 v1, vcc_lo, s20, v1
	s_delay_alu instid0(VALU_DEP_2)
	v_add_co_ci_u32_e32 v2, vcc_lo, s21, v2, vcc_lo
	global_load_b64 v[1:2], v[1:2], off
	s_waitcnt vmcnt(0)
	v_mul_f64 v[2:3], v[4:5], v[1:2]
.LBB54_4:
	s_or_b32 exec_lo, exec_lo, s3
	s_waitcnt vmcnt(0)
	v_lshlrev_b64 v[4:5], 3, v[6:7]
	s_waitcnt lgkmcnt(0)
	v_cmp_ge_i64_e64 s3, s[12:13], s[14:15]
	v_mov_b32_e32 v8, 0
	v_mov_b32_e32 v9, 0x3ff00000
	s_delay_alu instid0(VALU_DEP_4)
	v_add_co_u32 v12, vcc_lo, s20, v4
	v_add_co_ci_u32_e32 v13, vcc_lo, s21, v5, vcc_lo
	s_and_b32 vcc_lo, exec_lo, s3
	v_cmp_eq_u32_e64 s3, 0, v0
	s_cbranch_vccnz .LBB54_46
; %bb.5:
	s_clause 0x1
	s_load_b128 s[24:27], s[0:1], 0x20
	s_load_b64 s[20:21], s[0:1], 0x50
	v_dual_mov_b32 v1, 0 :: v_dual_lshlrev_b32 v4, 2, v0
	v_lshlrev_b32_e32 v14, 3, v0
	s_sub_u32 s12, s12, s4
	s_subb_u32 s13, s13, 0
	s_sub_u32 s14, s14, s4
	s_subb_u32 s15, s15, 0
	v_or_b32_e32 v15, 0x200, v4
	s_cmp_lg_u32 s6, 0
	v_cmp_ne_u32_e64 s0, 0, v0
	s_cselect_b32 s17, -1, 0
	s_mov_b64 s[22:23], s[12:13]
	s_waitcnt lgkmcnt(0)
	v_add_co_u32 v16, s1, s24, v4
	v_mov_b32_e32 v4, 0
	v_mov_b32_e32 v5, 0x3ff00000
	v_add_co_ci_u32_e64 v17, null, s25, 0, s1
	v_add_co_u32 v18, s1, s26, v14
	s_delay_alu instid0(VALU_DEP_1)
	v_add_co_ci_u32_e64 v19, null, s27, 0, s1
	s_add_i32 s26, s16, s4
	s_cmp_eq_u32 s6, 0
	s_cselect_b32 s1, -1, 0
	s_branch .LBB54_8
.LBB54_6:                               ;   in Loop: Header=BB54_8 Depth=1
	s_add_u32 s22, s22, 1
	s_addc_u32 s23, s23, 0
	s_delay_alu instid0(SALU_CYCLE_1)
	v_cmp_ge_i64_e64 s13, s[22:23], s[14:15]
.LBB54_7:                               ;   in Loop: Header=BB54_8 Depth=1
	s_delay_alu instid0(VALU_DEP_2) | instskip(SKIP_1) | instid1(VALU_DEP_3)
	v_dual_mov_b32 v2, v10 :: v_dual_mov_b32 v3, v11
	v_dual_mov_b32 v4, v8 :: v_dual_mov_b32 v5, v9
	s_and_not1_b32 vcc_lo, exec_lo, s13
	s_cbranch_vccz .LBB54_47
.LBB54_8:                               ; =>This Loop Header: Depth=1
                                        ;     Child Loop BB54_44 Depth 2
                                        ;       Child Loop BB54_45 Depth 3
	s_sub_i32 s13, s22, s12
	s_delay_alu instid0(SALU_CYCLE_1) | instskip(NEXT) | instid1(SALU_CYCLE_1)
	s_and_b32 s13, s13, 63
	s_cmp_lg_u32 s13, 0
	s_cbranch_scc1 .LBB54_12
; %bb.9:                                ;   in Loop: Header=BB54_8 Depth=1
	s_sub_u32 s24, s14, s22
	s_subb_u32 s25, s15, s23
	v_mov_b32_e32 v6, 0
	v_cmp_gt_i64_e32 vcc_lo, s[24:25], v[0:1]
	v_dual_mov_b32 v7, 0xbff00000 :: v_dual_mov_b32 v8, -1
	s_and_saveexec_b32 s24, vcc_lo
	s_cbranch_execz .LBB54_11
; %bb.10:                               ;   in Loop: Header=BB54_8 Depth=1
	s_lshl_b64 s[28:29], s[22:23], 2
	s_delay_alu instid0(SALU_CYCLE_1)
	v_add_co_u32 v6, vcc_lo, v16, s28
	v_add_co_ci_u32_e32 v7, vcc_lo, s29, v17, vcc_lo
	s_lshl_b64 s[28:29], s[22:23], 3
	global_load_b32 v8, v[6:7], off
	v_add_co_u32 v6, vcc_lo, v18, s28
	v_add_co_ci_u32_e32 v7, vcc_lo, s29, v19, vcc_lo
	global_load_b64 v[6:7], v[6:7], off
	s_waitcnt vmcnt(1)
	v_subrev_nc_u32_e32 v8, s4, v8
.LBB54_11:                              ;   in Loop: Header=BB54_8 Depth=1
	s_or_b32 exec_lo, exec_lo, s24
	ds_store_b32 v15, v8
	s_waitcnt vmcnt(0)
	ds_store_b64 v14, v[6:7]
.LBB54_12:                              ;   in Loop: Header=BB54_8 Depth=1
	s_lshl_b32 s24, s13, 3
	s_waitcnt lgkmcnt(0)
	v_mov_b32_e32 v6, s24
	s_waitcnt_vscnt null, 0x0
	s_barrier
	buffer_gl0_inv
	s_lshl_b32 s13, s13, 2
	s_delay_alu instid0(SALU_CYCLE_1)
	v_mov_b32_e32 v8, s13
	ds_load_b64 v[6:7], v6
	ds_load_b32 v8, v8 offset:512
	s_waitcnt lgkmcnt(1)
	v_cmp_neq_f64_e32 vcc_lo, 0, v[6:7]
	s_waitcnt lgkmcnt(0)
	v_readfirstlane_b32 s13, v8
	s_delay_alu instid0(VALU_DEP_1) | instskip(SKIP_1) | instid1(SALU_CYCLE_1)
	s_cmp_lg_u32 s13, s16
	s_cselect_b32 s24, -1, 0
	s_or_b32 s24, s17, s24
	s_delay_alu instid0(SALU_CYCLE_1) | instskip(SKIP_3) | instid1(SALU_CYCLE_1)
	s_or_b32 vcc_lo, vcc_lo, s24
	v_cndmask_b32_e32 v7, 0x3ff00000, v7, vcc_lo
	v_cndmask_b32_e32 v6, 0, v6, vcc_lo
	s_or_b32 s24, s0, vcc_lo
	s_xor_b32 s25, s24, -1
	s_delay_alu instid0(SALU_CYCLE_1)
	s_and_saveexec_b32 s24, s25
	s_cbranch_execz .LBB54_16
; %bb.13:                               ;   in Loop: Header=BB54_8 Depth=1
	v_mbcnt_lo_u32_b32 v6, exec_lo, 0
	s_mov_b32 s25, exec_lo
	s_delay_alu instid0(VALU_DEP_1)
	v_cmpx_eq_u32_e32 0, v6
	s_cbranch_execz .LBB54_15
; %bb.14:                               ;   in Loop: Header=BB54_8 Depth=1
	v_mov_b32_e32 v6, s26
	global_atomic_min_i32 v1, v6, s[20:21]
.LBB54_15:                              ;   in Loop: Header=BB54_8 Depth=1
	s_or_b32 exec_lo, exec_lo, s25
	v_mov_b32_e32 v6, 0
	v_mov_b32_e32 v7, 0x3ff00000
.LBB54_16:                              ;   in Loop: Header=BB54_8 Depth=1
	s_or_b32 exec_lo, exec_lo, s24
	s_cmp_lt_i32 s5, 1
	s_mov_b32 s24, 0
	s_cbranch_scc1 .LBB54_21
; %bb.17:                               ;   in Loop: Header=BB54_8 Depth=1
	s_cmp_eq_u32 s5, 1
	s_cbranch_scc0 .LBB54_22
; %bb.18:                               ;   in Loop: Header=BB54_8 Depth=1
	v_dual_mov_b32 v9, v5 :: v_dual_mov_b32 v8, v4
	s_cmp_ge_i32 s13, s16
	s_mov_b32 s25, 0
	s_cbranch_scc0 .LBB54_24
; %bb.19:                               ;   in Loop: Header=BB54_8 Depth=1
	s_cmp_eq_u32 s13, s16
	s_cbranch_scc0 .LBB54_23
; %bb.20:                               ;   in Loop: Header=BB54_8 Depth=1
	v_div_scale_f64 v[8:9], null, v[6:7], v[6:7], 1.0
	v_div_scale_f64 v[22:23], vcc_lo, 1.0, v[6:7], 1.0
	s_delay_alu instid0(VALU_DEP_2) | instskip(SKIP_2) | instid1(VALU_DEP_1)
	v_rcp_f64_e32 v[10:11], v[8:9]
	s_waitcnt_depctr 0xfff
	v_fma_f64 v[20:21], -v[8:9], v[10:11], 1.0
	v_fma_f64 v[10:11], v[10:11], v[20:21], v[10:11]
	s_delay_alu instid0(VALU_DEP_1) | instskip(NEXT) | instid1(VALU_DEP_1)
	v_fma_f64 v[20:21], -v[8:9], v[10:11], 1.0
	v_fma_f64 v[10:11], v[10:11], v[20:21], v[10:11]
	s_delay_alu instid0(VALU_DEP_1) | instskip(NEXT) | instid1(VALU_DEP_1)
	v_mul_f64 v[20:21], v[22:23], v[10:11]
	v_fma_f64 v[8:9], -v[8:9], v[20:21], v[22:23]
	s_delay_alu instid0(VALU_DEP_1) | instskip(NEXT) | instid1(VALU_DEP_1)
	v_div_fmas_f64 v[8:9], v[8:9], v[10:11], v[20:21]
	v_div_fixup_f64 v[8:9], v[8:9], v[6:7], 1.0
	s_delay_alu instid0(VALU_DEP_1) | instskip(NEXT) | instid1(VALU_DEP_2)
	v_cndmask_b32_e64 v9, v5, v9, s1
	v_cndmask_b32_e64 v8, v4, v8, s1
	s_branch .LBB54_24
.LBB54_21:                              ;   in Loop: Header=BB54_8 Depth=1
	s_mov_b32 s25, 0
                                        ; implicit-def: $vgpr10_vgpr11
                                        ; implicit-def: $vgpr8_vgpr9
                                        ; implicit-def: $sgpr27
	s_cbranch_execnz .LBB54_25
	s_branch .LBB54_27
.LBB54_22:                              ;   in Loop: Header=BB54_8 Depth=1
	s_mov_b32 s25, -1
                                        ; implicit-def: $vgpr10_vgpr11
                                        ; implicit-def: $vgpr8_vgpr9
                                        ; implicit-def: $sgpr27
	s_branch .LBB54_27
.LBB54_23:                              ;   in Loop: Header=BB54_8 Depth=1
	s_mov_b32 s25, -1
                                        ; implicit-def: $vgpr8_vgpr9
.LBB54_24:                              ;   in Loop: Header=BB54_8 Depth=1
	v_dual_mov_b32 v11, v3 :: v_dual_mov_b32 v10, v2
	s_mov_b32 s27, 4
	s_branch .LBB54_27
.LBB54_25:                              ;   in Loop: Header=BB54_8 Depth=1
	s_cmp_eq_u32 s5, 0
	s_cbranch_scc1 .LBB54_31
; %bb.26:                               ;   in Loop: Header=BB54_8 Depth=1
	s_mov_b32 s25, -1
                                        ; implicit-def: $vgpr10_vgpr11
                                        ; implicit-def: $vgpr8_vgpr9
                                        ; implicit-def: $sgpr27
.LBB54_27:                              ;   in Loop: Header=BB54_8 Depth=1
	s_delay_alu instid0(SALU_CYCLE_1)
	s_and_b32 vcc_lo, exec_lo, s25
	s_cbranch_vccnz .LBB54_34
.LBB54_28:                              ;   in Loop: Header=BB54_8 Depth=1
	s_and_b32 vcc_lo, exec_lo, s24
	s_cbranch_vccnz .LBB54_39
.LBB54_29:                              ;   in Loop: Header=BB54_8 Depth=1
	s_cmp_gt_i32 s27, 3
	s_mov_b32 s13, -1
	s_cbranch_scc1 .LBB54_40
.LBB54_30:                              ;   in Loop: Header=BB54_8 Depth=1
	s_cmp_eq_u32 s27, 0
	s_cselect_b32 s24, -1, 0
	s_delay_alu instid0(SALU_CYCLE_1)
	s_and_not1_b32 vcc_lo, exec_lo, s24
	s_cbranch_vccz .LBB54_6
	s_branch .LBB54_41
.LBB54_31:                              ;   in Loop: Header=BB54_8 Depth=1
	s_cmp_le_i32 s13, s16
	s_mov_b32 s25, 0
	s_cbranch_scc0 .LBB54_33
; %bb.32:                               ;   in Loop: Header=BB54_8 Depth=1
	s_cmp_lg_u32 s13, s16
	s_mov_b32 s24, -1
	s_cselect_b32 s25, -1, 0
.LBB54_33:                              ;   in Loop: Header=BB54_8 Depth=1
	v_dual_mov_b32 v11, v3 :: v_dual_mov_b32 v10, v2
	v_dual_mov_b32 v9, v5 :: v_dual_mov_b32 v8, v4
	s_mov_b32 s27, 2
	s_and_b32 vcc_lo, exec_lo, s25
	s_cbranch_vccz .LBB54_28
.LBB54_34:                              ;   in Loop: Header=BB54_8 Depth=1
	s_and_saveexec_b32 s27, s3
	s_cbranch_execz .LBB54_36
; %bb.35:                               ;   in Loop: Header=BB54_8 Depth=1
	s_add_i32 s24, s13, s7
	s_delay_alu instid0(SALU_CYCLE_1) | instskip(NEXT) | instid1(SALU_CYCLE_1)
	s_ashr_i32 s25, s24, 31
	s_lshl_b64 s[24:25], s[24:25], 2
	s_delay_alu instid0(SALU_CYCLE_1)
	s_add_u32 s24, s10, s24
	s_addc_u32 s25, s11, s25
	global_load_b32 v8, v1, s[24:25] glc
	s_waitcnt vmcnt(0)
	v_cmp_ne_u32_e32 vcc_lo, 0, v8
	s_cbranch_vccz .LBB54_42
.LBB54_36:                              ;   in Loop: Header=BB54_8 Depth=1
	s_or_b32 exec_lo, exec_lo, s27
	v_mov_b32_e32 v10, 0
	v_mov_b32_e32 v11, 0
	s_waitcnt_vscnt null, 0x0
	s_barrier
	buffer_gl0_inv
	buffer_gl1_inv
	buffer_gl0_inv
	s_and_saveexec_b32 s24, s2
	s_cbranch_execz .LBB54_38
; %bb.37:                               ;   in Loop: Header=BB54_8 Depth=1
	s_mul_i32 s25, s13, s9
	s_mul_hi_u32 s27, s13, s8
	s_ashr_i32 s28, s13, 31
	s_add_i32 s25, s27, s25
	s_mul_i32 s28, s28, s8
	s_delay_alu instid0(SALU_CYCLE_1) | instskip(SKIP_1) | instid1(SALU_CYCLE_1)
	s_add_i32 s29, s25, s28
	s_mul_i32 s28, s13, s8
	s_lshl_b64 s[28:29], s[28:29], 3
	s_delay_alu instid0(SALU_CYCLE_1)
	v_add_co_u32 v8, vcc_lo, v12, s28
	v_add_co_ci_u32_e32 v9, vcc_lo, s29, v13, vcc_lo
	global_load_b64 v[8:9], v[8:9], off
	s_waitcnt vmcnt(0)
	v_fma_f64 v[10:11], -v[6:7], v[8:9], v[2:3]
.LBB54_38:                              ;   in Loop: Header=BB54_8 Depth=1
	s_or_b32 exec_lo, exec_lo, s24
	v_dual_mov_b32 v9, v5 :: v_dual_mov_b32 v8, v4
	s_mov_b32 s27, 0
	s_branch .LBB54_29
.LBB54_39:                              ;   in Loop: Header=BB54_8 Depth=1
	v_div_scale_f64 v[8:9], null, v[6:7], v[6:7], 1.0
	v_div_scale_f64 v[22:23], vcc_lo, 1.0, v[6:7], 1.0
	s_mov_b32 s27, 2
	s_delay_alu instid0(VALU_DEP_2) | instskip(SKIP_2) | instid1(VALU_DEP_1)
	v_rcp_f64_e32 v[10:11], v[8:9]
	s_waitcnt_depctr 0xfff
	v_fma_f64 v[20:21], -v[8:9], v[10:11], 1.0
	v_fma_f64 v[10:11], v[10:11], v[20:21], v[10:11]
	s_delay_alu instid0(VALU_DEP_1) | instskip(NEXT) | instid1(VALU_DEP_1)
	v_fma_f64 v[20:21], -v[8:9], v[10:11], 1.0
	v_fma_f64 v[10:11], v[10:11], v[20:21], v[10:11]
	s_delay_alu instid0(VALU_DEP_1) | instskip(NEXT) | instid1(VALU_DEP_1)
	v_mul_f64 v[20:21], v[22:23], v[10:11]
	v_fma_f64 v[8:9], -v[8:9], v[20:21], v[22:23]
	s_delay_alu instid0(VALU_DEP_1) | instskip(SKIP_1) | instid1(VALU_DEP_2)
	v_div_fmas_f64 v[8:9], v[8:9], v[10:11], v[20:21]
	v_dual_mov_b32 v11, v3 :: v_dual_mov_b32 v10, v2
	v_div_fixup_f64 v[6:7], v[8:9], v[6:7], 1.0
	s_delay_alu instid0(VALU_DEP_1) | instskip(NEXT) | instid1(VALU_DEP_2)
	v_cndmask_b32_e64 v9, v5, v7, s1
	v_cndmask_b32_e64 v8, v4, v6, s1
	s_cmp_gt_i32 s27, 3
	s_mov_b32 s13, -1
	s_cbranch_scc0 .LBB54_30
.LBB54_40:                              ;   in Loop: Header=BB54_8 Depth=1
	s_branch .LBB54_6
.LBB54_41:                              ;   in Loop: Header=BB54_8 Depth=1
                                        ; implicit-def: $sgpr22_sgpr23
	s_branch .LBB54_7
.LBB54_42:                              ;   in Loop: Header=BB54_8 Depth=1
	s_mov_b32 s28, 0
	s_branch .LBB54_44
	.p2align	6
.LBB54_43:                              ;   in Loop: Header=BB54_44 Depth=2
	global_load_b32 v8, v1, s[24:25] glc
	s_cmpk_lt_u32 s28, 0xf43
	s_cselect_b32 s29, -1, 0
	s_delay_alu instid0(SALU_CYCLE_1)
	s_cmp_lg_u32 s29, 0
	s_addc_u32 s28, s28, 0
	s_waitcnt vmcnt(0)
	v_cmp_ne_u32_e32 vcc_lo, 0, v8
	s_cbranch_vccnz .LBB54_36
.LBB54_44:                              ;   Parent Loop BB54_8 Depth=1
                                        ; =>  This Loop Header: Depth=2
                                        ;       Child Loop BB54_45 Depth 3
	s_cmp_eq_u32 s28, 0
	s_mov_b32 s29, s28
	s_cbranch_scc1 .LBB54_43
.LBB54_45:                              ;   Parent Loop BB54_8 Depth=1
                                        ;     Parent Loop BB54_44 Depth=2
                                        ; =>    This Inner Loop Header: Depth=3
	s_add_i32 s29, s29, -1
	s_sleep 1
	s_cmp_eq_u32 s29, 0
	s_cbranch_scc0 .LBB54_45
	s_branch .LBB54_43
.LBB54_46:
	v_dual_mov_b32 v11, v3 :: v_dual_mov_b32 v10, v2
.LBB54_47:
	s_and_saveexec_b32 s0, s2
	s_cbranch_execz .LBB54_49
; %bb.48:
	s_delay_alu instid0(VALU_DEP_1) | instskip(SKIP_3) | instid1(VALU_DEP_1)
	v_mul_f64 v[1:2], v[8:9], v[10:11]
	s_cmp_eq_u32 s6, 0
	s_cselect_b32 vcc_lo, -1, 0
	s_lshl_b64 s[2:3], s[18:19], 3
	v_dual_cndmask_b32 v2, v11, v2 :: v_dual_cndmask_b32 v1, v10, v1
	v_add_co_u32 v3, vcc_lo, v12, s2
	v_add_co_ci_u32_e32 v4, vcc_lo, s3, v13, vcc_lo
	global_store_b64 v[3:4], v[1:2], off
.LBB54_49:
	s_or_b32 exec_lo, exec_lo, s0
	s_waitcnt_vscnt null, 0x0
	buffer_gl1_inv
	buffer_gl0_inv
	s_barrier
	buffer_gl0_inv
	s_mov_b32 s0, exec_lo
	v_cmpx_eq_u32_e32 0, v0
	s_cbranch_execz .LBB54_51
; %bb.50:
	s_add_i32 s0, s16, s7
	v_dual_mov_b32 v0, 0 :: v_dual_mov_b32 v1, 1
	s_ashr_i32 s1, s0, 31
	s_delay_alu instid0(SALU_CYCLE_1) | instskip(NEXT) | instid1(SALU_CYCLE_1)
	s_lshl_b64 s[0:1], s[0:1], 2
	s_add_u32 s0, s10, s0
	s_addc_u32 s1, s11, s1
	global_store_b32 v0, v1, s[0:1]
.LBB54_51:
	s_nop 0
	s_sendmsg sendmsg(MSG_DEALLOC_VGPRS)
	s_endpgm
	.section	.rodata,"a",@progbits
	.p2align	6, 0x0
	.amdhsa_kernel _ZN9rocsparseL5csrsmILj64ELj64ELb1ElidEEv20rocsparse_operation_T3_S2_NS_24const_host_device_scalarIT4_EEPKT2_PKS2_PKS4_PS4_lPiSA_PS2_21rocsparse_index_base_20rocsparse_fill_mode_20rocsparse_diag_type_b
		.amdhsa_group_segment_fixed_size 768
		.amdhsa_private_segment_fixed_size 0
		.amdhsa_kernarg_size 104
		.amdhsa_user_sgpr_count 15
		.amdhsa_user_sgpr_dispatch_ptr 0
		.amdhsa_user_sgpr_queue_ptr 0
		.amdhsa_user_sgpr_kernarg_segment_ptr 1
		.amdhsa_user_sgpr_dispatch_id 0
		.amdhsa_user_sgpr_private_segment_size 0
		.amdhsa_wavefront_size32 1
		.amdhsa_uses_dynamic_stack 0
		.amdhsa_enable_private_segment 0
		.amdhsa_system_sgpr_workgroup_id_x 1
		.amdhsa_system_sgpr_workgroup_id_y 0
		.amdhsa_system_sgpr_workgroup_id_z 0
		.amdhsa_system_sgpr_workgroup_info 0
		.amdhsa_system_vgpr_workitem_id 0
		.amdhsa_next_free_vgpr 24
		.amdhsa_next_free_sgpr 30
		.amdhsa_reserve_vcc 1
		.amdhsa_float_round_mode_32 0
		.amdhsa_float_round_mode_16_64 0
		.amdhsa_float_denorm_mode_32 3
		.amdhsa_float_denorm_mode_16_64 3
		.amdhsa_dx10_clamp 1
		.amdhsa_ieee_mode 1
		.amdhsa_fp16_overflow 0
		.amdhsa_workgroup_processor_mode 1
		.amdhsa_memory_ordered 1
		.amdhsa_forward_progress 0
		.amdhsa_shared_vgpr_count 0
		.amdhsa_exception_fp_ieee_invalid_op 0
		.amdhsa_exception_fp_denorm_src 0
		.amdhsa_exception_fp_ieee_div_zero 0
		.amdhsa_exception_fp_ieee_overflow 0
		.amdhsa_exception_fp_ieee_underflow 0
		.amdhsa_exception_fp_ieee_inexact 0
		.amdhsa_exception_int_div_zero 0
	.end_amdhsa_kernel
	.section	.text._ZN9rocsparseL5csrsmILj64ELj64ELb1ElidEEv20rocsparse_operation_T3_S2_NS_24const_host_device_scalarIT4_EEPKT2_PKS2_PKS4_PS4_lPiSA_PS2_21rocsparse_index_base_20rocsparse_fill_mode_20rocsparse_diag_type_b,"axG",@progbits,_ZN9rocsparseL5csrsmILj64ELj64ELb1ElidEEv20rocsparse_operation_T3_S2_NS_24const_host_device_scalarIT4_EEPKT2_PKS2_PKS4_PS4_lPiSA_PS2_21rocsparse_index_base_20rocsparse_fill_mode_20rocsparse_diag_type_b,comdat
.Lfunc_end54:
	.size	_ZN9rocsparseL5csrsmILj64ELj64ELb1ElidEEv20rocsparse_operation_T3_S2_NS_24const_host_device_scalarIT4_EEPKT2_PKS2_PKS4_PS4_lPiSA_PS2_21rocsparse_index_base_20rocsparse_fill_mode_20rocsparse_diag_type_b, .Lfunc_end54-_ZN9rocsparseL5csrsmILj64ELj64ELb1ElidEEv20rocsparse_operation_T3_S2_NS_24const_host_device_scalarIT4_EEPKT2_PKS2_PKS4_PS4_lPiSA_PS2_21rocsparse_index_base_20rocsparse_fill_mode_20rocsparse_diag_type_b
                                        ; -- End function
	.section	.AMDGPU.csdata,"",@progbits
; Kernel info:
; codeLenInByte = 1936
; NumSgprs: 32
; NumVgprs: 24
; ScratchSize: 0
; MemoryBound: 0
; FloatMode: 240
; IeeeMode: 1
; LDSByteSize: 768 bytes/workgroup (compile time only)
; SGPRBlocks: 3
; VGPRBlocks: 2
; NumSGPRsForWavesPerEU: 32
; NumVGPRsForWavesPerEU: 24
; Occupancy: 16
; WaveLimiterHint : 1
; COMPUTE_PGM_RSRC2:SCRATCH_EN: 0
; COMPUTE_PGM_RSRC2:USER_SGPR: 15
; COMPUTE_PGM_RSRC2:TRAP_HANDLER: 0
; COMPUTE_PGM_RSRC2:TGID_X_EN: 1
; COMPUTE_PGM_RSRC2:TGID_Y_EN: 0
; COMPUTE_PGM_RSRC2:TGID_Z_EN: 0
; COMPUTE_PGM_RSRC2:TIDIG_COMP_CNT: 0
	.section	.text._ZN9rocsparseL5csrsmILj64ELj64ELb0ElidEEv20rocsparse_operation_T3_S2_NS_24const_host_device_scalarIT4_EEPKT2_PKS2_PKS4_PS4_lPiSA_PS2_21rocsparse_index_base_20rocsparse_fill_mode_20rocsparse_diag_type_b,"axG",@progbits,_ZN9rocsparseL5csrsmILj64ELj64ELb0ElidEEv20rocsparse_operation_T3_S2_NS_24const_host_device_scalarIT4_EEPKT2_PKS2_PKS4_PS4_lPiSA_PS2_21rocsparse_index_base_20rocsparse_fill_mode_20rocsparse_diag_type_b,comdat
	.globl	_ZN9rocsparseL5csrsmILj64ELj64ELb0ElidEEv20rocsparse_operation_T3_S2_NS_24const_host_device_scalarIT4_EEPKT2_PKS2_PKS4_PS4_lPiSA_PS2_21rocsparse_index_base_20rocsparse_fill_mode_20rocsparse_diag_type_b ; -- Begin function _ZN9rocsparseL5csrsmILj64ELj64ELb0ElidEEv20rocsparse_operation_T3_S2_NS_24const_host_device_scalarIT4_EEPKT2_PKS2_PKS4_PS4_lPiSA_PS2_21rocsparse_index_base_20rocsparse_fill_mode_20rocsparse_diag_type_b
	.p2align	8
	.type	_ZN9rocsparseL5csrsmILj64ELj64ELb0ElidEEv20rocsparse_operation_T3_S2_NS_24const_host_device_scalarIT4_EEPKT2_PKS2_PKS4_PS4_lPiSA_PS2_21rocsparse_index_base_20rocsparse_fill_mode_20rocsparse_diag_type_b,@function
_ZN9rocsparseL5csrsmILj64ELj64ELb0ElidEEv20rocsparse_operation_T3_S2_NS_24const_host_device_scalarIT4_EEPKT2_PKS2_PKS4_PS4_lPiSA_PS2_21rocsparse_index_base_20rocsparse_fill_mode_20rocsparse_diag_type_b: ; @_ZN9rocsparseL5csrsmILj64ELj64ELb0ElidEEv20rocsparse_operation_T3_S2_NS_24const_host_device_scalarIT4_EEPKT2_PKS2_PKS4_PS4_lPiSA_PS2_21rocsparse_index_base_20rocsparse_fill_mode_20rocsparse_diag_type_b
; %bb.0:
	s_clause 0x3
	s_load_b128 s[4:7], s[0:1], 0x58
	s_load_b128 s[16:19], s[0:1], 0x10
	s_load_b64 s[2:3], s[0:1], 0x48
	s_load_b64 s[20:21], s[0:1], 0x30
	s_waitcnt lgkmcnt(0)
	s_bitcmp1_b32 s7, 0
	v_dual_mov_b32 v4, s16 :: v_dual_mov_b32 v5, s17
	s_cselect_b32 s7, -1, 0
	s_delay_alu instid0(SALU_CYCLE_1)
	s_and_b32 vcc_lo, exec_lo, s7
	s_cbranch_vccnz .LBB55_2
; %bb.1:
	v_dual_mov_b32 v1, s16 :: v_dual_mov_b32 v2, s17
	flat_load_b64 v[4:5], v[1:2]
.LBB55_2:
	s_load_b64 s[22:23], s[0:1], 0x4
	v_mov_b32_e32 v2, 0
	v_mov_b32_e32 v3, 0
	s_waitcnt lgkmcnt(0)
	v_cvt_f32_u32_e32 v1, s22
	s_sub_i32 s8, 0, s22
	s_delay_alu instid0(VALU_DEP_1) | instskip(SKIP_2) | instid1(VALU_DEP_1)
	v_rcp_iflag_f32_e32 v1, v1
	s_waitcnt_depctr 0xfff
	v_mul_f32_e32 v1, 0x4f7ffffe, v1
	v_cvt_u32_f32_e32 v1, v1
	s_delay_alu instid0(VALU_DEP_1) | instskip(NEXT) | instid1(VALU_DEP_1)
	v_readfirstlane_b32 s7, v1
	s_mul_i32 s8, s8, s7
	s_delay_alu instid0(SALU_CYCLE_1) | instskip(NEXT) | instid1(SALU_CYCLE_1)
	s_mul_hi_u32 s8, s7, s8
	s_add_i32 s7, s7, s8
	s_delay_alu instid0(SALU_CYCLE_1) | instskip(NEXT) | instid1(SALU_CYCLE_1)
	s_mul_hi_u32 s7, s15, s7
	s_mul_i32 s8, s7, s22
	s_add_i32 s9, s7, 1
	s_sub_i32 s8, s15, s8
	s_delay_alu instid0(SALU_CYCLE_1)
	s_sub_i32 s10, s8, s22
	s_cmp_ge_u32 s8, s22
	s_cselect_b32 s7, s9, s7
	s_cselect_b32 s8, s10, s8
	s_add_i32 s9, s7, 1
	s_cmp_ge_u32 s8, s22
	s_cselect_b32 s24, s9, s7
	s_delay_alu instid0(SALU_CYCLE_1) | instskip(SKIP_2) | instid1(SALU_CYCLE_1)
	s_mul_i32 s7, s24, s22
	v_lshl_or_b32 v6, s24, 6, v0
	s_sub_i32 s8, s15, s7
	s_ashr_i32 s9, s8, 31
	s_delay_alu instid0(VALU_DEP_1) | instskip(SKIP_1) | instid1(SALU_CYCLE_1)
	v_ashrrev_i32_e32 v7, 31, v6
	s_lshl_b64 s[8:9], s[8:9], 2
	s_add_u32 s2, s2, s8
	s_addc_u32 s3, s3, s9
	s_load_b32 s16, s[2:3], 0x0
	s_load_b128 s[8:11], s[0:1], 0x38
	s_waitcnt lgkmcnt(0)
	s_ashr_i32 s17, s16, 31
	s_delay_alu instid0(SALU_CYCLE_1)
	s_lshl_b64 s[2:3], s[16:17], 3
	s_mul_i32 s17, s17, s8
	s_add_u32 s2, s18, s2
	s_addc_u32 s3, s19, s3
	s_mul_i32 s18, s16, s8
	s_load_b128 s[12:15], s[2:3], 0x0
	s_mul_i32 s2, s16, s9
	s_mul_hi_u32 s3, s16, s8
	s_delay_alu instid0(SALU_CYCLE_1) | instskip(SKIP_2) | instid1(VALU_DEP_1)
	s_add_i32 s3, s3, s2
	v_cmp_gt_i32_e64 s2, s23, v6
	s_add_i32 s19, s3, s17
	s_and_saveexec_b32 s3, s2
	s_cbranch_execz .LBB55_4
; %bb.3:
	v_add_co_u32 v1, vcc_lo, s18, v6
	v_add_co_ci_u32_e32 v2, vcc_lo, s19, v7, vcc_lo
	s_delay_alu instid0(VALU_DEP_1) | instskip(NEXT) | instid1(VALU_DEP_1)
	v_lshlrev_b64 v[1:2], 3, v[1:2]
	v_add_co_u32 v1, vcc_lo, s20, v1
	s_delay_alu instid0(VALU_DEP_2)
	v_add_co_ci_u32_e32 v2, vcc_lo, s21, v2, vcc_lo
	global_load_b64 v[1:2], v[1:2], off
	s_waitcnt vmcnt(0)
	v_mul_f64 v[2:3], v[4:5], v[1:2]
.LBB55_4:
	s_or_b32 exec_lo, exec_lo, s3
	s_waitcnt vmcnt(0)
	v_lshlrev_b64 v[4:5], 3, v[6:7]
	s_waitcnt lgkmcnt(0)
	v_cmp_ge_i64_e64 s3, s[12:13], s[14:15]
	v_mov_b32_e32 v8, 0
	v_mov_b32_e32 v9, 0x3ff00000
	s_delay_alu instid0(VALU_DEP_4)
	v_add_co_u32 v12, vcc_lo, s20, v4
	v_add_co_ci_u32_e32 v13, vcc_lo, s21, v5, vcc_lo
	s_and_b32 vcc_lo, exec_lo, s3
	v_cmp_eq_u32_e64 s3, 0, v0
	s_cbranch_vccnz .LBB55_43
; %bb.5:
	s_clause 0x1
	s_load_b128 s[24:27], s[0:1], 0x20
	s_load_b64 s[20:21], s[0:1], 0x50
	v_dual_mov_b32 v1, 0 :: v_dual_lshlrev_b32 v4, 2, v0
	v_lshlrev_b32_e32 v14, 3, v0
	s_sub_u32 s12, s12, s4
	s_subb_u32 s13, s13, 0
	s_sub_u32 s14, s14, s4
	s_subb_u32 s15, s15, 0
	v_or_b32_e32 v15, 0x200, v4
	s_cmp_lg_u32 s6, 0
	v_cmp_ne_u32_e64 s0, 0, v0
	s_cselect_b32 s17, -1, 0
	s_mov_b64 s[22:23], s[12:13]
	s_waitcnt lgkmcnt(0)
	v_add_co_u32 v16, s1, s24, v4
	v_mov_b32_e32 v4, 0
	v_mov_b32_e32 v5, 0x3ff00000
	v_add_co_ci_u32_e64 v17, null, s25, 0, s1
	v_add_co_u32 v18, s1, s26, v14
	s_delay_alu instid0(VALU_DEP_1)
	v_add_co_ci_u32_e64 v19, null, s27, 0, s1
	s_add_i32 s26, s16, s4
	s_cmp_eq_u32 s6, 0
	s_cselect_b32 s1, -1, 0
	s_branch .LBB55_8
.LBB55_6:                               ;   in Loop: Header=BB55_8 Depth=1
	s_add_u32 s22, s22, 1
	s_addc_u32 s23, s23, 0
	s_delay_alu instid0(SALU_CYCLE_1)
	v_cmp_ge_i64_e64 s13, s[22:23], s[14:15]
.LBB55_7:                               ;   in Loop: Header=BB55_8 Depth=1
	s_delay_alu instid0(VALU_DEP_2) | instskip(SKIP_1) | instid1(VALU_DEP_3)
	v_dual_mov_b32 v2, v10 :: v_dual_mov_b32 v3, v11
	v_dual_mov_b32 v4, v8 :: v_dual_mov_b32 v5, v9
	s_and_not1_b32 vcc_lo, exec_lo, s13
	s_cbranch_vccz .LBB55_44
.LBB55_8:                               ; =>This Loop Header: Depth=1
                                        ;     Child Loop BB55_36 Depth 2
	s_sub_i32 s13, s22, s12
	s_delay_alu instid0(SALU_CYCLE_1) | instskip(NEXT) | instid1(SALU_CYCLE_1)
	s_and_b32 s13, s13, 63
	s_cmp_lg_u32 s13, 0
	s_cbranch_scc1 .LBB55_12
; %bb.9:                                ;   in Loop: Header=BB55_8 Depth=1
	s_sub_u32 s24, s14, s22
	s_subb_u32 s25, s15, s23
	v_mov_b32_e32 v6, 0
	v_cmp_gt_i64_e32 vcc_lo, s[24:25], v[0:1]
	v_dual_mov_b32 v7, 0xbff00000 :: v_dual_mov_b32 v8, -1
	s_and_saveexec_b32 s24, vcc_lo
	s_cbranch_execz .LBB55_11
; %bb.10:                               ;   in Loop: Header=BB55_8 Depth=1
	s_lshl_b64 s[28:29], s[22:23], 2
	s_delay_alu instid0(SALU_CYCLE_1)
	v_add_co_u32 v6, vcc_lo, v16, s28
	v_add_co_ci_u32_e32 v7, vcc_lo, s29, v17, vcc_lo
	s_lshl_b64 s[28:29], s[22:23], 3
	global_load_b32 v8, v[6:7], off
	v_add_co_u32 v6, vcc_lo, v18, s28
	v_add_co_ci_u32_e32 v7, vcc_lo, s29, v19, vcc_lo
	global_load_b64 v[6:7], v[6:7], off
	s_waitcnt vmcnt(1)
	v_subrev_nc_u32_e32 v8, s4, v8
.LBB55_11:                              ;   in Loop: Header=BB55_8 Depth=1
	s_or_b32 exec_lo, exec_lo, s24
	ds_store_b32 v15, v8
	s_waitcnt vmcnt(0)
	ds_store_b64 v14, v[6:7]
.LBB55_12:                              ;   in Loop: Header=BB55_8 Depth=1
	s_lshl_b32 s24, s13, 3
	s_waitcnt lgkmcnt(0)
	v_mov_b32_e32 v6, s24
	s_waitcnt_vscnt null, 0x0
	s_barrier
	buffer_gl0_inv
	s_lshl_b32 s13, s13, 2
	s_delay_alu instid0(SALU_CYCLE_1)
	v_mov_b32_e32 v8, s13
	ds_load_b64 v[6:7], v6
	ds_load_b32 v8, v8 offset:512
	s_waitcnt lgkmcnt(1)
	v_cmp_neq_f64_e32 vcc_lo, 0, v[6:7]
	s_waitcnt lgkmcnt(0)
	v_readfirstlane_b32 s13, v8
	s_delay_alu instid0(VALU_DEP_1) | instskip(SKIP_1) | instid1(SALU_CYCLE_1)
	s_cmp_lg_u32 s13, s16
	s_cselect_b32 s24, -1, 0
	s_or_b32 s24, s17, s24
	s_delay_alu instid0(SALU_CYCLE_1) | instskip(SKIP_3) | instid1(SALU_CYCLE_1)
	s_or_b32 vcc_lo, vcc_lo, s24
	v_cndmask_b32_e32 v7, 0x3ff00000, v7, vcc_lo
	v_cndmask_b32_e32 v6, 0, v6, vcc_lo
	s_or_b32 s24, s0, vcc_lo
	s_xor_b32 s25, s24, -1
	s_delay_alu instid0(SALU_CYCLE_1)
	s_and_saveexec_b32 s24, s25
	s_cbranch_execz .LBB55_16
; %bb.13:                               ;   in Loop: Header=BB55_8 Depth=1
	v_mbcnt_lo_u32_b32 v6, exec_lo, 0
	s_mov_b32 s25, exec_lo
	s_delay_alu instid0(VALU_DEP_1)
	v_cmpx_eq_u32_e32 0, v6
	s_cbranch_execz .LBB55_15
; %bb.14:                               ;   in Loop: Header=BB55_8 Depth=1
	v_mov_b32_e32 v6, s26
	global_atomic_min_i32 v1, v6, s[20:21]
.LBB55_15:                              ;   in Loop: Header=BB55_8 Depth=1
	s_or_b32 exec_lo, exec_lo, s25
	v_mov_b32_e32 v6, 0
	v_mov_b32_e32 v7, 0x3ff00000
.LBB55_16:                              ;   in Loop: Header=BB55_8 Depth=1
	s_or_b32 exec_lo, exec_lo, s24
	s_cmp_lt_i32 s5, 1
	s_mov_b32 s24, 0
	s_cbranch_scc1 .LBB55_21
; %bb.17:                               ;   in Loop: Header=BB55_8 Depth=1
	s_cmp_eq_u32 s5, 1
	s_cbranch_scc0 .LBB55_22
; %bb.18:                               ;   in Loop: Header=BB55_8 Depth=1
	v_dual_mov_b32 v9, v5 :: v_dual_mov_b32 v8, v4
	s_cmp_ge_i32 s13, s16
	s_mov_b32 s25, 0
	s_cbranch_scc0 .LBB55_24
; %bb.19:                               ;   in Loop: Header=BB55_8 Depth=1
	s_cmp_eq_u32 s13, s16
	s_cbranch_scc0 .LBB55_23
; %bb.20:                               ;   in Loop: Header=BB55_8 Depth=1
	v_div_scale_f64 v[8:9], null, v[6:7], v[6:7], 1.0
	v_div_scale_f64 v[22:23], vcc_lo, 1.0, v[6:7], 1.0
	s_delay_alu instid0(VALU_DEP_2) | instskip(SKIP_2) | instid1(VALU_DEP_1)
	v_rcp_f64_e32 v[10:11], v[8:9]
	s_waitcnt_depctr 0xfff
	v_fma_f64 v[20:21], -v[8:9], v[10:11], 1.0
	v_fma_f64 v[10:11], v[10:11], v[20:21], v[10:11]
	s_delay_alu instid0(VALU_DEP_1) | instskip(NEXT) | instid1(VALU_DEP_1)
	v_fma_f64 v[20:21], -v[8:9], v[10:11], 1.0
	v_fma_f64 v[10:11], v[10:11], v[20:21], v[10:11]
	s_delay_alu instid0(VALU_DEP_1) | instskip(NEXT) | instid1(VALU_DEP_1)
	v_mul_f64 v[20:21], v[22:23], v[10:11]
	v_fma_f64 v[8:9], -v[8:9], v[20:21], v[22:23]
	s_delay_alu instid0(VALU_DEP_1) | instskip(NEXT) | instid1(VALU_DEP_1)
	v_div_fmas_f64 v[8:9], v[8:9], v[10:11], v[20:21]
	v_div_fixup_f64 v[8:9], v[8:9], v[6:7], 1.0
	s_delay_alu instid0(VALU_DEP_1) | instskip(NEXT) | instid1(VALU_DEP_2)
	v_cndmask_b32_e64 v9, v5, v9, s1
	v_cndmask_b32_e64 v8, v4, v8, s1
	s_branch .LBB55_24
.LBB55_21:                              ;   in Loop: Header=BB55_8 Depth=1
	s_mov_b32 s25, 0
                                        ; implicit-def: $vgpr10_vgpr11
                                        ; implicit-def: $vgpr8_vgpr9
                                        ; implicit-def: $sgpr27
	s_cbranch_execnz .LBB55_25
	s_branch .LBB55_27
.LBB55_22:                              ;   in Loop: Header=BB55_8 Depth=1
	s_mov_b32 s25, -1
                                        ; implicit-def: $vgpr10_vgpr11
                                        ; implicit-def: $vgpr8_vgpr9
                                        ; implicit-def: $sgpr27
	s_branch .LBB55_27
.LBB55_23:                              ;   in Loop: Header=BB55_8 Depth=1
	s_mov_b32 s25, -1
                                        ; implicit-def: $vgpr8_vgpr9
.LBB55_24:                              ;   in Loop: Header=BB55_8 Depth=1
	v_dual_mov_b32 v11, v3 :: v_dual_mov_b32 v10, v2
	s_mov_b32 s27, 4
	s_branch .LBB55_27
.LBB55_25:                              ;   in Loop: Header=BB55_8 Depth=1
	s_cmp_eq_u32 s5, 0
	s_cbranch_scc1 .LBB55_31
; %bb.26:                               ;   in Loop: Header=BB55_8 Depth=1
	s_mov_b32 s25, -1
                                        ; implicit-def: $vgpr10_vgpr11
                                        ; implicit-def: $vgpr8_vgpr9
                                        ; implicit-def: $sgpr27
.LBB55_27:                              ;   in Loop: Header=BB55_8 Depth=1
	s_delay_alu instid0(SALU_CYCLE_1)
	s_and_b32 vcc_lo, exec_lo, s25
	s_cbranch_vccnz .LBB55_34
.LBB55_28:                              ;   in Loop: Header=BB55_8 Depth=1
	s_and_b32 vcc_lo, exec_lo, s24
	s_cbranch_vccnz .LBB55_40
.LBB55_29:                              ;   in Loop: Header=BB55_8 Depth=1
	s_cmp_gt_i32 s27, 3
	s_mov_b32 s13, -1
	s_cbranch_scc1 .LBB55_41
.LBB55_30:                              ;   in Loop: Header=BB55_8 Depth=1
	s_cmp_eq_u32 s27, 0
	s_cselect_b32 s24, -1, 0
	s_delay_alu instid0(SALU_CYCLE_1)
	s_and_not1_b32 vcc_lo, exec_lo, s24
	s_cbranch_vccz .LBB55_6
	s_branch .LBB55_42
.LBB55_31:                              ;   in Loop: Header=BB55_8 Depth=1
	s_cmp_le_i32 s13, s16
	s_mov_b32 s25, 0
	s_cbranch_scc0 .LBB55_33
; %bb.32:                               ;   in Loop: Header=BB55_8 Depth=1
	s_cmp_lg_u32 s13, s16
	s_mov_b32 s24, -1
	s_cselect_b32 s25, -1, 0
.LBB55_33:                              ;   in Loop: Header=BB55_8 Depth=1
	v_dual_mov_b32 v11, v3 :: v_dual_mov_b32 v10, v2
	v_dual_mov_b32 v9, v5 :: v_dual_mov_b32 v8, v4
	s_mov_b32 s27, 2
	s_and_b32 vcc_lo, exec_lo, s25
	s_cbranch_vccz .LBB55_28
.LBB55_34:                              ;   in Loop: Header=BB55_8 Depth=1
	s_and_saveexec_b32 s27, s3
	s_cbranch_execz .LBB55_37
; %bb.35:                               ;   in Loop: Header=BB55_8 Depth=1
	s_add_i32 s24, s13, s7
	s_delay_alu instid0(SALU_CYCLE_1) | instskip(NEXT) | instid1(SALU_CYCLE_1)
	s_ashr_i32 s25, s24, 31
	s_lshl_b64 s[24:25], s[24:25], 2
	s_delay_alu instid0(SALU_CYCLE_1)
	s_add_u32 s24, s10, s24
	s_addc_u32 s25, s11, s25
	global_load_b32 v8, v1, s[24:25] glc
	s_waitcnt vmcnt(0)
	v_cmp_ne_u32_e32 vcc_lo, 0, v8
	s_cbranch_vccnz .LBB55_37
.LBB55_36:                              ;   Parent Loop BB55_8 Depth=1
                                        ; =>  This Inner Loop Header: Depth=2
	global_load_b32 v8, v1, s[24:25] glc
	s_waitcnt vmcnt(0)
	v_cmp_eq_u32_e32 vcc_lo, 0, v8
	s_cbranch_vccnz .LBB55_36
.LBB55_37:                              ;   in Loop: Header=BB55_8 Depth=1
	s_or_b32 exec_lo, exec_lo, s27
	v_mov_b32_e32 v10, 0
	v_mov_b32_e32 v11, 0
	s_waitcnt_vscnt null, 0x0
	s_barrier
	buffer_gl0_inv
	buffer_gl1_inv
	buffer_gl0_inv
	s_and_saveexec_b32 s24, s2
	s_cbranch_execz .LBB55_39
; %bb.38:                               ;   in Loop: Header=BB55_8 Depth=1
	s_mul_i32 s25, s13, s9
	s_mul_hi_u32 s27, s13, s8
	s_ashr_i32 s28, s13, 31
	s_add_i32 s25, s27, s25
	s_mul_i32 s28, s28, s8
	s_delay_alu instid0(SALU_CYCLE_1) | instskip(SKIP_1) | instid1(SALU_CYCLE_1)
	s_add_i32 s29, s25, s28
	s_mul_i32 s28, s13, s8
	s_lshl_b64 s[28:29], s[28:29], 3
	s_delay_alu instid0(SALU_CYCLE_1)
	v_add_co_u32 v8, vcc_lo, v12, s28
	v_add_co_ci_u32_e32 v9, vcc_lo, s29, v13, vcc_lo
	global_load_b64 v[8:9], v[8:9], off
	s_waitcnt vmcnt(0)
	v_fma_f64 v[10:11], -v[6:7], v[8:9], v[2:3]
.LBB55_39:                              ;   in Loop: Header=BB55_8 Depth=1
	s_or_b32 exec_lo, exec_lo, s24
	v_dual_mov_b32 v9, v5 :: v_dual_mov_b32 v8, v4
	s_mov_b32 s27, 0
	s_branch .LBB55_29
.LBB55_40:                              ;   in Loop: Header=BB55_8 Depth=1
	v_div_scale_f64 v[8:9], null, v[6:7], v[6:7], 1.0
	v_div_scale_f64 v[22:23], vcc_lo, 1.0, v[6:7], 1.0
	s_mov_b32 s27, 2
	s_delay_alu instid0(VALU_DEP_2) | instskip(SKIP_2) | instid1(VALU_DEP_1)
	v_rcp_f64_e32 v[10:11], v[8:9]
	s_waitcnt_depctr 0xfff
	v_fma_f64 v[20:21], -v[8:9], v[10:11], 1.0
	v_fma_f64 v[10:11], v[10:11], v[20:21], v[10:11]
	s_delay_alu instid0(VALU_DEP_1) | instskip(NEXT) | instid1(VALU_DEP_1)
	v_fma_f64 v[20:21], -v[8:9], v[10:11], 1.0
	v_fma_f64 v[10:11], v[10:11], v[20:21], v[10:11]
	s_delay_alu instid0(VALU_DEP_1) | instskip(NEXT) | instid1(VALU_DEP_1)
	v_mul_f64 v[20:21], v[22:23], v[10:11]
	v_fma_f64 v[8:9], -v[8:9], v[20:21], v[22:23]
	s_delay_alu instid0(VALU_DEP_1) | instskip(SKIP_1) | instid1(VALU_DEP_2)
	v_div_fmas_f64 v[8:9], v[8:9], v[10:11], v[20:21]
	v_dual_mov_b32 v11, v3 :: v_dual_mov_b32 v10, v2
	v_div_fixup_f64 v[6:7], v[8:9], v[6:7], 1.0
	s_delay_alu instid0(VALU_DEP_1) | instskip(NEXT) | instid1(VALU_DEP_2)
	v_cndmask_b32_e64 v9, v5, v7, s1
	v_cndmask_b32_e64 v8, v4, v6, s1
	s_cmp_gt_i32 s27, 3
	s_mov_b32 s13, -1
	s_cbranch_scc0 .LBB55_30
.LBB55_41:                              ;   in Loop: Header=BB55_8 Depth=1
	s_branch .LBB55_6
.LBB55_42:                              ;   in Loop: Header=BB55_8 Depth=1
                                        ; implicit-def: $sgpr22_sgpr23
	s_branch .LBB55_7
.LBB55_43:
	v_dual_mov_b32 v11, v3 :: v_dual_mov_b32 v10, v2
.LBB55_44:
	s_and_saveexec_b32 s0, s2
	s_cbranch_execz .LBB55_46
; %bb.45:
	s_delay_alu instid0(VALU_DEP_1) | instskip(SKIP_3) | instid1(VALU_DEP_1)
	v_mul_f64 v[1:2], v[8:9], v[10:11]
	s_cmp_eq_u32 s6, 0
	s_cselect_b32 vcc_lo, -1, 0
	s_lshl_b64 s[2:3], s[18:19], 3
	v_dual_cndmask_b32 v2, v11, v2 :: v_dual_cndmask_b32 v1, v10, v1
	v_add_co_u32 v3, vcc_lo, v12, s2
	v_add_co_ci_u32_e32 v4, vcc_lo, s3, v13, vcc_lo
	global_store_b64 v[3:4], v[1:2], off
.LBB55_46:
	s_or_b32 exec_lo, exec_lo, s0
	s_waitcnt_vscnt null, 0x0
	buffer_gl1_inv
	buffer_gl0_inv
	s_barrier
	buffer_gl0_inv
	s_mov_b32 s0, exec_lo
	v_cmpx_eq_u32_e32 0, v0
	s_cbranch_execz .LBB55_48
; %bb.47:
	s_add_i32 s0, s16, s7
	v_dual_mov_b32 v0, 0 :: v_dual_mov_b32 v1, 1
	s_ashr_i32 s1, s0, 31
	s_delay_alu instid0(SALU_CYCLE_1) | instskip(NEXT) | instid1(SALU_CYCLE_1)
	s_lshl_b64 s[0:1], s[0:1], 2
	s_add_u32 s0, s10, s0
	s_addc_u32 s1, s11, s1
	global_store_b32 v0, v1, s[0:1]
.LBB55_48:
	s_nop 0
	s_sendmsg sendmsg(MSG_DEALLOC_VGPRS)
	s_endpgm
	.section	.rodata,"a",@progbits
	.p2align	6, 0x0
	.amdhsa_kernel _ZN9rocsparseL5csrsmILj64ELj64ELb0ElidEEv20rocsparse_operation_T3_S2_NS_24const_host_device_scalarIT4_EEPKT2_PKS2_PKS4_PS4_lPiSA_PS2_21rocsparse_index_base_20rocsparse_fill_mode_20rocsparse_diag_type_b
		.amdhsa_group_segment_fixed_size 768
		.amdhsa_private_segment_fixed_size 0
		.amdhsa_kernarg_size 104
		.amdhsa_user_sgpr_count 15
		.amdhsa_user_sgpr_dispatch_ptr 0
		.amdhsa_user_sgpr_queue_ptr 0
		.amdhsa_user_sgpr_kernarg_segment_ptr 1
		.amdhsa_user_sgpr_dispatch_id 0
		.amdhsa_user_sgpr_private_segment_size 0
		.amdhsa_wavefront_size32 1
		.amdhsa_uses_dynamic_stack 0
		.amdhsa_enable_private_segment 0
		.amdhsa_system_sgpr_workgroup_id_x 1
		.amdhsa_system_sgpr_workgroup_id_y 0
		.amdhsa_system_sgpr_workgroup_id_z 0
		.amdhsa_system_sgpr_workgroup_info 0
		.amdhsa_system_vgpr_workitem_id 0
		.amdhsa_next_free_vgpr 24
		.amdhsa_next_free_sgpr 30
		.amdhsa_reserve_vcc 1
		.amdhsa_float_round_mode_32 0
		.amdhsa_float_round_mode_16_64 0
		.amdhsa_float_denorm_mode_32 3
		.amdhsa_float_denorm_mode_16_64 3
		.amdhsa_dx10_clamp 1
		.amdhsa_ieee_mode 1
		.amdhsa_fp16_overflow 0
		.amdhsa_workgroup_processor_mode 1
		.amdhsa_memory_ordered 1
		.amdhsa_forward_progress 0
		.amdhsa_shared_vgpr_count 0
		.amdhsa_exception_fp_ieee_invalid_op 0
		.amdhsa_exception_fp_denorm_src 0
		.amdhsa_exception_fp_ieee_div_zero 0
		.amdhsa_exception_fp_ieee_overflow 0
		.amdhsa_exception_fp_ieee_underflow 0
		.amdhsa_exception_fp_ieee_inexact 0
		.amdhsa_exception_int_div_zero 0
	.end_amdhsa_kernel
	.section	.text._ZN9rocsparseL5csrsmILj64ELj64ELb0ElidEEv20rocsparse_operation_T3_S2_NS_24const_host_device_scalarIT4_EEPKT2_PKS2_PKS4_PS4_lPiSA_PS2_21rocsparse_index_base_20rocsparse_fill_mode_20rocsparse_diag_type_b,"axG",@progbits,_ZN9rocsparseL5csrsmILj64ELj64ELb0ElidEEv20rocsparse_operation_T3_S2_NS_24const_host_device_scalarIT4_EEPKT2_PKS2_PKS4_PS4_lPiSA_PS2_21rocsparse_index_base_20rocsparse_fill_mode_20rocsparse_diag_type_b,comdat
.Lfunc_end55:
	.size	_ZN9rocsparseL5csrsmILj64ELj64ELb0ElidEEv20rocsparse_operation_T3_S2_NS_24const_host_device_scalarIT4_EEPKT2_PKS2_PKS4_PS4_lPiSA_PS2_21rocsparse_index_base_20rocsparse_fill_mode_20rocsparse_diag_type_b, .Lfunc_end55-_ZN9rocsparseL5csrsmILj64ELj64ELb0ElidEEv20rocsparse_operation_T3_S2_NS_24const_host_device_scalarIT4_EEPKT2_PKS2_PKS4_PS4_lPiSA_PS2_21rocsparse_index_base_20rocsparse_fill_mode_20rocsparse_diag_type_b
                                        ; -- End function
	.section	.AMDGPU.csdata,"",@progbits
; Kernel info:
; codeLenInByte = 1876
; NumSgprs: 32
; NumVgprs: 24
; ScratchSize: 0
; MemoryBound: 0
; FloatMode: 240
; IeeeMode: 1
; LDSByteSize: 768 bytes/workgroup (compile time only)
; SGPRBlocks: 3
; VGPRBlocks: 2
; NumSGPRsForWavesPerEU: 32
; NumVGPRsForWavesPerEU: 24
; Occupancy: 16
; WaveLimiterHint : 1
; COMPUTE_PGM_RSRC2:SCRATCH_EN: 0
; COMPUTE_PGM_RSRC2:USER_SGPR: 15
; COMPUTE_PGM_RSRC2:TRAP_HANDLER: 0
; COMPUTE_PGM_RSRC2:TGID_X_EN: 1
; COMPUTE_PGM_RSRC2:TGID_Y_EN: 0
; COMPUTE_PGM_RSRC2:TGID_Z_EN: 0
; COMPUTE_PGM_RSRC2:TIDIG_COMP_CNT: 0
	.section	.text._ZN9rocsparseL5csrsmILj128ELj64ELb1ElidEEv20rocsparse_operation_T3_S2_NS_24const_host_device_scalarIT4_EEPKT2_PKS2_PKS4_PS4_lPiSA_PS2_21rocsparse_index_base_20rocsparse_fill_mode_20rocsparse_diag_type_b,"axG",@progbits,_ZN9rocsparseL5csrsmILj128ELj64ELb1ElidEEv20rocsparse_operation_T3_S2_NS_24const_host_device_scalarIT4_EEPKT2_PKS2_PKS4_PS4_lPiSA_PS2_21rocsparse_index_base_20rocsparse_fill_mode_20rocsparse_diag_type_b,comdat
	.globl	_ZN9rocsparseL5csrsmILj128ELj64ELb1ElidEEv20rocsparse_operation_T3_S2_NS_24const_host_device_scalarIT4_EEPKT2_PKS2_PKS4_PS4_lPiSA_PS2_21rocsparse_index_base_20rocsparse_fill_mode_20rocsparse_diag_type_b ; -- Begin function _ZN9rocsparseL5csrsmILj128ELj64ELb1ElidEEv20rocsparse_operation_T3_S2_NS_24const_host_device_scalarIT4_EEPKT2_PKS2_PKS4_PS4_lPiSA_PS2_21rocsparse_index_base_20rocsparse_fill_mode_20rocsparse_diag_type_b
	.p2align	8
	.type	_ZN9rocsparseL5csrsmILj128ELj64ELb1ElidEEv20rocsparse_operation_T3_S2_NS_24const_host_device_scalarIT4_EEPKT2_PKS2_PKS4_PS4_lPiSA_PS2_21rocsparse_index_base_20rocsparse_fill_mode_20rocsparse_diag_type_b,@function
_ZN9rocsparseL5csrsmILj128ELj64ELb1ElidEEv20rocsparse_operation_T3_S2_NS_24const_host_device_scalarIT4_EEPKT2_PKS2_PKS4_PS4_lPiSA_PS2_21rocsparse_index_base_20rocsparse_fill_mode_20rocsparse_diag_type_b: ; @_ZN9rocsparseL5csrsmILj128ELj64ELb1ElidEEv20rocsparse_operation_T3_S2_NS_24const_host_device_scalarIT4_EEPKT2_PKS2_PKS4_PS4_lPiSA_PS2_21rocsparse_index_base_20rocsparse_fill_mode_20rocsparse_diag_type_b
; %bb.0:
	s_clause 0x3
	s_load_b128 s[4:7], s[0:1], 0x58
	s_load_b128 s[16:19], s[0:1], 0x10
	s_load_b64 s[2:3], s[0:1], 0x48
	s_load_b64 s[20:21], s[0:1], 0x30
	s_waitcnt lgkmcnt(0)
	s_bitcmp1_b32 s7, 0
	v_dual_mov_b32 v4, s16 :: v_dual_mov_b32 v5, s17
	s_cselect_b32 s7, -1, 0
	s_delay_alu instid0(SALU_CYCLE_1)
	s_and_b32 vcc_lo, exec_lo, s7
	s_cbranch_vccnz .LBB56_2
; %bb.1:
	v_dual_mov_b32 v1, s16 :: v_dual_mov_b32 v2, s17
	flat_load_b64 v[4:5], v[1:2]
.LBB56_2:
	s_load_b64 s[22:23], s[0:1], 0x4
	v_mov_b32_e32 v2, 0
	v_mov_b32_e32 v3, 0
	s_waitcnt lgkmcnt(0)
	v_cvt_f32_u32_e32 v1, s22
	s_sub_i32 s8, 0, s22
	s_delay_alu instid0(VALU_DEP_1) | instskip(SKIP_2) | instid1(VALU_DEP_1)
	v_rcp_iflag_f32_e32 v1, v1
	s_waitcnt_depctr 0xfff
	v_mul_f32_e32 v1, 0x4f7ffffe, v1
	v_cvt_u32_f32_e32 v1, v1
	s_delay_alu instid0(VALU_DEP_1) | instskip(NEXT) | instid1(VALU_DEP_1)
	v_readfirstlane_b32 s7, v1
	s_mul_i32 s8, s8, s7
	s_delay_alu instid0(SALU_CYCLE_1) | instskip(NEXT) | instid1(SALU_CYCLE_1)
	s_mul_hi_u32 s8, s7, s8
	s_add_i32 s7, s7, s8
	s_delay_alu instid0(SALU_CYCLE_1) | instskip(NEXT) | instid1(SALU_CYCLE_1)
	s_mul_hi_u32 s7, s15, s7
	s_mul_i32 s8, s7, s22
	s_add_i32 s9, s7, 1
	s_sub_i32 s8, s15, s8
	s_delay_alu instid0(SALU_CYCLE_1)
	s_sub_i32 s10, s8, s22
	s_cmp_ge_u32 s8, s22
	s_cselect_b32 s7, s9, s7
	s_cselect_b32 s8, s10, s8
	s_add_i32 s9, s7, 1
	s_cmp_ge_u32 s8, s22
	s_cselect_b32 s24, s9, s7
	s_delay_alu instid0(SALU_CYCLE_1) | instskip(SKIP_2) | instid1(SALU_CYCLE_1)
	s_mul_i32 s7, s24, s22
	v_lshl_or_b32 v6, s24, 7, v0
	s_sub_i32 s8, s15, s7
	s_ashr_i32 s9, s8, 31
	s_delay_alu instid0(VALU_DEP_1) | instskip(SKIP_1) | instid1(SALU_CYCLE_1)
	v_ashrrev_i32_e32 v7, 31, v6
	s_lshl_b64 s[8:9], s[8:9], 2
	s_add_u32 s2, s2, s8
	s_addc_u32 s3, s3, s9
	s_load_b32 s16, s[2:3], 0x0
	s_load_b128 s[8:11], s[0:1], 0x38
	s_waitcnt lgkmcnt(0)
	s_ashr_i32 s17, s16, 31
	s_delay_alu instid0(SALU_CYCLE_1)
	s_lshl_b64 s[2:3], s[16:17], 3
	s_mul_i32 s17, s17, s8
	s_add_u32 s2, s18, s2
	s_addc_u32 s3, s19, s3
	s_mul_i32 s18, s16, s8
	s_load_b128 s[12:15], s[2:3], 0x0
	s_mul_i32 s2, s16, s9
	s_mul_hi_u32 s3, s16, s8
	s_delay_alu instid0(SALU_CYCLE_1) | instskip(SKIP_2) | instid1(VALU_DEP_1)
	s_add_i32 s3, s3, s2
	v_cmp_gt_i32_e64 s2, s23, v6
	s_add_i32 s19, s3, s17
	s_and_saveexec_b32 s3, s2
	s_cbranch_execz .LBB56_4
; %bb.3:
	v_add_co_u32 v1, vcc_lo, s18, v6
	v_add_co_ci_u32_e32 v2, vcc_lo, s19, v7, vcc_lo
	s_delay_alu instid0(VALU_DEP_1) | instskip(NEXT) | instid1(VALU_DEP_1)
	v_lshlrev_b64 v[1:2], 3, v[1:2]
	v_add_co_u32 v1, vcc_lo, s20, v1
	s_delay_alu instid0(VALU_DEP_2)
	v_add_co_ci_u32_e32 v2, vcc_lo, s21, v2, vcc_lo
	global_load_b64 v[1:2], v[1:2], off
	s_waitcnt vmcnt(0)
	v_mul_f64 v[2:3], v[4:5], v[1:2]
.LBB56_4:
	s_or_b32 exec_lo, exec_lo, s3
	s_waitcnt vmcnt(0)
	v_lshlrev_b64 v[4:5], 3, v[6:7]
	s_waitcnt lgkmcnt(0)
	v_cmp_ge_i64_e64 s3, s[12:13], s[14:15]
	v_mov_b32_e32 v8, 0
	v_mov_b32_e32 v9, 0x3ff00000
	s_delay_alu instid0(VALU_DEP_4)
	v_add_co_u32 v12, vcc_lo, s20, v4
	v_add_co_ci_u32_e32 v13, vcc_lo, s21, v5, vcc_lo
	s_and_b32 vcc_lo, exec_lo, s3
	v_cmp_eq_u32_e64 s3, 0, v0
	s_cbranch_vccnz .LBB56_46
; %bb.5:
	s_clause 0x1
	s_load_b128 s[24:27], s[0:1], 0x20
	s_load_b64 s[20:21], s[0:1], 0x50
	v_dual_mov_b32 v1, 0 :: v_dual_lshlrev_b32 v4, 2, v0
	v_lshlrev_b32_e32 v14, 3, v0
	s_sub_u32 s12, s12, s4
	s_subb_u32 s13, s13, 0
	s_sub_u32 s14, s14, s4
	s_subb_u32 s15, s15, 0
	v_or_b32_e32 v15, 0x400, v4
	s_cmp_lg_u32 s6, 0
	v_cmp_ne_u32_e64 s0, 0, v0
	s_cselect_b32 s17, -1, 0
	s_mov_b64 s[22:23], s[12:13]
	s_waitcnt lgkmcnt(0)
	v_add_co_u32 v16, s1, s24, v4
	v_mov_b32_e32 v4, 0
	v_mov_b32_e32 v5, 0x3ff00000
	v_add_co_ci_u32_e64 v17, null, s25, 0, s1
	v_add_co_u32 v18, s1, s26, v14
	s_delay_alu instid0(VALU_DEP_1)
	v_add_co_ci_u32_e64 v19, null, s27, 0, s1
	s_add_i32 s26, s16, s4
	s_cmp_eq_u32 s6, 0
	s_cselect_b32 s1, -1, 0
	s_branch .LBB56_8
.LBB56_6:                               ;   in Loop: Header=BB56_8 Depth=1
	s_add_u32 s22, s22, 1
	s_addc_u32 s23, s23, 0
	s_delay_alu instid0(SALU_CYCLE_1)
	v_cmp_ge_i64_e64 s13, s[22:23], s[14:15]
.LBB56_7:                               ;   in Loop: Header=BB56_8 Depth=1
	s_delay_alu instid0(VALU_DEP_2) | instskip(SKIP_1) | instid1(VALU_DEP_3)
	v_dual_mov_b32 v2, v10 :: v_dual_mov_b32 v3, v11
	v_dual_mov_b32 v4, v8 :: v_dual_mov_b32 v5, v9
	s_and_not1_b32 vcc_lo, exec_lo, s13
	s_cbranch_vccz .LBB56_47
.LBB56_8:                               ; =>This Loop Header: Depth=1
                                        ;     Child Loop BB56_44 Depth 2
                                        ;       Child Loop BB56_45 Depth 3
	s_sub_i32 s13, s22, s12
	s_delay_alu instid0(SALU_CYCLE_1) | instskip(NEXT) | instid1(SALU_CYCLE_1)
	s_and_b32 s13, s13, 0x7f
	s_cmp_lg_u32 s13, 0
	s_cbranch_scc1 .LBB56_12
; %bb.9:                                ;   in Loop: Header=BB56_8 Depth=1
	s_sub_u32 s24, s14, s22
	s_subb_u32 s25, s15, s23
	v_mov_b32_e32 v6, 0
	v_cmp_gt_i64_e32 vcc_lo, s[24:25], v[0:1]
	v_dual_mov_b32 v7, 0xbff00000 :: v_dual_mov_b32 v8, -1
	s_and_saveexec_b32 s24, vcc_lo
	s_cbranch_execz .LBB56_11
; %bb.10:                               ;   in Loop: Header=BB56_8 Depth=1
	s_lshl_b64 s[28:29], s[22:23], 2
	s_delay_alu instid0(SALU_CYCLE_1)
	v_add_co_u32 v6, vcc_lo, v16, s28
	v_add_co_ci_u32_e32 v7, vcc_lo, s29, v17, vcc_lo
	s_lshl_b64 s[28:29], s[22:23], 3
	global_load_b32 v8, v[6:7], off
	v_add_co_u32 v6, vcc_lo, v18, s28
	v_add_co_ci_u32_e32 v7, vcc_lo, s29, v19, vcc_lo
	global_load_b64 v[6:7], v[6:7], off
	s_waitcnt vmcnt(1)
	v_subrev_nc_u32_e32 v8, s4, v8
.LBB56_11:                              ;   in Loop: Header=BB56_8 Depth=1
	s_or_b32 exec_lo, exec_lo, s24
	ds_store_b32 v15, v8
	s_waitcnt vmcnt(0)
	ds_store_b64 v14, v[6:7]
.LBB56_12:                              ;   in Loop: Header=BB56_8 Depth=1
	s_lshl_b32 s24, s13, 3
	s_waitcnt lgkmcnt(0)
	v_mov_b32_e32 v6, s24
	s_waitcnt_vscnt null, 0x0
	s_barrier
	buffer_gl0_inv
	s_lshl_b32 s13, s13, 2
	s_delay_alu instid0(SALU_CYCLE_1)
	v_mov_b32_e32 v8, s13
	ds_load_b64 v[6:7], v6
	ds_load_b32 v8, v8 offset:1024
	s_waitcnt lgkmcnt(1)
	v_cmp_neq_f64_e32 vcc_lo, 0, v[6:7]
	s_waitcnt lgkmcnt(0)
	v_readfirstlane_b32 s13, v8
	s_delay_alu instid0(VALU_DEP_1) | instskip(SKIP_1) | instid1(SALU_CYCLE_1)
	s_cmp_lg_u32 s13, s16
	s_cselect_b32 s24, -1, 0
	s_or_b32 s24, s17, s24
	s_delay_alu instid0(SALU_CYCLE_1) | instskip(SKIP_3) | instid1(SALU_CYCLE_1)
	s_or_b32 vcc_lo, vcc_lo, s24
	v_cndmask_b32_e32 v7, 0x3ff00000, v7, vcc_lo
	v_cndmask_b32_e32 v6, 0, v6, vcc_lo
	s_or_b32 s24, s0, vcc_lo
	s_xor_b32 s25, s24, -1
	s_delay_alu instid0(SALU_CYCLE_1)
	s_and_saveexec_b32 s24, s25
	s_cbranch_execz .LBB56_16
; %bb.13:                               ;   in Loop: Header=BB56_8 Depth=1
	v_mbcnt_lo_u32_b32 v6, exec_lo, 0
	s_mov_b32 s25, exec_lo
	s_delay_alu instid0(VALU_DEP_1)
	v_cmpx_eq_u32_e32 0, v6
	s_cbranch_execz .LBB56_15
; %bb.14:                               ;   in Loop: Header=BB56_8 Depth=1
	v_mov_b32_e32 v6, s26
	global_atomic_min_i32 v1, v6, s[20:21]
.LBB56_15:                              ;   in Loop: Header=BB56_8 Depth=1
	s_or_b32 exec_lo, exec_lo, s25
	v_mov_b32_e32 v6, 0
	v_mov_b32_e32 v7, 0x3ff00000
.LBB56_16:                              ;   in Loop: Header=BB56_8 Depth=1
	s_or_b32 exec_lo, exec_lo, s24
	s_cmp_lt_i32 s5, 1
	s_mov_b32 s24, 0
	s_cbranch_scc1 .LBB56_21
; %bb.17:                               ;   in Loop: Header=BB56_8 Depth=1
	s_cmp_eq_u32 s5, 1
	s_cbranch_scc0 .LBB56_22
; %bb.18:                               ;   in Loop: Header=BB56_8 Depth=1
	v_dual_mov_b32 v9, v5 :: v_dual_mov_b32 v8, v4
	s_cmp_ge_i32 s13, s16
	s_mov_b32 s25, 0
	s_cbranch_scc0 .LBB56_24
; %bb.19:                               ;   in Loop: Header=BB56_8 Depth=1
	s_cmp_eq_u32 s13, s16
	s_cbranch_scc0 .LBB56_23
; %bb.20:                               ;   in Loop: Header=BB56_8 Depth=1
	v_div_scale_f64 v[8:9], null, v[6:7], v[6:7], 1.0
	v_div_scale_f64 v[22:23], vcc_lo, 1.0, v[6:7], 1.0
	s_delay_alu instid0(VALU_DEP_2) | instskip(SKIP_2) | instid1(VALU_DEP_1)
	v_rcp_f64_e32 v[10:11], v[8:9]
	s_waitcnt_depctr 0xfff
	v_fma_f64 v[20:21], -v[8:9], v[10:11], 1.0
	v_fma_f64 v[10:11], v[10:11], v[20:21], v[10:11]
	s_delay_alu instid0(VALU_DEP_1) | instskip(NEXT) | instid1(VALU_DEP_1)
	v_fma_f64 v[20:21], -v[8:9], v[10:11], 1.0
	v_fma_f64 v[10:11], v[10:11], v[20:21], v[10:11]
	s_delay_alu instid0(VALU_DEP_1) | instskip(NEXT) | instid1(VALU_DEP_1)
	v_mul_f64 v[20:21], v[22:23], v[10:11]
	v_fma_f64 v[8:9], -v[8:9], v[20:21], v[22:23]
	s_delay_alu instid0(VALU_DEP_1) | instskip(NEXT) | instid1(VALU_DEP_1)
	v_div_fmas_f64 v[8:9], v[8:9], v[10:11], v[20:21]
	v_div_fixup_f64 v[8:9], v[8:9], v[6:7], 1.0
	s_delay_alu instid0(VALU_DEP_1) | instskip(NEXT) | instid1(VALU_DEP_2)
	v_cndmask_b32_e64 v9, v5, v9, s1
	v_cndmask_b32_e64 v8, v4, v8, s1
	s_branch .LBB56_24
.LBB56_21:                              ;   in Loop: Header=BB56_8 Depth=1
	s_mov_b32 s25, 0
                                        ; implicit-def: $vgpr10_vgpr11
                                        ; implicit-def: $vgpr8_vgpr9
                                        ; implicit-def: $sgpr27
	s_cbranch_execnz .LBB56_25
	s_branch .LBB56_27
.LBB56_22:                              ;   in Loop: Header=BB56_8 Depth=1
	s_mov_b32 s25, -1
                                        ; implicit-def: $vgpr10_vgpr11
                                        ; implicit-def: $vgpr8_vgpr9
                                        ; implicit-def: $sgpr27
	s_branch .LBB56_27
.LBB56_23:                              ;   in Loop: Header=BB56_8 Depth=1
	s_mov_b32 s25, -1
                                        ; implicit-def: $vgpr8_vgpr9
.LBB56_24:                              ;   in Loop: Header=BB56_8 Depth=1
	v_dual_mov_b32 v11, v3 :: v_dual_mov_b32 v10, v2
	s_mov_b32 s27, 4
	s_branch .LBB56_27
.LBB56_25:                              ;   in Loop: Header=BB56_8 Depth=1
	s_cmp_eq_u32 s5, 0
	s_cbranch_scc1 .LBB56_31
; %bb.26:                               ;   in Loop: Header=BB56_8 Depth=1
	s_mov_b32 s25, -1
                                        ; implicit-def: $vgpr10_vgpr11
                                        ; implicit-def: $vgpr8_vgpr9
                                        ; implicit-def: $sgpr27
.LBB56_27:                              ;   in Loop: Header=BB56_8 Depth=1
	s_delay_alu instid0(SALU_CYCLE_1)
	s_and_b32 vcc_lo, exec_lo, s25
	s_cbranch_vccnz .LBB56_34
.LBB56_28:                              ;   in Loop: Header=BB56_8 Depth=1
	s_and_b32 vcc_lo, exec_lo, s24
	s_cbranch_vccnz .LBB56_39
.LBB56_29:                              ;   in Loop: Header=BB56_8 Depth=1
	s_cmp_gt_i32 s27, 3
	s_mov_b32 s13, -1
	s_cbranch_scc1 .LBB56_40
.LBB56_30:                              ;   in Loop: Header=BB56_8 Depth=1
	s_cmp_eq_u32 s27, 0
	s_cselect_b32 s24, -1, 0
	s_delay_alu instid0(SALU_CYCLE_1)
	s_and_not1_b32 vcc_lo, exec_lo, s24
	s_cbranch_vccz .LBB56_6
	s_branch .LBB56_41
.LBB56_31:                              ;   in Loop: Header=BB56_8 Depth=1
	s_cmp_le_i32 s13, s16
	s_mov_b32 s25, 0
	s_cbranch_scc0 .LBB56_33
; %bb.32:                               ;   in Loop: Header=BB56_8 Depth=1
	s_cmp_lg_u32 s13, s16
	s_mov_b32 s24, -1
	s_cselect_b32 s25, -1, 0
.LBB56_33:                              ;   in Loop: Header=BB56_8 Depth=1
	v_dual_mov_b32 v11, v3 :: v_dual_mov_b32 v10, v2
	v_dual_mov_b32 v9, v5 :: v_dual_mov_b32 v8, v4
	s_mov_b32 s27, 2
	s_and_b32 vcc_lo, exec_lo, s25
	s_cbranch_vccz .LBB56_28
.LBB56_34:                              ;   in Loop: Header=BB56_8 Depth=1
	s_and_saveexec_b32 s27, s3
	s_cbranch_execz .LBB56_36
; %bb.35:                               ;   in Loop: Header=BB56_8 Depth=1
	s_add_i32 s24, s13, s7
	s_delay_alu instid0(SALU_CYCLE_1) | instskip(NEXT) | instid1(SALU_CYCLE_1)
	s_ashr_i32 s25, s24, 31
	s_lshl_b64 s[24:25], s[24:25], 2
	s_delay_alu instid0(SALU_CYCLE_1)
	s_add_u32 s24, s10, s24
	s_addc_u32 s25, s11, s25
	global_load_b32 v8, v1, s[24:25] glc
	s_waitcnt vmcnt(0)
	v_cmp_ne_u32_e32 vcc_lo, 0, v8
	s_cbranch_vccz .LBB56_42
.LBB56_36:                              ;   in Loop: Header=BB56_8 Depth=1
	s_or_b32 exec_lo, exec_lo, s27
	v_mov_b32_e32 v10, 0
	v_mov_b32_e32 v11, 0
	s_waitcnt_vscnt null, 0x0
	s_barrier
	buffer_gl0_inv
	buffer_gl1_inv
	buffer_gl0_inv
	s_and_saveexec_b32 s24, s2
	s_cbranch_execz .LBB56_38
; %bb.37:                               ;   in Loop: Header=BB56_8 Depth=1
	s_mul_i32 s25, s13, s9
	s_mul_hi_u32 s27, s13, s8
	s_ashr_i32 s28, s13, 31
	s_add_i32 s25, s27, s25
	s_mul_i32 s28, s28, s8
	s_delay_alu instid0(SALU_CYCLE_1) | instskip(SKIP_1) | instid1(SALU_CYCLE_1)
	s_add_i32 s29, s25, s28
	s_mul_i32 s28, s13, s8
	s_lshl_b64 s[28:29], s[28:29], 3
	s_delay_alu instid0(SALU_CYCLE_1)
	v_add_co_u32 v8, vcc_lo, v12, s28
	v_add_co_ci_u32_e32 v9, vcc_lo, s29, v13, vcc_lo
	global_load_b64 v[8:9], v[8:9], off
	s_waitcnt vmcnt(0)
	v_fma_f64 v[10:11], -v[6:7], v[8:9], v[2:3]
.LBB56_38:                              ;   in Loop: Header=BB56_8 Depth=1
	s_or_b32 exec_lo, exec_lo, s24
	v_dual_mov_b32 v9, v5 :: v_dual_mov_b32 v8, v4
	s_mov_b32 s27, 0
	s_branch .LBB56_29
.LBB56_39:                              ;   in Loop: Header=BB56_8 Depth=1
	v_div_scale_f64 v[8:9], null, v[6:7], v[6:7], 1.0
	v_div_scale_f64 v[22:23], vcc_lo, 1.0, v[6:7], 1.0
	s_mov_b32 s27, 2
	s_delay_alu instid0(VALU_DEP_2) | instskip(SKIP_2) | instid1(VALU_DEP_1)
	v_rcp_f64_e32 v[10:11], v[8:9]
	s_waitcnt_depctr 0xfff
	v_fma_f64 v[20:21], -v[8:9], v[10:11], 1.0
	v_fma_f64 v[10:11], v[10:11], v[20:21], v[10:11]
	s_delay_alu instid0(VALU_DEP_1) | instskip(NEXT) | instid1(VALU_DEP_1)
	v_fma_f64 v[20:21], -v[8:9], v[10:11], 1.0
	v_fma_f64 v[10:11], v[10:11], v[20:21], v[10:11]
	s_delay_alu instid0(VALU_DEP_1) | instskip(NEXT) | instid1(VALU_DEP_1)
	v_mul_f64 v[20:21], v[22:23], v[10:11]
	v_fma_f64 v[8:9], -v[8:9], v[20:21], v[22:23]
	s_delay_alu instid0(VALU_DEP_1) | instskip(SKIP_1) | instid1(VALU_DEP_2)
	v_div_fmas_f64 v[8:9], v[8:9], v[10:11], v[20:21]
	v_dual_mov_b32 v11, v3 :: v_dual_mov_b32 v10, v2
	v_div_fixup_f64 v[6:7], v[8:9], v[6:7], 1.0
	s_delay_alu instid0(VALU_DEP_1) | instskip(NEXT) | instid1(VALU_DEP_2)
	v_cndmask_b32_e64 v9, v5, v7, s1
	v_cndmask_b32_e64 v8, v4, v6, s1
	s_cmp_gt_i32 s27, 3
	s_mov_b32 s13, -1
	s_cbranch_scc0 .LBB56_30
.LBB56_40:                              ;   in Loop: Header=BB56_8 Depth=1
	s_branch .LBB56_6
.LBB56_41:                              ;   in Loop: Header=BB56_8 Depth=1
                                        ; implicit-def: $sgpr22_sgpr23
	s_branch .LBB56_7
.LBB56_42:                              ;   in Loop: Header=BB56_8 Depth=1
	s_mov_b32 s28, 0
	s_branch .LBB56_44
	.p2align	6
.LBB56_43:                              ;   in Loop: Header=BB56_44 Depth=2
	global_load_b32 v8, v1, s[24:25] glc
	s_cmpk_lt_u32 s28, 0xf43
	s_cselect_b32 s29, -1, 0
	s_delay_alu instid0(SALU_CYCLE_1)
	s_cmp_lg_u32 s29, 0
	s_addc_u32 s28, s28, 0
	s_waitcnt vmcnt(0)
	v_cmp_ne_u32_e32 vcc_lo, 0, v8
	s_cbranch_vccnz .LBB56_36
.LBB56_44:                              ;   Parent Loop BB56_8 Depth=1
                                        ; =>  This Loop Header: Depth=2
                                        ;       Child Loop BB56_45 Depth 3
	s_cmp_eq_u32 s28, 0
	s_mov_b32 s29, s28
	s_cbranch_scc1 .LBB56_43
.LBB56_45:                              ;   Parent Loop BB56_8 Depth=1
                                        ;     Parent Loop BB56_44 Depth=2
                                        ; =>    This Inner Loop Header: Depth=3
	s_add_i32 s29, s29, -1
	s_sleep 1
	s_cmp_eq_u32 s29, 0
	s_cbranch_scc0 .LBB56_45
	s_branch .LBB56_43
.LBB56_46:
	v_dual_mov_b32 v11, v3 :: v_dual_mov_b32 v10, v2
.LBB56_47:
	s_and_saveexec_b32 s0, s2
	s_cbranch_execz .LBB56_49
; %bb.48:
	s_delay_alu instid0(VALU_DEP_1) | instskip(SKIP_3) | instid1(VALU_DEP_1)
	v_mul_f64 v[1:2], v[8:9], v[10:11]
	s_cmp_eq_u32 s6, 0
	s_cselect_b32 vcc_lo, -1, 0
	s_lshl_b64 s[2:3], s[18:19], 3
	v_dual_cndmask_b32 v2, v11, v2 :: v_dual_cndmask_b32 v1, v10, v1
	v_add_co_u32 v3, vcc_lo, v12, s2
	v_add_co_ci_u32_e32 v4, vcc_lo, s3, v13, vcc_lo
	global_store_b64 v[3:4], v[1:2], off
.LBB56_49:
	s_or_b32 exec_lo, exec_lo, s0
	s_waitcnt_vscnt null, 0x0
	buffer_gl1_inv
	buffer_gl0_inv
	s_barrier
	buffer_gl0_inv
	s_mov_b32 s0, exec_lo
	v_cmpx_eq_u32_e32 0, v0
	s_cbranch_execz .LBB56_51
; %bb.50:
	s_add_i32 s0, s16, s7
	v_dual_mov_b32 v0, 0 :: v_dual_mov_b32 v1, 1
	s_ashr_i32 s1, s0, 31
	s_delay_alu instid0(SALU_CYCLE_1) | instskip(NEXT) | instid1(SALU_CYCLE_1)
	s_lshl_b64 s[0:1], s[0:1], 2
	s_add_u32 s0, s10, s0
	s_addc_u32 s1, s11, s1
	global_store_b32 v0, v1, s[0:1]
.LBB56_51:
	s_nop 0
	s_sendmsg sendmsg(MSG_DEALLOC_VGPRS)
	s_endpgm
	.section	.rodata,"a",@progbits
	.p2align	6, 0x0
	.amdhsa_kernel _ZN9rocsparseL5csrsmILj128ELj64ELb1ElidEEv20rocsparse_operation_T3_S2_NS_24const_host_device_scalarIT4_EEPKT2_PKS2_PKS4_PS4_lPiSA_PS2_21rocsparse_index_base_20rocsparse_fill_mode_20rocsparse_diag_type_b
		.amdhsa_group_segment_fixed_size 1536
		.amdhsa_private_segment_fixed_size 0
		.amdhsa_kernarg_size 104
		.amdhsa_user_sgpr_count 15
		.amdhsa_user_sgpr_dispatch_ptr 0
		.amdhsa_user_sgpr_queue_ptr 0
		.amdhsa_user_sgpr_kernarg_segment_ptr 1
		.amdhsa_user_sgpr_dispatch_id 0
		.amdhsa_user_sgpr_private_segment_size 0
		.amdhsa_wavefront_size32 1
		.amdhsa_uses_dynamic_stack 0
		.amdhsa_enable_private_segment 0
		.amdhsa_system_sgpr_workgroup_id_x 1
		.amdhsa_system_sgpr_workgroup_id_y 0
		.amdhsa_system_sgpr_workgroup_id_z 0
		.amdhsa_system_sgpr_workgroup_info 0
		.amdhsa_system_vgpr_workitem_id 0
		.amdhsa_next_free_vgpr 24
		.amdhsa_next_free_sgpr 30
		.amdhsa_reserve_vcc 1
		.amdhsa_float_round_mode_32 0
		.amdhsa_float_round_mode_16_64 0
		.amdhsa_float_denorm_mode_32 3
		.amdhsa_float_denorm_mode_16_64 3
		.amdhsa_dx10_clamp 1
		.amdhsa_ieee_mode 1
		.amdhsa_fp16_overflow 0
		.amdhsa_workgroup_processor_mode 1
		.amdhsa_memory_ordered 1
		.amdhsa_forward_progress 0
		.amdhsa_shared_vgpr_count 0
		.amdhsa_exception_fp_ieee_invalid_op 0
		.amdhsa_exception_fp_denorm_src 0
		.amdhsa_exception_fp_ieee_div_zero 0
		.amdhsa_exception_fp_ieee_overflow 0
		.amdhsa_exception_fp_ieee_underflow 0
		.amdhsa_exception_fp_ieee_inexact 0
		.amdhsa_exception_int_div_zero 0
	.end_amdhsa_kernel
	.section	.text._ZN9rocsparseL5csrsmILj128ELj64ELb1ElidEEv20rocsparse_operation_T3_S2_NS_24const_host_device_scalarIT4_EEPKT2_PKS2_PKS4_PS4_lPiSA_PS2_21rocsparse_index_base_20rocsparse_fill_mode_20rocsparse_diag_type_b,"axG",@progbits,_ZN9rocsparseL5csrsmILj128ELj64ELb1ElidEEv20rocsparse_operation_T3_S2_NS_24const_host_device_scalarIT4_EEPKT2_PKS2_PKS4_PS4_lPiSA_PS2_21rocsparse_index_base_20rocsparse_fill_mode_20rocsparse_diag_type_b,comdat
.Lfunc_end56:
	.size	_ZN9rocsparseL5csrsmILj128ELj64ELb1ElidEEv20rocsparse_operation_T3_S2_NS_24const_host_device_scalarIT4_EEPKT2_PKS2_PKS4_PS4_lPiSA_PS2_21rocsparse_index_base_20rocsparse_fill_mode_20rocsparse_diag_type_b, .Lfunc_end56-_ZN9rocsparseL5csrsmILj128ELj64ELb1ElidEEv20rocsparse_operation_T3_S2_NS_24const_host_device_scalarIT4_EEPKT2_PKS2_PKS4_PS4_lPiSA_PS2_21rocsparse_index_base_20rocsparse_fill_mode_20rocsparse_diag_type_b
                                        ; -- End function
	.section	.AMDGPU.csdata,"",@progbits
; Kernel info:
; codeLenInByte = 1940
; NumSgprs: 32
; NumVgprs: 24
; ScratchSize: 0
; MemoryBound: 0
; FloatMode: 240
; IeeeMode: 1
; LDSByteSize: 1536 bytes/workgroup (compile time only)
; SGPRBlocks: 3
; VGPRBlocks: 2
; NumSGPRsForWavesPerEU: 32
; NumVGPRsForWavesPerEU: 24
; Occupancy: 16
; WaveLimiterHint : 1
; COMPUTE_PGM_RSRC2:SCRATCH_EN: 0
; COMPUTE_PGM_RSRC2:USER_SGPR: 15
; COMPUTE_PGM_RSRC2:TRAP_HANDLER: 0
; COMPUTE_PGM_RSRC2:TGID_X_EN: 1
; COMPUTE_PGM_RSRC2:TGID_Y_EN: 0
; COMPUTE_PGM_RSRC2:TGID_Z_EN: 0
; COMPUTE_PGM_RSRC2:TIDIG_COMP_CNT: 0
	.section	.text._ZN9rocsparseL5csrsmILj128ELj64ELb0ElidEEv20rocsparse_operation_T3_S2_NS_24const_host_device_scalarIT4_EEPKT2_PKS2_PKS4_PS4_lPiSA_PS2_21rocsparse_index_base_20rocsparse_fill_mode_20rocsparse_diag_type_b,"axG",@progbits,_ZN9rocsparseL5csrsmILj128ELj64ELb0ElidEEv20rocsparse_operation_T3_S2_NS_24const_host_device_scalarIT4_EEPKT2_PKS2_PKS4_PS4_lPiSA_PS2_21rocsparse_index_base_20rocsparse_fill_mode_20rocsparse_diag_type_b,comdat
	.globl	_ZN9rocsparseL5csrsmILj128ELj64ELb0ElidEEv20rocsparse_operation_T3_S2_NS_24const_host_device_scalarIT4_EEPKT2_PKS2_PKS4_PS4_lPiSA_PS2_21rocsparse_index_base_20rocsparse_fill_mode_20rocsparse_diag_type_b ; -- Begin function _ZN9rocsparseL5csrsmILj128ELj64ELb0ElidEEv20rocsparse_operation_T3_S2_NS_24const_host_device_scalarIT4_EEPKT2_PKS2_PKS4_PS4_lPiSA_PS2_21rocsparse_index_base_20rocsparse_fill_mode_20rocsparse_diag_type_b
	.p2align	8
	.type	_ZN9rocsparseL5csrsmILj128ELj64ELb0ElidEEv20rocsparse_operation_T3_S2_NS_24const_host_device_scalarIT4_EEPKT2_PKS2_PKS4_PS4_lPiSA_PS2_21rocsparse_index_base_20rocsparse_fill_mode_20rocsparse_diag_type_b,@function
_ZN9rocsparseL5csrsmILj128ELj64ELb0ElidEEv20rocsparse_operation_T3_S2_NS_24const_host_device_scalarIT4_EEPKT2_PKS2_PKS4_PS4_lPiSA_PS2_21rocsparse_index_base_20rocsparse_fill_mode_20rocsparse_diag_type_b: ; @_ZN9rocsparseL5csrsmILj128ELj64ELb0ElidEEv20rocsparse_operation_T3_S2_NS_24const_host_device_scalarIT4_EEPKT2_PKS2_PKS4_PS4_lPiSA_PS2_21rocsparse_index_base_20rocsparse_fill_mode_20rocsparse_diag_type_b
; %bb.0:
	s_clause 0x3
	s_load_b128 s[4:7], s[0:1], 0x58
	s_load_b128 s[16:19], s[0:1], 0x10
	s_load_b64 s[2:3], s[0:1], 0x48
	s_load_b64 s[20:21], s[0:1], 0x30
	s_waitcnt lgkmcnt(0)
	s_bitcmp1_b32 s7, 0
	v_dual_mov_b32 v4, s16 :: v_dual_mov_b32 v5, s17
	s_cselect_b32 s7, -1, 0
	s_delay_alu instid0(SALU_CYCLE_1)
	s_and_b32 vcc_lo, exec_lo, s7
	s_cbranch_vccnz .LBB57_2
; %bb.1:
	v_dual_mov_b32 v1, s16 :: v_dual_mov_b32 v2, s17
	flat_load_b64 v[4:5], v[1:2]
.LBB57_2:
	s_load_b64 s[22:23], s[0:1], 0x4
	v_mov_b32_e32 v2, 0
	v_mov_b32_e32 v3, 0
	s_waitcnt lgkmcnt(0)
	v_cvt_f32_u32_e32 v1, s22
	s_sub_i32 s8, 0, s22
	s_delay_alu instid0(VALU_DEP_1) | instskip(SKIP_2) | instid1(VALU_DEP_1)
	v_rcp_iflag_f32_e32 v1, v1
	s_waitcnt_depctr 0xfff
	v_mul_f32_e32 v1, 0x4f7ffffe, v1
	v_cvt_u32_f32_e32 v1, v1
	s_delay_alu instid0(VALU_DEP_1) | instskip(NEXT) | instid1(VALU_DEP_1)
	v_readfirstlane_b32 s7, v1
	s_mul_i32 s8, s8, s7
	s_delay_alu instid0(SALU_CYCLE_1) | instskip(NEXT) | instid1(SALU_CYCLE_1)
	s_mul_hi_u32 s8, s7, s8
	s_add_i32 s7, s7, s8
	s_delay_alu instid0(SALU_CYCLE_1) | instskip(NEXT) | instid1(SALU_CYCLE_1)
	s_mul_hi_u32 s7, s15, s7
	s_mul_i32 s8, s7, s22
	s_add_i32 s9, s7, 1
	s_sub_i32 s8, s15, s8
	s_delay_alu instid0(SALU_CYCLE_1)
	s_sub_i32 s10, s8, s22
	s_cmp_ge_u32 s8, s22
	s_cselect_b32 s7, s9, s7
	s_cselect_b32 s8, s10, s8
	s_add_i32 s9, s7, 1
	s_cmp_ge_u32 s8, s22
	s_cselect_b32 s24, s9, s7
	s_delay_alu instid0(SALU_CYCLE_1) | instskip(SKIP_2) | instid1(SALU_CYCLE_1)
	s_mul_i32 s7, s24, s22
	v_lshl_or_b32 v6, s24, 7, v0
	s_sub_i32 s8, s15, s7
	s_ashr_i32 s9, s8, 31
	s_delay_alu instid0(VALU_DEP_1) | instskip(SKIP_1) | instid1(SALU_CYCLE_1)
	v_ashrrev_i32_e32 v7, 31, v6
	s_lshl_b64 s[8:9], s[8:9], 2
	s_add_u32 s2, s2, s8
	s_addc_u32 s3, s3, s9
	s_load_b32 s16, s[2:3], 0x0
	s_load_b128 s[8:11], s[0:1], 0x38
	s_waitcnt lgkmcnt(0)
	s_ashr_i32 s17, s16, 31
	s_delay_alu instid0(SALU_CYCLE_1)
	s_lshl_b64 s[2:3], s[16:17], 3
	s_mul_i32 s17, s17, s8
	s_add_u32 s2, s18, s2
	s_addc_u32 s3, s19, s3
	s_mul_i32 s18, s16, s8
	s_load_b128 s[12:15], s[2:3], 0x0
	s_mul_i32 s2, s16, s9
	s_mul_hi_u32 s3, s16, s8
	s_delay_alu instid0(SALU_CYCLE_1) | instskip(SKIP_2) | instid1(VALU_DEP_1)
	s_add_i32 s3, s3, s2
	v_cmp_gt_i32_e64 s2, s23, v6
	s_add_i32 s19, s3, s17
	s_and_saveexec_b32 s3, s2
	s_cbranch_execz .LBB57_4
; %bb.3:
	v_add_co_u32 v1, vcc_lo, s18, v6
	v_add_co_ci_u32_e32 v2, vcc_lo, s19, v7, vcc_lo
	s_delay_alu instid0(VALU_DEP_1) | instskip(NEXT) | instid1(VALU_DEP_1)
	v_lshlrev_b64 v[1:2], 3, v[1:2]
	v_add_co_u32 v1, vcc_lo, s20, v1
	s_delay_alu instid0(VALU_DEP_2)
	v_add_co_ci_u32_e32 v2, vcc_lo, s21, v2, vcc_lo
	global_load_b64 v[1:2], v[1:2], off
	s_waitcnt vmcnt(0)
	v_mul_f64 v[2:3], v[4:5], v[1:2]
.LBB57_4:
	s_or_b32 exec_lo, exec_lo, s3
	s_waitcnt vmcnt(0)
	v_lshlrev_b64 v[4:5], 3, v[6:7]
	s_waitcnt lgkmcnt(0)
	v_cmp_ge_i64_e64 s3, s[12:13], s[14:15]
	v_mov_b32_e32 v8, 0
	v_mov_b32_e32 v9, 0x3ff00000
	s_delay_alu instid0(VALU_DEP_4)
	v_add_co_u32 v12, vcc_lo, s20, v4
	v_add_co_ci_u32_e32 v13, vcc_lo, s21, v5, vcc_lo
	s_and_b32 vcc_lo, exec_lo, s3
	v_cmp_eq_u32_e64 s3, 0, v0
	s_cbranch_vccnz .LBB57_43
; %bb.5:
	s_clause 0x1
	s_load_b128 s[24:27], s[0:1], 0x20
	s_load_b64 s[20:21], s[0:1], 0x50
	v_dual_mov_b32 v1, 0 :: v_dual_lshlrev_b32 v4, 2, v0
	v_lshlrev_b32_e32 v14, 3, v0
	s_sub_u32 s12, s12, s4
	s_subb_u32 s13, s13, 0
	s_sub_u32 s14, s14, s4
	s_subb_u32 s15, s15, 0
	v_or_b32_e32 v15, 0x400, v4
	s_cmp_lg_u32 s6, 0
	v_cmp_ne_u32_e64 s0, 0, v0
	s_cselect_b32 s17, -1, 0
	s_mov_b64 s[22:23], s[12:13]
	s_waitcnt lgkmcnt(0)
	v_add_co_u32 v16, s1, s24, v4
	v_mov_b32_e32 v4, 0
	v_mov_b32_e32 v5, 0x3ff00000
	v_add_co_ci_u32_e64 v17, null, s25, 0, s1
	v_add_co_u32 v18, s1, s26, v14
	s_delay_alu instid0(VALU_DEP_1)
	v_add_co_ci_u32_e64 v19, null, s27, 0, s1
	s_add_i32 s26, s16, s4
	s_cmp_eq_u32 s6, 0
	s_cselect_b32 s1, -1, 0
	s_branch .LBB57_8
.LBB57_6:                               ;   in Loop: Header=BB57_8 Depth=1
	s_add_u32 s22, s22, 1
	s_addc_u32 s23, s23, 0
	s_delay_alu instid0(SALU_CYCLE_1)
	v_cmp_ge_i64_e64 s13, s[22:23], s[14:15]
.LBB57_7:                               ;   in Loop: Header=BB57_8 Depth=1
	s_delay_alu instid0(VALU_DEP_2) | instskip(SKIP_1) | instid1(VALU_DEP_3)
	v_dual_mov_b32 v2, v10 :: v_dual_mov_b32 v3, v11
	v_dual_mov_b32 v4, v8 :: v_dual_mov_b32 v5, v9
	s_and_not1_b32 vcc_lo, exec_lo, s13
	s_cbranch_vccz .LBB57_44
.LBB57_8:                               ; =>This Loop Header: Depth=1
                                        ;     Child Loop BB57_36 Depth 2
	s_sub_i32 s13, s22, s12
	s_delay_alu instid0(SALU_CYCLE_1) | instskip(NEXT) | instid1(SALU_CYCLE_1)
	s_and_b32 s13, s13, 0x7f
	s_cmp_lg_u32 s13, 0
	s_cbranch_scc1 .LBB57_12
; %bb.9:                                ;   in Loop: Header=BB57_8 Depth=1
	s_sub_u32 s24, s14, s22
	s_subb_u32 s25, s15, s23
	v_mov_b32_e32 v6, 0
	v_cmp_gt_i64_e32 vcc_lo, s[24:25], v[0:1]
	v_dual_mov_b32 v7, 0xbff00000 :: v_dual_mov_b32 v8, -1
	s_and_saveexec_b32 s24, vcc_lo
	s_cbranch_execz .LBB57_11
; %bb.10:                               ;   in Loop: Header=BB57_8 Depth=1
	s_lshl_b64 s[28:29], s[22:23], 2
	s_delay_alu instid0(SALU_CYCLE_1)
	v_add_co_u32 v6, vcc_lo, v16, s28
	v_add_co_ci_u32_e32 v7, vcc_lo, s29, v17, vcc_lo
	s_lshl_b64 s[28:29], s[22:23], 3
	global_load_b32 v8, v[6:7], off
	v_add_co_u32 v6, vcc_lo, v18, s28
	v_add_co_ci_u32_e32 v7, vcc_lo, s29, v19, vcc_lo
	global_load_b64 v[6:7], v[6:7], off
	s_waitcnt vmcnt(1)
	v_subrev_nc_u32_e32 v8, s4, v8
.LBB57_11:                              ;   in Loop: Header=BB57_8 Depth=1
	s_or_b32 exec_lo, exec_lo, s24
	ds_store_b32 v15, v8
	s_waitcnt vmcnt(0)
	ds_store_b64 v14, v[6:7]
.LBB57_12:                              ;   in Loop: Header=BB57_8 Depth=1
	s_lshl_b32 s24, s13, 3
	s_waitcnt lgkmcnt(0)
	v_mov_b32_e32 v6, s24
	s_waitcnt_vscnt null, 0x0
	s_barrier
	buffer_gl0_inv
	s_lshl_b32 s13, s13, 2
	s_delay_alu instid0(SALU_CYCLE_1)
	v_mov_b32_e32 v8, s13
	ds_load_b64 v[6:7], v6
	ds_load_b32 v8, v8 offset:1024
	s_waitcnt lgkmcnt(1)
	v_cmp_neq_f64_e32 vcc_lo, 0, v[6:7]
	s_waitcnt lgkmcnt(0)
	v_readfirstlane_b32 s13, v8
	s_delay_alu instid0(VALU_DEP_1) | instskip(SKIP_1) | instid1(SALU_CYCLE_1)
	s_cmp_lg_u32 s13, s16
	s_cselect_b32 s24, -1, 0
	s_or_b32 s24, s17, s24
	s_delay_alu instid0(SALU_CYCLE_1) | instskip(SKIP_3) | instid1(SALU_CYCLE_1)
	s_or_b32 vcc_lo, vcc_lo, s24
	v_cndmask_b32_e32 v7, 0x3ff00000, v7, vcc_lo
	v_cndmask_b32_e32 v6, 0, v6, vcc_lo
	s_or_b32 s24, s0, vcc_lo
	s_xor_b32 s25, s24, -1
	s_delay_alu instid0(SALU_CYCLE_1)
	s_and_saveexec_b32 s24, s25
	s_cbranch_execz .LBB57_16
; %bb.13:                               ;   in Loop: Header=BB57_8 Depth=1
	v_mbcnt_lo_u32_b32 v6, exec_lo, 0
	s_mov_b32 s25, exec_lo
	s_delay_alu instid0(VALU_DEP_1)
	v_cmpx_eq_u32_e32 0, v6
	s_cbranch_execz .LBB57_15
; %bb.14:                               ;   in Loop: Header=BB57_8 Depth=1
	v_mov_b32_e32 v6, s26
	global_atomic_min_i32 v1, v6, s[20:21]
.LBB57_15:                              ;   in Loop: Header=BB57_8 Depth=1
	s_or_b32 exec_lo, exec_lo, s25
	v_mov_b32_e32 v6, 0
	v_mov_b32_e32 v7, 0x3ff00000
.LBB57_16:                              ;   in Loop: Header=BB57_8 Depth=1
	s_or_b32 exec_lo, exec_lo, s24
	s_cmp_lt_i32 s5, 1
	s_mov_b32 s24, 0
	s_cbranch_scc1 .LBB57_21
; %bb.17:                               ;   in Loop: Header=BB57_8 Depth=1
	s_cmp_eq_u32 s5, 1
	s_cbranch_scc0 .LBB57_22
; %bb.18:                               ;   in Loop: Header=BB57_8 Depth=1
	v_dual_mov_b32 v9, v5 :: v_dual_mov_b32 v8, v4
	s_cmp_ge_i32 s13, s16
	s_mov_b32 s25, 0
	s_cbranch_scc0 .LBB57_24
; %bb.19:                               ;   in Loop: Header=BB57_8 Depth=1
	s_cmp_eq_u32 s13, s16
	s_cbranch_scc0 .LBB57_23
; %bb.20:                               ;   in Loop: Header=BB57_8 Depth=1
	v_div_scale_f64 v[8:9], null, v[6:7], v[6:7], 1.0
	v_div_scale_f64 v[22:23], vcc_lo, 1.0, v[6:7], 1.0
	s_delay_alu instid0(VALU_DEP_2) | instskip(SKIP_2) | instid1(VALU_DEP_1)
	v_rcp_f64_e32 v[10:11], v[8:9]
	s_waitcnt_depctr 0xfff
	v_fma_f64 v[20:21], -v[8:9], v[10:11], 1.0
	v_fma_f64 v[10:11], v[10:11], v[20:21], v[10:11]
	s_delay_alu instid0(VALU_DEP_1) | instskip(NEXT) | instid1(VALU_DEP_1)
	v_fma_f64 v[20:21], -v[8:9], v[10:11], 1.0
	v_fma_f64 v[10:11], v[10:11], v[20:21], v[10:11]
	s_delay_alu instid0(VALU_DEP_1) | instskip(NEXT) | instid1(VALU_DEP_1)
	v_mul_f64 v[20:21], v[22:23], v[10:11]
	v_fma_f64 v[8:9], -v[8:9], v[20:21], v[22:23]
	s_delay_alu instid0(VALU_DEP_1) | instskip(NEXT) | instid1(VALU_DEP_1)
	v_div_fmas_f64 v[8:9], v[8:9], v[10:11], v[20:21]
	v_div_fixup_f64 v[8:9], v[8:9], v[6:7], 1.0
	s_delay_alu instid0(VALU_DEP_1) | instskip(NEXT) | instid1(VALU_DEP_2)
	v_cndmask_b32_e64 v9, v5, v9, s1
	v_cndmask_b32_e64 v8, v4, v8, s1
	s_branch .LBB57_24
.LBB57_21:                              ;   in Loop: Header=BB57_8 Depth=1
	s_mov_b32 s25, 0
                                        ; implicit-def: $vgpr10_vgpr11
                                        ; implicit-def: $vgpr8_vgpr9
                                        ; implicit-def: $sgpr27
	s_cbranch_execnz .LBB57_25
	s_branch .LBB57_27
.LBB57_22:                              ;   in Loop: Header=BB57_8 Depth=1
	s_mov_b32 s25, -1
                                        ; implicit-def: $vgpr10_vgpr11
                                        ; implicit-def: $vgpr8_vgpr9
                                        ; implicit-def: $sgpr27
	s_branch .LBB57_27
.LBB57_23:                              ;   in Loop: Header=BB57_8 Depth=1
	s_mov_b32 s25, -1
                                        ; implicit-def: $vgpr8_vgpr9
.LBB57_24:                              ;   in Loop: Header=BB57_8 Depth=1
	v_dual_mov_b32 v11, v3 :: v_dual_mov_b32 v10, v2
	s_mov_b32 s27, 4
	s_branch .LBB57_27
.LBB57_25:                              ;   in Loop: Header=BB57_8 Depth=1
	s_cmp_eq_u32 s5, 0
	s_cbranch_scc1 .LBB57_31
; %bb.26:                               ;   in Loop: Header=BB57_8 Depth=1
	s_mov_b32 s25, -1
                                        ; implicit-def: $vgpr10_vgpr11
                                        ; implicit-def: $vgpr8_vgpr9
                                        ; implicit-def: $sgpr27
.LBB57_27:                              ;   in Loop: Header=BB57_8 Depth=1
	s_delay_alu instid0(SALU_CYCLE_1)
	s_and_b32 vcc_lo, exec_lo, s25
	s_cbranch_vccnz .LBB57_34
.LBB57_28:                              ;   in Loop: Header=BB57_8 Depth=1
	s_and_b32 vcc_lo, exec_lo, s24
	s_cbranch_vccnz .LBB57_40
.LBB57_29:                              ;   in Loop: Header=BB57_8 Depth=1
	s_cmp_gt_i32 s27, 3
	s_mov_b32 s13, -1
	s_cbranch_scc1 .LBB57_41
.LBB57_30:                              ;   in Loop: Header=BB57_8 Depth=1
	s_cmp_eq_u32 s27, 0
	s_cselect_b32 s24, -1, 0
	s_delay_alu instid0(SALU_CYCLE_1)
	s_and_not1_b32 vcc_lo, exec_lo, s24
	s_cbranch_vccz .LBB57_6
	s_branch .LBB57_42
.LBB57_31:                              ;   in Loop: Header=BB57_8 Depth=1
	s_cmp_le_i32 s13, s16
	s_mov_b32 s25, 0
	s_cbranch_scc0 .LBB57_33
; %bb.32:                               ;   in Loop: Header=BB57_8 Depth=1
	s_cmp_lg_u32 s13, s16
	s_mov_b32 s24, -1
	s_cselect_b32 s25, -1, 0
.LBB57_33:                              ;   in Loop: Header=BB57_8 Depth=1
	v_dual_mov_b32 v11, v3 :: v_dual_mov_b32 v10, v2
	v_dual_mov_b32 v9, v5 :: v_dual_mov_b32 v8, v4
	s_mov_b32 s27, 2
	s_and_b32 vcc_lo, exec_lo, s25
	s_cbranch_vccz .LBB57_28
.LBB57_34:                              ;   in Loop: Header=BB57_8 Depth=1
	s_and_saveexec_b32 s27, s3
	s_cbranch_execz .LBB57_37
; %bb.35:                               ;   in Loop: Header=BB57_8 Depth=1
	s_add_i32 s24, s13, s7
	s_delay_alu instid0(SALU_CYCLE_1) | instskip(NEXT) | instid1(SALU_CYCLE_1)
	s_ashr_i32 s25, s24, 31
	s_lshl_b64 s[24:25], s[24:25], 2
	s_delay_alu instid0(SALU_CYCLE_1)
	s_add_u32 s24, s10, s24
	s_addc_u32 s25, s11, s25
	global_load_b32 v8, v1, s[24:25] glc
	s_waitcnt vmcnt(0)
	v_cmp_ne_u32_e32 vcc_lo, 0, v8
	s_cbranch_vccnz .LBB57_37
.LBB57_36:                              ;   Parent Loop BB57_8 Depth=1
                                        ; =>  This Inner Loop Header: Depth=2
	global_load_b32 v8, v1, s[24:25] glc
	s_waitcnt vmcnt(0)
	v_cmp_eq_u32_e32 vcc_lo, 0, v8
	s_cbranch_vccnz .LBB57_36
.LBB57_37:                              ;   in Loop: Header=BB57_8 Depth=1
	s_or_b32 exec_lo, exec_lo, s27
	v_mov_b32_e32 v10, 0
	v_mov_b32_e32 v11, 0
	s_waitcnt_vscnt null, 0x0
	s_barrier
	buffer_gl0_inv
	buffer_gl1_inv
	buffer_gl0_inv
	s_and_saveexec_b32 s24, s2
	s_cbranch_execz .LBB57_39
; %bb.38:                               ;   in Loop: Header=BB57_8 Depth=1
	s_mul_i32 s25, s13, s9
	s_mul_hi_u32 s27, s13, s8
	s_ashr_i32 s28, s13, 31
	s_add_i32 s25, s27, s25
	s_mul_i32 s28, s28, s8
	s_delay_alu instid0(SALU_CYCLE_1) | instskip(SKIP_1) | instid1(SALU_CYCLE_1)
	s_add_i32 s29, s25, s28
	s_mul_i32 s28, s13, s8
	s_lshl_b64 s[28:29], s[28:29], 3
	s_delay_alu instid0(SALU_CYCLE_1)
	v_add_co_u32 v8, vcc_lo, v12, s28
	v_add_co_ci_u32_e32 v9, vcc_lo, s29, v13, vcc_lo
	global_load_b64 v[8:9], v[8:9], off
	s_waitcnt vmcnt(0)
	v_fma_f64 v[10:11], -v[6:7], v[8:9], v[2:3]
.LBB57_39:                              ;   in Loop: Header=BB57_8 Depth=1
	s_or_b32 exec_lo, exec_lo, s24
	v_dual_mov_b32 v9, v5 :: v_dual_mov_b32 v8, v4
	s_mov_b32 s27, 0
	s_branch .LBB57_29
.LBB57_40:                              ;   in Loop: Header=BB57_8 Depth=1
	v_div_scale_f64 v[8:9], null, v[6:7], v[6:7], 1.0
	v_div_scale_f64 v[22:23], vcc_lo, 1.0, v[6:7], 1.0
	s_mov_b32 s27, 2
	s_delay_alu instid0(VALU_DEP_2) | instskip(SKIP_2) | instid1(VALU_DEP_1)
	v_rcp_f64_e32 v[10:11], v[8:9]
	s_waitcnt_depctr 0xfff
	v_fma_f64 v[20:21], -v[8:9], v[10:11], 1.0
	v_fma_f64 v[10:11], v[10:11], v[20:21], v[10:11]
	s_delay_alu instid0(VALU_DEP_1) | instskip(NEXT) | instid1(VALU_DEP_1)
	v_fma_f64 v[20:21], -v[8:9], v[10:11], 1.0
	v_fma_f64 v[10:11], v[10:11], v[20:21], v[10:11]
	s_delay_alu instid0(VALU_DEP_1) | instskip(NEXT) | instid1(VALU_DEP_1)
	v_mul_f64 v[20:21], v[22:23], v[10:11]
	v_fma_f64 v[8:9], -v[8:9], v[20:21], v[22:23]
	s_delay_alu instid0(VALU_DEP_1) | instskip(SKIP_1) | instid1(VALU_DEP_2)
	v_div_fmas_f64 v[8:9], v[8:9], v[10:11], v[20:21]
	v_dual_mov_b32 v11, v3 :: v_dual_mov_b32 v10, v2
	v_div_fixup_f64 v[6:7], v[8:9], v[6:7], 1.0
	s_delay_alu instid0(VALU_DEP_1) | instskip(NEXT) | instid1(VALU_DEP_2)
	v_cndmask_b32_e64 v9, v5, v7, s1
	v_cndmask_b32_e64 v8, v4, v6, s1
	s_cmp_gt_i32 s27, 3
	s_mov_b32 s13, -1
	s_cbranch_scc0 .LBB57_30
.LBB57_41:                              ;   in Loop: Header=BB57_8 Depth=1
	s_branch .LBB57_6
.LBB57_42:                              ;   in Loop: Header=BB57_8 Depth=1
                                        ; implicit-def: $sgpr22_sgpr23
	s_branch .LBB57_7
.LBB57_43:
	v_dual_mov_b32 v11, v3 :: v_dual_mov_b32 v10, v2
.LBB57_44:
	s_and_saveexec_b32 s0, s2
	s_cbranch_execz .LBB57_46
; %bb.45:
	s_delay_alu instid0(VALU_DEP_1) | instskip(SKIP_3) | instid1(VALU_DEP_1)
	v_mul_f64 v[1:2], v[8:9], v[10:11]
	s_cmp_eq_u32 s6, 0
	s_cselect_b32 vcc_lo, -1, 0
	s_lshl_b64 s[2:3], s[18:19], 3
	v_dual_cndmask_b32 v2, v11, v2 :: v_dual_cndmask_b32 v1, v10, v1
	v_add_co_u32 v3, vcc_lo, v12, s2
	v_add_co_ci_u32_e32 v4, vcc_lo, s3, v13, vcc_lo
	global_store_b64 v[3:4], v[1:2], off
.LBB57_46:
	s_or_b32 exec_lo, exec_lo, s0
	s_waitcnt_vscnt null, 0x0
	buffer_gl1_inv
	buffer_gl0_inv
	s_barrier
	buffer_gl0_inv
	s_mov_b32 s0, exec_lo
	v_cmpx_eq_u32_e32 0, v0
	s_cbranch_execz .LBB57_48
; %bb.47:
	s_add_i32 s0, s16, s7
	v_dual_mov_b32 v0, 0 :: v_dual_mov_b32 v1, 1
	s_ashr_i32 s1, s0, 31
	s_delay_alu instid0(SALU_CYCLE_1) | instskip(NEXT) | instid1(SALU_CYCLE_1)
	s_lshl_b64 s[0:1], s[0:1], 2
	s_add_u32 s0, s10, s0
	s_addc_u32 s1, s11, s1
	global_store_b32 v0, v1, s[0:1]
.LBB57_48:
	s_nop 0
	s_sendmsg sendmsg(MSG_DEALLOC_VGPRS)
	s_endpgm
	.section	.rodata,"a",@progbits
	.p2align	6, 0x0
	.amdhsa_kernel _ZN9rocsparseL5csrsmILj128ELj64ELb0ElidEEv20rocsparse_operation_T3_S2_NS_24const_host_device_scalarIT4_EEPKT2_PKS2_PKS4_PS4_lPiSA_PS2_21rocsparse_index_base_20rocsparse_fill_mode_20rocsparse_diag_type_b
		.amdhsa_group_segment_fixed_size 1536
		.amdhsa_private_segment_fixed_size 0
		.amdhsa_kernarg_size 104
		.amdhsa_user_sgpr_count 15
		.amdhsa_user_sgpr_dispatch_ptr 0
		.amdhsa_user_sgpr_queue_ptr 0
		.amdhsa_user_sgpr_kernarg_segment_ptr 1
		.amdhsa_user_sgpr_dispatch_id 0
		.amdhsa_user_sgpr_private_segment_size 0
		.amdhsa_wavefront_size32 1
		.amdhsa_uses_dynamic_stack 0
		.amdhsa_enable_private_segment 0
		.amdhsa_system_sgpr_workgroup_id_x 1
		.amdhsa_system_sgpr_workgroup_id_y 0
		.amdhsa_system_sgpr_workgroup_id_z 0
		.amdhsa_system_sgpr_workgroup_info 0
		.amdhsa_system_vgpr_workitem_id 0
		.amdhsa_next_free_vgpr 24
		.amdhsa_next_free_sgpr 30
		.amdhsa_reserve_vcc 1
		.amdhsa_float_round_mode_32 0
		.amdhsa_float_round_mode_16_64 0
		.amdhsa_float_denorm_mode_32 3
		.amdhsa_float_denorm_mode_16_64 3
		.amdhsa_dx10_clamp 1
		.amdhsa_ieee_mode 1
		.amdhsa_fp16_overflow 0
		.amdhsa_workgroup_processor_mode 1
		.amdhsa_memory_ordered 1
		.amdhsa_forward_progress 0
		.amdhsa_shared_vgpr_count 0
		.amdhsa_exception_fp_ieee_invalid_op 0
		.amdhsa_exception_fp_denorm_src 0
		.amdhsa_exception_fp_ieee_div_zero 0
		.amdhsa_exception_fp_ieee_overflow 0
		.amdhsa_exception_fp_ieee_underflow 0
		.amdhsa_exception_fp_ieee_inexact 0
		.amdhsa_exception_int_div_zero 0
	.end_amdhsa_kernel
	.section	.text._ZN9rocsparseL5csrsmILj128ELj64ELb0ElidEEv20rocsparse_operation_T3_S2_NS_24const_host_device_scalarIT4_EEPKT2_PKS2_PKS4_PS4_lPiSA_PS2_21rocsparse_index_base_20rocsparse_fill_mode_20rocsparse_diag_type_b,"axG",@progbits,_ZN9rocsparseL5csrsmILj128ELj64ELb0ElidEEv20rocsparse_operation_T3_S2_NS_24const_host_device_scalarIT4_EEPKT2_PKS2_PKS4_PS4_lPiSA_PS2_21rocsparse_index_base_20rocsparse_fill_mode_20rocsparse_diag_type_b,comdat
.Lfunc_end57:
	.size	_ZN9rocsparseL5csrsmILj128ELj64ELb0ElidEEv20rocsparse_operation_T3_S2_NS_24const_host_device_scalarIT4_EEPKT2_PKS2_PKS4_PS4_lPiSA_PS2_21rocsparse_index_base_20rocsparse_fill_mode_20rocsparse_diag_type_b, .Lfunc_end57-_ZN9rocsparseL5csrsmILj128ELj64ELb0ElidEEv20rocsparse_operation_T3_S2_NS_24const_host_device_scalarIT4_EEPKT2_PKS2_PKS4_PS4_lPiSA_PS2_21rocsparse_index_base_20rocsparse_fill_mode_20rocsparse_diag_type_b
                                        ; -- End function
	.section	.AMDGPU.csdata,"",@progbits
; Kernel info:
; codeLenInByte = 1880
; NumSgprs: 32
; NumVgprs: 24
; ScratchSize: 0
; MemoryBound: 0
; FloatMode: 240
; IeeeMode: 1
; LDSByteSize: 1536 bytes/workgroup (compile time only)
; SGPRBlocks: 3
; VGPRBlocks: 2
; NumSGPRsForWavesPerEU: 32
; NumVGPRsForWavesPerEU: 24
; Occupancy: 16
; WaveLimiterHint : 1
; COMPUTE_PGM_RSRC2:SCRATCH_EN: 0
; COMPUTE_PGM_RSRC2:USER_SGPR: 15
; COMPUTE_PGM_RSRC2:TRAP_HANDLER: 0
; COMPUTE_PGM_RSRC2:TGID_X_EN: 1
; COMPUTE_PGM_RSRC2:TGID_Y_EN: 0
; COMPUTE_PGM_RSRC2:TGID_Z_EN: 0
; COMPUTE_PGM_RSRC2:TIDIG_COMP_CNT: 0
	.section	.text._ZN9rocsparseL5csrsmILj256ELj64ELb1ElidEEv20rocsparse_operation_T3_S2_NS_24const_host_device_scalarIT4_EEPKT2_PKS2_PKS4_PS4_lPiSA_PS2_21rocsparse_index_base_20rocsparse_fill_mode_20rocsparse_diag_type_b,"axG",@progbits,_ZN9rocsparseL5csrsmILj256ELj64ELb1ElidEEv20rocsparse_operation_T3_S2_NS_24const_host_device_scalarIT4_EEPKT2_PKS2_PKS4_PS4_lPiSA_PS2_21rocsparse_index_base_20rocsparse_fill_mode_20rocsparse_diag_type_b,comdat
	.globl	_ZN9rocsparseL5csrsmILj256ELj64ELb1ElidEEv20rocsparse_operation_T3_S2_NS_24const_host_device_scalarIT4_EEPKT2_PKS2_PKS4_PS4_lPiSA_PS2_21rocsparse_index_base_20rocsparse_fill_mode_20rocsparse_diag_type_b ; -- Begin function _ZN9rocsparseL5csrsmILj256ELj64ELb1ElidEEv20rocsparse_operation_T3_S2_NS_24const_host_device_scalarIT4_EEPKT2_PKS2_PKS4_PS4_lPiSA_PS2_21rocsparse_index_base_20rocsparse_fill_mode_20rocsparse_diag_type_b
	.p2align	8
	.type	_ZN9rocsparseL5csrsmILj256ELj64ELb1ElidEEv20rocsparse_operation_T3_S2_NS_24const_host_device_scalarIT4_EEPKT2_PKS2_PKS4_PS4_lPiSA_PS2_21rocsparse_index_base_20rocsparse_fill_mode_20rocsparse_diag_type_b,@function
_ZN9rocsparseL5csrsmILj256ELj64ELb1ElidEEv20rocsparse_operation_T3_S2_NS_24const_host_device_scalarIT4_EEPKT2_PKS2_PKS4_PS4_lPiSA_PS2_21rocsparse_index_base_20rocsparse_fill_mode_20rocsparse_diag_type_b: ; @_ZN9rocsparseL5csrsmILj256ELj64ELb1ElidEEv20rocsparse_operation_T3_S2_NS_24const_host_device_scalarIT4_EEPKT2_PKS2_PKS4_PS4_lPiSA_PS2_21rocsparse_index_base_20rocsparse_fill_mode_20rocsparse_diag_type_b
; %bb.0:
	s_clause 0x3
	s_load_b128 s[4:7], s[0:1], 0x58
	s_load_b128 s[16:19], s[0:1], 0x10
	s_load_b64 s[2:3], s[0:1], 0x48
	s_load_b64 s[20:21], s[0:1], 0x30
	s_waitcnt lgkmcnt(0)
	s_bitcmp1_b32 s7, 0
	v_dual_mov_b32 v4, s16 :: v_dual_mov_b32 v5, s17
	s_cselect_b32 s7, -1, 0
	s_delay_alu instid0(SALU_CYCLE_1)
	s_and_b32 vcc_lo, exec_lo, s7
	s_cbranch_vccnz .LBB58_2
; %bb.1:
	v_dual_mov_b32 v1, s16 :: v_dual_mov_b32 v2, s17
	flat_load_b64 v[4:5], v[1:2]
.LBB58_2:
	s_load_b64 s[22:23], s[0:1], 0x4
	v_mov_b32_e32 v2, 0
	v_mov_b32_e32 v3, 0
	s_waitcnt lgkmcnt(0)
	v_cvt_f32_u32_e32 v1, s22
	s_sub_i32 s8, 0, s22
	s_delay_alu instid0(VALU_DEP_1) | instskip(SKIP_2) | instid1(VALU_DEP_1)
	v_rcp_iflag_f32_e32 v1, v1
	s_waitcnt_depctr 0xfff
	v_mul_f32_e32 v1, 0x4f7ffffe, v1
	v_cvt_u32_f32_e32 v1, v1
	s_delay_alu instid0(VALU_DEP_1) | instskip(NEXT) | instid1(VALU_DEP_1)
	v_readfirstlane_b32 s7, v1
	s_mul_i32 s8, s8, s7
	s_delay_alu instid0(SALU_CYCLE_1) | instskip(NEXT) | instid1(SALU_CYCLE_1)
	s_mul_hi_u32 s8, s7, s8
	s_add_i32 s7, s7, s8
	s_delay_alu instid0(SALU_CYCLE_1) | instskip(NEXT) | instid1(SALU_CYCLE_1)
	s_mul_hi_u32 s7, s15, s7
	s_mul_i32 s8, s7, s22
	s_add_i32 s9, s7, 1
	s_sub_i32 s8, s15, s8
	s_delay_alu instid0(SALU_CYCLE_1)
	s_sub_i32 s10, s8, s22
	s_cmp_ge_u32 s8, s22
	s_cselect_b32 s7, s9, s7
	s_cselect_b32 s8, s10, s8
	s_add_i32 s9, s7, 1
	s_cmp_ge_u32 s8, s22
	s_cselect_b32 s24, s9, s7
	s_delay_alu instid0(SALU_CYCLE_1) | instskip(SKIP_2) | instid1(SALU_CYCLE_1)
	s_mul_i32 s7, s24, s22
	v_lshl_or_b32 v6, s24, 8, v0
	s_sub_i32 s8, s15, s7
	s_ashr_i32 s9, s8, 31
	s_delay_alu instid0(VALU_DEP_1) | instskip(SKIP_1) | instid1(SALU_CYCLE_1)
	v_ashrrev_i32_e32 v7, 31, v6
	s_lshl_b64 s[8:9], s[8:9], 2
	s_add_u32 s2, s2, s8
	s_addc_u32 s3, s3, s9
	s_load_b32 s16, s[2:3], 0x0
	s_load_b128 s[8:11], s[0:1], 0x38
	s_waitcnt lgkmcnt(0)
	s_ashr_i32 s17, s16, 31
	s_delay_alu instid0(SALU_CYCLE_1)
	s_lshl_b64 s[2:3], s[16:17], 3
	s_mul_i32 s17, s17, s8
	s_add_u32 s2, s18, s2
	s_addc_u32 s3, s19, s3
	s_mul_i32 s18, s16, s8
	s_load_b128 s[12:15], s[2:3], 0x0
	s_mul_i32 s2, s16, s9
	s_mul_hi_u32 s3, s16, s8
	s_delay_alu instid0(SALU_CYCLE_1) | instskip(SKIP_2) | instid1(VALU_DEP_1)
	s_add_i32 s3, s3, s2
	v_cmp_gt_i32_e64 s2, s23, v6
	s_add_i32 s19, s3, s17
	s_and_saveexec_b32 s3, s2
	s_cbranch_execz .LBB58_4
; %bb.3:
	v_add_co_u32 v1, vcc_lo, s18, v6
	v_add_co_ci_u32_e32 v2, vcc_lo, s19, v7, vcc_lo
	s_delay_alu instid0(VALU_DEP_1) | instskip(NEXT) | instid1(VALU_DEP_1)
	v_lshlrev_b64 v[1:2], 3, v[1:2]
	v_add_co_u32 v1, vcc_lo, s20, v1
	s_delay_alu instid0(VALU_DEP_2)
	v_add_co_ci_u32_e32 v2, vcc_lo, s21, v2, vcc_lo
	global_load_b64 v[1:2], v[1:2], off
	s_waitcnt vmcnt(0)
	v_mul_f64 v[2:3], v[4:5], v[1:2]
.LBB58_4:
	s_or_b32 exec_lo, exec_lo, s3
	s_waitcnt vmcnt(0)
	v_lshlrev_b64 v[4:5], 3, v[6:7]
	s_waitcnt lgkmcnt(0)
	v_cmp_ge_i64_e64 s3, s[12:13], s[14:15]
	v_mov_b32_e32 v8, 0
	v_mov_b32_e32 v9, 0x3ff00000
	s_delay_alu instid0(VALU_DEP_4)
	v_add_co_u32 v12, vcc_lo, s20, v4
	v_add_co_ci_u32_e32 v13, vcc_lo, s21, v5, vcc_lo
	s_and_b32 vcc_lo, exec_lo, s3
	v_cmp_eq_u32_e64 s3, 0, v0
	s_cbranch_vccnz .LBB58_46
; %bb.5:
	s_clause 0x1
	s_load_b128 s[24:27], s[0:1], 0x20
	s_load_b64 s[20:21], s[0:1], 0x50
	v_dual_mov_b32 v1, 0 :: v_dual_lshlrev_b32 v4, 2, v0
	v_lshlrev_b32_e32 v14, 3, v0
	s_sub_u32 s12, s12, s4
	s_subb_u32 s13, s13, 0
	s_sub_u32 s14, s14, s4
	s_subb_u32 s15, s15, 0
	v_or_b32_e32 v15, 0x800, v4
	s_cmp_lg_u32 s6, 0
	v_cmp_ne_u32_e64 s0, 0, v0
	s_cselect_b32 s17, -1, 0
	s_mov_b64 s[22:23], s[12:13]
	s_waitcnt lgkmcnt(0)
	v_add_co_u32 v16, s1, s24, v4
	v_mov_b32_e32 v4, 0
	v_mov_b32_e32 v5, 0x3ff00000
	v_add_co_ci_u32_e64 v17, null, s25, 0, s1
	v_add_co_u32 v18, s1, s26, v14
	s_delay_alu instid0(VALU_DEP_1)
	v_add_co_ci_u32_e64 v19, null, s27, 0, s1
	s_add_i32 s26, s16, s4
	s_cmp_eq_u32 s6, 0
	s_cselect_b32 s1, -1, 0
	s_branch .LBB58_8
.LBB58_6:                               ;   in Loop: Header=BB58_8 Depth=1
	s_add_u32 s22, s22, 1
	s_addc_u32 s23, s23, 0
	s_delay_alu instid0(SALU_CYCLE_1)
	v_cmp_ge_i64_e64 s13, s[22:23], s[14:15]
.LBB58_7:                               ;   in Loop: Header=BB58_8 Depth=1
	s_delay_alu instid0(VALU_DEP_2) | instskip(SKIP_1) | instid1(VALU_DEP_3)
	v_dual_mov_b32 v2, v10 :: v_dual_mov_b32 v3, v11
	v_dual_mov_b32 v4, v8 :: v_dual_mov_b32 v5, v9
	s_and_not1_b32 vcc_lo, exec_lo, s13
	s_cbranch_vccz .LBB58_47
.LBB58_8:                               ; =>This Loop Header: Depth=1
                                        ;     Child Loop BB58_44 Depth 2
                                        ;       Child Loop BB58_45 Depth 3
	s_sub_i32 s13, s22, s12
	s_delay_alu instid0(SALU_CYCLE_1) | instskip(NEXT) | instid1(SALU_CYCLE_1)
	s_and_b32 s13, s13, 0xff
	s_cmp_lg_u32 s13, 0
	s_cbranch_scc1 .LBB58_12
; %bb.9:                                ;   in Loop: Header=BB58_8 Depth=1
	s_sub_u32 s24, s14, s22
	s_subb_u32 s25, s15, s23
	v_mov_b32_e32 v6, 0
	v_cmp_gt_i64_e32 vcc_lo, s[24:25], v[0:1]
	v_dual_mov_b32 v7, 0xbff00000 :: v_dual_mov_b32 v8, -1
	s_and_saveexec_b32 s24, vcc_lo
	s_cbranch_execz .LBB58_11
; %bb.10:                               ;   in Loop: Header=BB58_8 Depth=1
	s_lshl_b64 s[28:29], s[22:23], 2
	s_delay_alu instid0(SALU_CYCLE_1)
	v_add_co_u32 v6, vcc_lo, v16, s28
	v_add_co_ci_u32_e32 v7, vcc_lo, s29, v17, vcc_lo
	s_lshl_b64 s[28:29], s[22:23], 3
	global_load_b32 v8, v[6:7], off
	v_add_co_u32 v6, vcc_lo, v18, s28
	v_add_co_ci_u32_e32 v7, vcc_lo, s29, v19, vcc_lo
	global_load_b64 v[6:7], v[6:7], off
	s_waitcnt vmcnt(1)
	v_subrev_nc_u32_e32 v8, s4, v8
.LBB58_11:                              ;   in Loop: Header=BB58_8 Depth=1
	s_or_b32 exec_lo, exec_lo, s24
	ds_store_b32 v15, v8
	s_waitcnt vmcnt(0)
	ds_store_b64 v14, v[6:7]
.LBB58_12:                              ;   in Loop: Header=BB58_8 Depth=1
	s_lshl_b32 s24, s13, 3
	s_waitcnt lgkmcnt(0)
	v_mov_b32_e32 v6, s24
	s_waitcnt_vscnt null, 0x0
	s_barrier
	buffer_gl0_inv
	s_lshl_b32 s13, s13, 2
	s_delay_alu instid0(SALU_CYCLE_1)
	v_mov_b32_e32 v8, s13
	ds_load_b64 v[6:7], v6
	ds_load_b32 v8, v8 offset:2048
	s_waitcnt lgkmcnt(1)
	v_cmp_neq_f64_e32 vcc_lo, 0, v[6:7]
	s_waitcnt lgkmcnt(0)
	v_readfirstlane_b32 s13, v8
	s_delay_alu instid0(VALU_DEP_1) | instskip(SKIP_1) | instid1(SALU_CYCLE_1)
	s_cmp_lg_u32 s13, s16
	s_cselect_b32 s24, -1, 0
	s_or_b32 s24, s17, s24
	s_delay_alu instid0(SALU_CYCLE_1) | instskip(SKIP_3) | instid1(SALU_CYCLE_1)
	s_or_b32 vcc_lo, vcc_lo, s24
	v_cndmask_b32_e32 v7, 0x3ff00000, v7, vcc_lo
	v_cndmask_b32_e32 v6, 0, v6, vcc_lo
	s_or_b32 s24, s0, vcc_lo
	s_xor_b32 s25, s24, -1
	s_delay_alu instid0(SALU_CYCLE_1)
	s_and_saveexec_b32 s24, s25
	s_cbranch_execz .LBB58_16
; %bb.13:                               ;   in Loop: Header=BB58_8 Depth=1
	v_mbcnt_lo_u32_b32 v6, exec_lo, 0
	s_mov_b32 s25, exec_lo
	s_delay_alu instid0(VALU_DEP_1)
	v_cmpx_eq_u32_e32 0, v6
	s_cbranch_execz .LBB58_15
; %bb.14:                               ;   in Loop: Header=BB58_8 Depth=1
	v_mov_b32_e32 v6, s26
	global_atomic_min_i32 v1, v6, s[20:21]
.LBB58_15:                              ;   in Loop: Header=BB58_8 Depth=1
	s_or_b32 exec_lo, exec_lo, s25
	v_mov_b32_e32 v6, 0
	v_mov_b32_e32 v7, 0x3ff00000
.LBB58_16:                              ;   in Loop: Header=BB58_8 Depth=1
	s_or_b32 exec_lo, exec_lo, s24
	s_cmp_lt_i32 s5, 1
	s_mov_b32 s24, 0
	s_cbranch_scc1 .LBB58_21
; %bb.17:                               ;   in Loop: Header=BB58_8 Depth=1
	s_cmp_eq_u32 s5, 1
	s_cbranch_scc0 .LBB58_22
; %bb.18:                               ;   in Loop: Header=BB58_8 Depth=1
	v_dual_mov_b32 v9, v5 :: v_dual_mov_b32 v8, v4
	s_cmp_ge_i32 s13, s16
	s_mov_b32 s25, 0
	s_cbranch_scc0 .LBB58_24
; %bb.19:                               ;   in Loop: Header=BB58_8 Depth=1
	s_cmp_eq_u32 s13, s16
	s_cbranch_scc0 .LBB58_23
; %bb.20:                               ;   in Loop: Header=BB58_8 Depth=1
	v_div_scale_f64 v[8:9], null, v[6:7], v[6:7], 1.0
	v_div_scale_f64 v[22:23], vcc_lo, 1.0, v[6:7], 1.0
	s_delay_alu instid0(VALU_DEP_2) | instskip(SKIP_2) | instid1(VALU_DEP_1)
	v_rcp_f64_e32 v[10:11], v[8:9]
	s_waitcnt_depctr 0xfff
	v_fma_f64 v[20:21], -v[8:9], v[10:11], 1.0
	v_fma_f64 v[10:11], v[10:11], v[20:21], v[10:11]
	s_delay_alu instid0(VALU_DEP_1) | instskip(NEXT) | instid1(VALU_DEP_1)
	v_fma_f64 v[20:21], -v[8:9], v[10:11], 1.0
	v_fma_f64 v[10:11], v[10:11], v[20:21], v[10:11]
	s_delay_alu instid0(VALU_DEP_1) | instskip(NEXT) | instid1(VALU_DEP_1)
	v_mul_f64 v[20:21], v[22:23], v[10:11]
	v_fma_f64 v[8:9], -v[8:9], v[20:21], v[22:23]
	s_delay_alu instid0(VALU_DEP_1) | instskip(NEXT) | instid1(VALU_DEP_1)
	v_div_fmas_f64 v[8:9], v[8:9], v[10:11], v[20:21]
	v_div_fixup_f64 v[8:9], v[8:9], v[6:7], 1.0
	s_delay_alu instid0(VALU_DEP_1) | instskip(NEXT) | instid1(VALU_DEP_2)
	v_cndmask_b32_e64 v9, v5, v9, s1
	v_cndmask_b32_e64 v8, v4, v8, s1
	s_branch .LBB58_24
.LBB58_21:                              ;   in Loop: Header=BB58_8 Depth=1
	s_mov_b32 s25, 0
                                        ; implicit-def: $vgpr10_vgpr11
                                        ; implicit-def: $vgpr8_vgpr9
                                        ; implicit-def: $sgpr27
	s_cbranch_execnz .LBB58_25
	s_branch .LBB58_27
.LBB58_22:                              ;   in Loop: Header=BB58_8 Depth=1
	s_mov_b32 s25, -1
                                        ; implicit-def: $vgpr10_vgpr11
                                        ; implicit-def: $vgpr8_vgpr9
                                        ; implicit-def: $sgpr27
	s_branch .LBB58_27
.LBB58_23:                              ;   in Loop: Header=BB58_8 Depth=1
	s_mov_b32 s25, -1
                                        ; implicit-def: $vgpr8_vgpr9
.LBB58_24:                              ;   in Loop: Header=BB58_8 Depth=1
	v_dual_mov_b32 v11, v3 :: v_dual_mov_b32 v10, v2
	s_mov_b32 s27, 4
	s_branch .LBB58_27
.LBB58_25:                              ;   in Loop: Header=BB58_8 Depth=1
	s_cmp_eq_u32 s5, 0
	s_cbranch_scc1 .LBB58_31
; %bb.26:                               ;   in Loop: Header=BB58_8 Depth=1
	s_mov_b32 s25, -1
                                        ; implicit-def: $vgpr10_vgpr11
                                        ; implicit-def: $vgpr8_vgpr9
                                        ; implicit-def: $sgpr27
.LBB58_27:                              ;   in Loop: Header=BB58_8 Depth=1
	s_delay_alu instid0(SALU_CYCLE_1)
	s_and_b32 vcc_lo, exec_lo, s25
	s_cbranch_vccnz .LBB58_34
.LBB58_28:                              ;   in Loop: Header=BB58_8 Depth=1
	s_and_b32 vcc_lo, exec_lo, s24
	s_cbranch_vccnz .LBB58_39
.LBB58_29:                              ;   in Loop: Header=BB58_8 Depth=1
	s_cmp_gt_i32 s27, 3
	s_mov_b32 s13, -1
	s_cbranch_scc1 .LBB58_40
.LBB58_30:                              ;   in Loop: Header=BB58_8 Depth=1
	s_cmp_eq_u32 s27, 0
	s_cselect_b32 s24, -1, 0
	s_delay_alu instid0(SALU_CYCLE_1)
	s_and_not1_b32 vcc_lo, exec_lo, s24
	s_cbranch_vccz .LBB58_6
	s_branch .LBB58_41
.LBB58_31:                              ;   in Loop: Header=BB58_8 Depth=1
	s_cmp_le_i32 s13, s16
	s_mov_b32 s25, 0
	s_cbranch_scc0 .LBB58_33
; %bb.32:                               ;   in Loop: Header=BB58_8 Depth=1
	s_cmp_lg_u32 s13, s16
	s_mov_b32 s24, -1
	s_cselect_b32 s25, -1, 0
.LBB58_33:                              ;   in Loop: Header=BB58_8 Depth=1
	v_dual_mov_b32 v11, v3 :: v_dual_mov_b32 v10, v2
	v_dual_mov_b32 v9, v5 :: v_dual_mov_b32 v8, v4
	s_mov_b32 s27, 2
	s_and_b32 vcc_lo, exec_lo, s25
	s_cbranch_vccz .LBB58_28
.LBB58_34:                              ;   in Loop: Header=BB58_8 Depth=1
	s_and_saveexec_b32 s27, s3
	s_cbranch_execz .LBB58_36
; %bb.35:                               ;   in Loop: Header=BB58_8 Depth=1
	s_add_i32 s24, s13, s7
	s_delay_alu instid0(SALU_CYCLE_1) | instskip(NEXT) | instid1(SALU_CYCLE_1)
	s_ashr_i32 s25, s24, 31
	s_lshl_b64 s[24:25], s[24:25], 2
	s_delay_alu instid0(SALU_CYCLE_1)
	s_add_u32 s24, s10, s24
	s_addc_u32 s25, s11, s25
	global_load_b32 v8, v1, s[24:25] glc
	s_waitcnt vmcnt(0)
	v_cmp_ne_u32_e32 vcc_lo, 0, v8
	s_cbranch_vccz .LBB58_42
.LBB58_36:                              ;   in Loop: Header=BB58_8 Depth=1
	s_or_b32 exec_lo, exec_lo, s27
	v_mov_b32_e32 v10, 0
	v_mov_b32_e32 v11, 0
	s_waitcnt_vscnt null, 0x0
	s_barrier
	buffer_gl0_inv
	buffer_gl1_inv
	buffer_gl0_inv
	s_and_saveexec_b32 s24, s2
	s_cbranch_execz .LBB58_38
; %bb.37:                               ;   in Loop: Header=BB58_8 Depth=1
	s_mul_i32 s25, s13, s9
	s_mul_hi_u32 s27, s13, s8
	s_ashr_i32 s28, s13, 31
	s_add_i32 s25, s27, s25
	s_mul_i32 s28, s28, s8
	s_delay_alu instid0(SALU_CYCLE_1) | instskip(SKIP_1) | instid1(SALU_CYCLE_1)
	s_add_i32 s29, s25, s28
	s_mul_i32 s28, s13, s8
	s_lshl_b64 s[28:29], s[28:29], 3
	s_delay_alu instid0(SALU_CYCLE_1)
	v_add_co_u32 v8, vcc_lo, v12, s28
	v_add_co_ci_u32_e32 v9, vcc_lo, s29, v13, vcc_lo
	global_load_b64 v[8:9], v[8:9], off
	s_waitcnt vmcnt(0)
	v_fma_f64 v[10:11], -v[6:7], v[8:9], v[2:3]
.LBB58_38:                              ;   in Loop: Header=BB58_8 Depth=1
	s_or_b32 exec_lo, exec_lo, s24
	v_dual_mov_b32 v9, v5 :: v_dual_mov_b32 v8, v4
	s_mov_b32 s27, 0
	s_branch .LBB58_29
.LBB58_39:                              ;   in Loop: Header=BB58_8 Depth=1
	v_div_scale_f64 v[8:9], null, v[6:7], v[6:7], 1.0
	v_div_scale_f64 v[22:23], vcc_lo, 1.0, v[6:7], 1.0
	s_mov_b32 s27, 2
	s_delay_alu instid0(VALU_DEP_2) | instskip(SKIP_2) | instid1(VALU_DEP_1)
	v_rcp_f64_e32 v[10:11], v[8:9]
	s_waitcnt_depctr 0xfff
	v_fma_f64 v[20:21], -v[8:9], v[10:11], 1.0
	v_fma_f64 v[10:11], v[10:11], v[20:21], v[10:11]
	s_delay_alu instid0(VALU_DEP_1) | instskip(NEXT) | instid1(VALU_DEP_1)
	v_fma_f64 v[20:21], -v[8:9], v[10:11], 1.0
	v_fma_f64 v[10:11], v[10:11], v[20:21], v[10:11]
	s_delay_alu instid0(VALU_DEP_1) | instskip(NEXT) | instid1(VALU_DEP_1)
	v_mul_f64 v[20:21], v[22:23], v[10:11]
	v_fma_f64 v[8:9], -v[8:9], v[20:21], v[22:23]
	s_delay_alu instid0(VALU_DEP_1) | instskip(SKIP_1) | instid1(VALU_DEP_2)
	v_div_fmas_f64 v[8:9], v[8:9], v[10:11], v[20:21]
	v_dual_mov_b32 v11, v3 :: v_dual_mov_b32 v10, v2
	v_div_fixup_f64 v[6:7], v[8:9], v[6:7], 1.0
	s_delay_alu instid0(VALU_DEP_1) | instskip(NEXT) | instid1(VALU_DEP_2)
	v_cndmask_b32_e64 v9, v5, v7, s1
	v_cndmask_b32_e64 v8, v4, v6, s1
	s_cmp_gt_i32 s27, 3
	s_mov_b32 s13, -1
	s_cbranch_scc0 .LBB58_30
.LBB58_40:                              ;   in Loop: Header=BB58_8 Depth=1
	s_branch .LBB58_6
.LBB58_41:                              ;   in Loop: Header=BB58_8 Depth=1
                                        ; implicit-def: $sgpr22_sgpr23
	s_branch .LBB58_7
.LBB58_42:                              ;   in Loop: Header=BB58_8 Depth=1
	s_mov_b32 s28, 0
	s_branch .LBB58_44
	.p2align	6
.LBB58_43:                              ;   in Loop: Header=BB58_44 Depth=2
	global_load_b32 v8, v1, s[24:25] glc
	s_cmpk_lt_u32 s28, 0xf43
	s_cselect_b32 s29, -1, 0
	s_delay_alu instid0(SALU_CYCLE_1)
	s_cmp_lg_u32 s29, 0
	s_addc_u32 s28, s28, 0
	s_waitcnt vmcnt(0)
	v_cmp_ne_u32_e32 vcc_lo, 0, v8
	s_cbranch_vccnz .LBB58_36
.LBB58_44:                              ;   Parent Loop BB58_8 Depth=1
                                        ; =>  This Loop Header: Depth=2
                                        ;       Child Loop BB58_45 Depth 3
	s_cmp_eq_u32 s28, 0
	s_mov_b32 s29, s28
	s_cbranch_scc1 .LBB58_43
.LBB58_45:                              ;   Parent Loop BB58_8 Depth=1
                                        ;     Parent Loop BB58_44 Depth=2
                                        ; =>    This Inner Loop Header: Depth=3
	s_add_i32 s29, s29, -1
	s_sleep 1
	s_cmp_eq_u32 s29, 0
	s_cbranch_scc0 .LBB58_45
	s_branch .LBB58_43
.LBB58_46:
	v_dual_mov_b32 v11, v3 :: v_dual_mov_b32 v10, v2
.LBB58_47:
	s_and_saveexec_b32 s0, s2
	s_cbranch_execz .LBB58_49
; %bb.48:
	s_delay_alu instid0(VALU_DEP_1) | instskip(SKIP_3) | instid1(VALU_DEP_1)
	v_mul_f64 v[1:2], v[8:9], v[10:11]
	s_cmp_eq_u32 s6, 0
	s_cselect_b32 vcc_lo, -1, 0
	s_lshl_b64 s[2:3], s[18:19], 3
	v_dual_cndmask_b32 v2, v11, v2 :: v_dual_cndmask_b32 v1, v10, v1
	v_add_co_u32 v3, vcc_lo, v12, s2
	v_add_co_ci_u32_e32 v4, vcc_lo, s3, v13, vcc_lo
	global_store_b64 v[3:4], v[1:2], off
.LBB58_49:
	s_or_b32 exec_lo, exec_lo, s0
	s_waitcnt_vscnt null, 0x0
	buffer_gl1_inv
	buffer_gl0_inv
	s_barrier
	buffer_gl0_inv
	s_mov_b32 s0, exec_lo
	v_cmpx_eq_u32_e32 0, v0
	s_cbranch_execz .LBB58_51
; %bb.50:
	s_add_i32 s0, s16, s7
	v_dual_mov_b32 v0, 0 :: v_dual_mov_b32 v1, 1
	s_ashr_i32 s1, s0, 31
	s_delay_alu instid0(SALU_CYCLE_1) | instskip(NEXT) | instid1(SALU_CYCLE_1)
	s_lshl_b64 s[0:1], s[0:1], 2
	s_add_u32 s0, s10, s0
	s_addc_u32 s1, s11, s1
	global_store_b32 v0, v1, s[0:1]
.LBB58_51:
	s_nop 0
	s_sendmsg sendmsg(MSG_DEALLOC_VGPRS)
	s_endpgm
	.section	.rodata,"a",@progbits
	.p2align	6, 0x0
	.amdhsa_kernel _ZN9rocsparseL5csrsmILj256ELj64ELb1ElidEEv20rocsparse_operation_T3_S2_NS_24const_host_device_scalarIT4_EEPKT2_PKS2_PKS4_PS4_lPiSA_PS2_21rocsparse_index_base_20rocsparse_fill_mode_20rocsparse_diag_type_b
		.amdhsa_group_segment_fixed_size 3072
		.amdhsa_private_segment_fixed_size 0
		.amdhsa_kernarg_size 104
		.amdhsa_user_sgpr_count 15
		.amdhsa_user_sgpr_dispatch_ptr 0
		.amdhsa_user_sgpr_queue_ptr 0
		.amdhsa_user_sgpr_kernarg_segment_ptr 1
		.amdhsa_user_sgpr_dispatch_id 0
		.amdhsa_user_sgpr_private_segment_size 0
		.amdhsa_wavefront_size32 1
		.amdhsa_uses_dynamic_stack 0
		.amdhsa_enable_private_segment 0
		.amdhsa_system_sgpr_workgroup_id_x 1
		.amdhsa_system_sgpr_workgroup_id_y 0
		.amdhsa_system_sgpr_workgroup_id_z 0
		.amdhsa_system_sgpr_workgroup_info 0
		.amdhsa_system_vgpr_workitem_id 0
		.amdhsa_next_free_vgpr 24
		.amdhsa_next_free_sgpr 30
		.amdhsa_reserve_vcc 1
		.amdhsa_float_round_mode_32 0
		.amdhsa_float_round_mode_16_64 0
		.amdhsa_float_denorm_mode_32 3
		.amdhsa_float_denorm_mode_16_64 3
		.amdhsa_dx10_clamp 1
		.amdhsa_ieee_mode 1
		.amdhsa_fp16_overflow 0
		.amdhsa_workgroup_processor_mode 1
		.amdhsa_memory_ordered 1
		.amdhsa_forward_progress 0
		.amdhsa_shared_vgpr_count 0
		.amdhsa_exception_fp_ieee_invalid_op 0
		.amdhsa_exception_fp_denorm_src 0
		.amdhsa_exception_fp_ieee_div_zero 0
		.amdhsa_exception_fp_ieee_overflow 0
		.amdhsa_exception_fp_ieee_underflow 0
		.amdhsa_exception_fp_ieee_inexact 0
		.amdhsa_exception_int_div_zero 0
	.end_amdhsa_kernel
	.section	.text._ZN9rocsparseL5csrsmILj256ELj64ELb1ElidEEv20rocsparse_operation_T3_S2_NS_24const_host_device_scalarIT4_EEPKT2_PKS2_PKS4_PS4_lPiSA_PS2_21rocsparse_index_base_20rocsparse_fill_mode_20rocsparse_diag_type_b,"axG",@progbits,_ZN9rocsparseL5csrsmILj256ELj64ELb1ElidEEv20rocsparse_operation_T3_S2_NS_24const_host_device_scalarIT4_EEPKT2_PKS2_PKS4_PS4_lPiSA_PS2_21rocsparse_index_base_20rocsparse_fill_mode_20rocsparse_diag_type_b,comdat
.Lfunc_end58:
	.size	_ZN9rocsparseL5csrsmILj256ELj64ELb1ElidEEv20rocsparse_operation_T3_S2_NS_24const_host_device_scalarIT4_EEPKT2_PKS2_PKS4_PS4_lPiSA_PS2_21rocsparse_index_base_20rocsparse_fill_mode_20rocsparse_diag_type_b, .Lfunc_end58-_ZN9rocsparseL5csrsmILj256ELj64ELb1ElidEEv20rocsparse_operation_T3_S2_NS_24const_host_device_scalarIT4_EEPKT2_PKS2_PKS4_PS4_lPiSA_PS2_21rocsparse_index_base_20rocsparse_fill_mode_20rocsparse_diag_type_b
                                        ; -- End function
	.section	.AMDGPU.csdata,"",@progbits
; Kernel info:
; codeLenInByte = 1940
; NumSgprs: 32
; NumVgprs: 24
; ScratchSize: 0
; MemoryBound: 0
; FloatMode: 240
; IeeeMode: 1
; LDSByteSize: 3072 bytes/workgroup (compile time only)
; SGPRBlocks: 3
; VGPRBlocks: 2
; NumSGPRsForWavesPerEU: 32
; NumVGPRsForWavesPerEU: 24
; Occupancy: 16
; WaveLimiterHint : 1
; COMPUTE_PGM_RSRC2:SCRATCH_EN: 0
; COMPUTE_PGM_RSRC2:USER_SGPR: 15
; COMPUTE_PGM_RSRC2:TRAP_HANDLER: 0
; COMPUTE_PGM_RSRC2:TGID_X_EN: 1
; COMPUTE_PGM_RSRC2:TGID_Y_EN: 0
; COMPUTE_PGM_RSRC2:TGID_Z_EN: 0
; COMPUTE_PGM_RSRC2:TIDIG_COMP_CNT: 0
	.section	.text._ZN9rocsparseL5csrsmILj256ELj64ELb0ElidEEv20rocsparse_operation_T3_S2_NS_24const_host_device_scalarIT4_EEPKT2_PKS2_PKS4_PS4_lPiSA_PS2_21rocsparse_index_base_20rocsparse_fill_mode_20rocsparse_diag_type_b,"axG",@progbits,_ZN9rocsparseL5csrsmILj256ELj64ELb0ElidEEv20rocsparse_operation_T3_S2_NS_24const_host_device_scalarIT4_EEPKT2_PKS2_PKS4_PS4_lPiSA_PS2_21rocsparse_index_base_20rocsparse_fill_mode_20rocsparse_diag_type_b,comdat
	.globl	_ZN9rocsparseL5csrsmILj256ELj64ELb0ElidEEv20rocsparse_operation_T3_S2_NS_24const_host_device_scalarIT4_EEPKT2_PKS2_PKS4_PS4_lPiSA_PS2_21rocsparse_index_base_20rocsparse_fill_mode_20rocsparse_diag_type_b ; -- Begin function _ZN9rocsparseL5csrsmILj256ELj64ELb0ElidEEv20rocsparse_operation_T3_S2_NS_24const_host_device_scalarIT4_EEPKT2_PKS2_PKS4_PS4_lPiSA_PS2_21rocsparse_index_base_20rocsparse_fill_mode_20rocsparse_diag_type_b
	.p2align	8
	.type	_ZN9rocsparseL5csrsmILj256ELj64ELb0ElidEEv20rocsparse_operation_T3_S2_NS_24const_host_device_scalarIT4_EEPKT2_PKS2_PKS4_PS4_lPiSA_PS2_21rocsparse_index_base_20rocsparse_fill_mode_20rocsparse_diag_type_b,@function
_ZN9rocsparseL5csrsmILj256ELj64ELb0ElidEEv20rocsparse_operation_T3_S2_NS_24const_host_device_scalarIT4_EEPKT2_PKS2_PKS4_PS4_lPiSA_PS2_21rocsparse_index_base_20rocsparse_fill_mode_20rocsparse_diag_type_b: ; @_ZN9rocsparseL5csrsmILj256ELj64ELb0ElidEEv20rocsparse_operation_T3_S2_NS_24const_host_device_scalarIT4_EEPKT2_PKS2_PKS4_PS4_lPiSA_PS2_21rocsparse_index_base_20rocsparse_fill_mode_20rocsparse_diag_type_b
; %bb.0:
	s_clause 0x3
	s_load_b128 s[4:7], s[0:1], 0x58
	s_load_b128 s[16:19], s[0:1], 0x10
	s_load_b64 s[2:3], s[0:1], 0x48
	s_load_b64 s[20:21], s[0:1], 0x30
	s_waitcnt lgkmcnt(0)
	s_bitcmp1_b32 s7, 0
	v_dual_mov_b32 v4, s16 :: v_dual_mov_b32 v5, s17
	s_cselect_b32 s7, -1, 0
	s_delay_alu instid0(SALU_CYCLE_1)
	s_and_b32 vcc_lo, exec_lo, s7
	s_cbranch_vccnz .LBB59_2
; %bb.1:
	v_dual_mov_b32 v1, s16 :: v_dual_mov_b32 v2, s17
	flat_load_b64 v[4:5], v[1:2]
.LBB59_2:
	s_load_b64 s[22:23], s[0:1], 0x4
	v_mov_b32_e32 v2, 0
	v_mov_b32_e32 v3, 0
	s_waitcnt lgkmcnt(0)
	v_cvt_f32_u32_e32 v1, s22
	s_sub_i32 s8, 0, s22
	s_delay_alu instid0(VALU_DEP_1) | instskip(SKIP_2) | instid1(VALU_DEP_1)
	v_rcp_iflag_f32_e32 v1, v1
	s_waitcnt_depctr 0xfff
	v_mul_f32_e32 v1, 0x4f7ffffe, v1
	v_cvt_u32_f32_e32 v1, v1
	s_delay_alu instid0(VALU_DEP_1) | instskip(NEXT) | instid1(VALU_DEP_1)
	v_readfirstlane_b32 s7, v1
	s_mul_i32 s8, s8, s7
	s_delay_alu instid0(SALU_CYCLE_1) | instskip(NEXT) | instid1(SALU_CYCLE_1)
	s_mul_hi_u32 s8, s7, s8
	s_add_i32 s7, s7, s8
	s_delay_alu instid0(SALU_CYCLE_1) | instskip(NEXT) | instid1(SALU_CYCLE_1)
	s_mul_hi_u32 s7, s15, s7
	s_mul_i32 s8, s7, s22
	s_add_i32 s9, s7, 1
	s_sub_i32 s8, s15, s8
	s_delay_alu instid0(SALU_CYCLE_1)
	s_sub_i32 s10, s8, s22
	s_cmp_ge_u32 s8, s22
	s_cselect_b32 s7, s9, s7
	s_cselect_b32 s8, s10, s8
	s_add_i32 s9, s7, 1
	s_cmp_ge_u32 s8, s22
	s_cselect_b32 s24, s9, s7
	s_delay_alu instid0(SALU_CYCLE_1) | instskip(SKIP_2) | instid1(SALU_CYCLE_1)
	s_mul_i32 s7, s24, s22
	v_lshl_or_b32 v6, s24, 8, v0
	s_sub_i32 s8, s15, s7
	s_ashr_i32 s9, s8, 31
	s_delay_alu instid0(VALU_DEP_1) | instskip(SKIP_1) | instid1(SALU_CYCLE_1)
	v_ashrrev_i32_e32 v7, 31, v6
	s_lshl_b64 s[8:9], s[8:9], 2
	s_add_u32 s2, s2, s8
	s_addc_u32 s3, s3, s9
	s_load_b32 s16, s[2:3], 0x0
	s_load_b128 s[8:11], s[0:1], 0x38
	s_waitcnt lgkmcnt(0)
	s_ashr_i32 s17, s16, 31
	s_delay_alu instid0(SALU_CYCLE_1)
	s_lshl_b64 s[2:3], s[16:17], 3
	s_mul_i32 s17, s17, s8
	s_add_u32 s2, s18, s2
	s_addc_u32 s3, s19, s3
	s_mul_i32 s18, s16, s8
	s_load_b128 s[12:15], s[2:3], 0x0
	s_mul_i32 s2, s16, s9
	s_mul_hi_u32 s3, s16, s8
	s_delay_alu instid0(SALU_CYCLE_1) | instskip(SKIP_2) | instid1(VALU_DEP_1)
	s_add_i32 s3, s3, s2
	v_cmp_gt_i32_e64 s2, s23, v6
	s_add_i32 s19, s3, s17
	s_and_saveexec_b32 s3, s2
	s_cbranch_execz .LBB59_4
; %bb.3:
	v_add_co_u32 v1, vcc_lo, s18, v6
	v_add_co_ci_u32_e32 v2, vcc_lo, s19, v7, vcc_lo
	s_delay_alu instid0(VALU_DEP_1) | instskip(NEXT) | instid1(VALU_DEP_1)
	v_lshlrev_b64 v[1:2], 3, v[1:2]
	v_add_co_u32 v1, vcc_lo, s20, v1
	s_delay_alu instid0(VALU_DEP_2)
	v_add_co_ci_u32_e32 v2, vcc_lo, s21, v2, vcc_lo
	global_load_b64 v[1:2], v[1:2], off
	s_waitcnt vmcnt(0)
	v_mul_f64 v[2:3], v[4:5], v[1:2]
.LBB59_4:
	s_or_b32 exec_lo, exec_lo, s3
	s_waitcnt vmcnt(0)
	v_lshlrev_b64 v[4:5], 3, v[6:7]
	s_waitcnt lgkmcnt(0)
	v_cmp_ge_i64_e64 s3, s[12:13], s[14:15]
	v_mov_b32_e32 v8, 0
	v_mov_b32_e32 v9, 0x3ff00000
	s_delay_alu instid0(VALU_DEP_4)
	v_add_co_u32 v12, vcc_lo, s20, v4
	v_add_co_ci_u32_e32 v13, vcc_lo, s21, v5, vcc_lo
	s_and_b32 vcc_lo, exec_lo, s3
	v_cmp_eq_u32_e64 s3, 0, v0
	s_cbranch_vccnz .LBB59_43
; %bb.5:
	s_clause 0x1
	s_load_b128 s[24:27], s[0:1], 0x20
	s_load_b64 s[20:21], s[0:1], 0x50
	v_dual_mov_b32 v1, 0 :: v_dual_lshlrev_b32 v4, 2, v0
	v_lshlrev_b32_e32 v14, 3, v0
	s_sub_u32 s12, s12, s4
	s_subb_u32 s13, s13, 0
	s_sub_u32 s14, s14, s4
	s_subb_u32 s15, s15, 0
	v_or_b32_e32 v15, 0x800, v4
	s_cmp_lg_u32 s6, 0
	v_cmp_ne_u32_e64 s0, 0, v0
	s_cselect_b32 s17, -1, 0
	s_mov_b64 s[22:23], s[12:13]
	s_waitcnt lgkmcnt(0)
	v_add_co_u32 v16, s1, s24, v4
	v_mov_b32_e32 v4, 0
	v_mov_b32_e32 v5, 0x3ff00000
	v_add_co_ci_u32_e64 v17, null, s25, 0, s1
	v_add_co_u32 v18, s1, s26, v14
	s_delay_alu instid0(VALU_DEP_1)
	v_add_co_ci_u32_e64 v19, null, s27, 0, s1
	s_add_i32 s26, s16, s4
	s_cmp_eq_u32 s6, 0
	s_cselect_b32 s1, -1, 0
	s_branch .LBB59_8
.LBB59_6:                               ;   in Loop: Header=BB59_8 Depth=1
	s_add_u32 s22, s22, 1
	s_addc_u32 s23, s23, 0
	s_delay_alu instid0(SALU_CYCLE_1)
	v_cmp_ge_i64_e64 s13, s[22:23], s[14:15]
.LBB59_7:                               ;   in Loop: Header=BB59_8 Depth=1
	s_delay_alu instid0(VALU_DEP_2) | instskip(SKIP_1) | instid1(VALU_DEP_3)
	v_dual_mov_b32 v2, v10 :: v_dual_mov_b32 v3, v11
	v_dual_mov_b32 v4, v8 :: v_dual_mov_b32 v5, v9
	s_and_not1_b32 vcc_lo, exec_lo, s13
	s_cbranch_vccz .LBB59_44
.LBB59_8:                               ; =>This Loop Header: Depth=1
                                        ;     Child Loop BB59_36 Depth 2
	s_sub_i32 s13, s22, s12
	s_delay_alu instid0(SALU_CYCLE_1) | instskip(NEXT) | instid1(SALU_CYCLE_1)
	s_and_b32 s13, s13, 0xff
	s_cmp_lg_u32 s13, 0
	s_cbranch_scc1 .LBB59_12
; %bb.9:                                ;   in Loop: Header=BB59_8 Depth=1
	s_sub_u32 s24, s14, s22
	s_subb_u32 s25, s15, s23
	v_mov_b32_e32 v6, 0
	v_cmp_gt_i64_e32 vcc_lo, s[24:25], v[0:1]
	v_dual_mov_b32 v7, 0xbff00000 :: v_dual_mov_b32 v8, -1
	s_and_saveexec_b32 s24, vcc_lo
	s_cbranch_execz .LBB59_11
; %bb.10:                               ;   in Loop: Header=BB59_8 Depth=1
	s_lshl_b64 s[28:29], s[22:23], 2
	s_delay_alu instid0(SALU_CYCLE_1)
	v_add_co_u32 v6, vcc_lo, v16, s28
	v_add_co_ci_u32_e32 v7, vcc_lo, s29, v17, vcc_lo
	s_lshl_b64 s[28:29], s[22:23], 3
	global_load_b32 v8, v[6:7], off
	v_add_co_u32 v6, vcc_lo, v18, s28
	v_add_co_ci_u32_e32 v7, vcc_lo, s29, v19, vcc_lo
	global_load_b64 v[6:7], v[6:7], off
	s_waitcnt vmcnt(1)
	v_subrev_nc_u32_e32 v8, s4, v8
.LBB59_11:                              ;   in Loop: Header=BB59_8 Depth=1
	s_or_b32 exec_lo, exec_lo, s24
	ds_store_b32 v15, v8
	s_waitcnt vmcnt(0)
	ds_store_b64 v14, v[6:7]
.LBB59_12:                              ;   in Loop: Header=BB59_8 Depth=1
	s_lshl_b32 s24, s13, 3
	s_waitcnt lgkmcnt(0)
	v_mov_b32_e32 v6, s24
	s_waitcnt_vscnt null, 0x0
	s_barrier
	buffer_gl0_inv
	s_lshl_b32 s13, s13, 2
	s_delay_alu instid0(SALU_CYCLE_1)
	v_mov_b32_e32 v8, s13
	ds_load_b64 v[6:7], v6
	ds_load_b32 v8, v8 offset:2048
	s_waitcnt lgkmcnt(1)
	v_cmp_neq_f64_e32 vcc_lo, 0, v[6:7]
	s_waitcnt lgkmcnt(0)
	v_readfirstlane_b32 s13, v8
	s_delay_alu instid0(VALU_DEP_1) | instskip(SKIP_1) | instid1(SALU_CYCLE_1)
	s_cmp_lg_u32 s13, s16
	s_cselect_b32 s24, -1, 0
	s_or_b32 s24, s17, s24
	s_delay_alu instid0(SALU_CYCLE_1) | instskip(SKIP_3) | instid1(SALU_CYCLE_1)
	s_or_b32 vcc_lo, vcc_lo, s24
	v_cndmask_b32_e32 v7, 0x3ff00000, v7, vcc_lo
	v_cndmask_b32_e32 v6, 0, v6, vcc_lo
	s_or_b32 s24, s0, vcc_lo
	s_xor_b32 s25, s24, -1
	s_delay_alu instid0(SALU_CYCLE_1)
	s_and_saveexec_b32 s24, s25
	s_cbranch_execz .LBB59_16
; %bb.13:                               ;   in Loop: Header=BB59_8 Depth=1
	v_mbcnt_lo_u32_b32 v6, exec_lo, 0
	s_mov_b32 s25, exec_lo
	s_delay_alu instid0(VALU_DEP_1)
	v_cmpx_eq_u32_e32 0, v6
	s_cbranch_execz .LBB59_15
; %bb.14:                               ;   in Loop: Header=BB59_8 Depth=1
	v_mov_b32_e32 v6, s26
	global_atomic_min_i32 v1, v6, s[20:21]
.LBB59_15:                              ;   in Loop: Header=BB59_8 Depth=1
	s_or_b32 exec_lo, exec_lo, s25
	v_mov_b32_e32 v6, 0
	v_mov_b32_e32 v7, 0x3ff00000
.LBB59_16:                              ;   in Loop: Header=BB59_8 Depth=1
	s_or_b32 exec_lo, exec_lo, s24
	s_cmp_lt_i32 s5, 1
	s_mov_b32 s24, 0
	s_cbranch_scc1 .LBB59_21
; %bb.17:                               ;   in Loop: Header=BB59_8 Depth=1
	s_cmp_eq_u32 s5, 1
	s_cbranch_scc0 .LBB59_22
; %bb.18:                               ;   in Loop: Header=BB59_8 Depth=1
	v_dual_mov_b32 v9, v5 :: v_dual_mov_b32 v8, v4
	s_cmp_ge_i32 s13, s16
	s_mov_b32 s25, 0
	s_cbranch_scc0 .LBB59_24
; %bb.19:                               ;   in Loop: Header=BB59_8 Depth=1
	s_cmp_eq_u32 s13, s16
	s_cbranch_scc0 .LBB59_23
; %bb.20:                               ;   in Loop: Header=BB59_8 Depth=1
	v_div_scale_f64 v[8:9], null, v[6:7], v[6:7], 1.0
	v_div_scale_f64 v[22:23], vcc_lo, 1.0, v[6:7], 1.0
	s_delay_alu instid0(VALU_DEP_2) | instskip(SKIP_2) | instid1(VALU_DEP_1)
	v_rcp_f64_e32 v[10:11], v[8:9]
	s_waitcnt_depctr 0xfff
	v_fma_f64 v[20:21], -v[8:9], v[10:11], 1.0
	v_fma_f64 v[10:11], v[10:11], v[20:21], v[10:11]
	s_delay_alu instid0(VALU_DEP_1) | instskip(NEXT) | instid1(VALU_DEP_1)
	v_fma_f64 v[20:21], -v[8:9], v[10:11], 1.0
	v_fma_f64 v[10:11], v[10:11], v[20:21], v[10:11]
	s_delay_alu instid0(VALU_DEP_1) | instskip(NEXT) | instid1(VALU_DEP_1)
	v_mul_f64 v[20:21], v[22:23], v[10:11]
	v_fma_f64 v[8:9], -v[8:9], v[20:21], v[22:23]
	s_delay_alu instid0(VALU_DEP_1) | instskip(NEXT) | instid1(VALU_DEP_1)
	v_div_fmas_f64 v[8:9], v[8:9], v[10:11], v[20:21]
	v_div_fixup_f64 v[8:9], v[8:9], v[6:7], 1.0
	s_delay_alu instid0(VALU_DEP_1) | instskip(NEXT) | instid1(VALU_DEP_2)
	v_cndmask_b32_e64 v9, v5, v9, s1
	v_cndmask_b32_e64 v8, v4, v8, s1
	s_branch .LBB59_24
.LBB59_21:                              ;   in Loop: Header=BB59_8 Depth=1
	s_mov_b32 s25, 0
                                        ; implicit-def: $vgpr10_vgpr11
                                        ; implicit-def: $vgpr8_vgpr9
                                        ; implicit-def: $sgpr27
	s_cbranch_execnz .LBB59_25
	s_branch .LBB59_27
.LBB59_22:                              ;   in Loop: Header=BB59_8 Depth=1
	s_mov_b32 s25, -1
                                        ; implicit-def: $vgpr10_vgpr11
                                        ; implicit-def: $vgpr8_vgpr9
                                        ; implicit-def: $sgpr27
	s_branch .LBB59_27
.LBB59_23:                              ;   in Loop: Header=BB59_8 Depth=1
	s_mov_b32 s25, -1
                                        ; implicit-def: $vgpr8_vgpr9
.LBB59_24:                              ;   in Loop: Header=BB59_8 Depth=1
	v_dual_mov_b32 v11, v3 :: v_dual_mov_b32 v10, v2
	s_mov_b32 s27, 4
	s_branch .LBB59_27
.LBB59_25:                              ;   in Loop: Header=BB59_8 Depth=1
	s_cmp_eq_u32 s5, 0
	s_cbranch_scc1 .LBB59_31
; %bb.26:                               ;   in Loop: Header=BB59_8 Depth=1
	s_mov_b32 s25, -1
                                        ; implicit-def: $vgpr10_vgpr11
                                        ; implicit-def: $vgpr8_vgpr9
                                        ; implicit-def: $sgpr27
.LBB59_27:                              ;   in Loop: Header=BB59_8 Depth=1
	s_delay_alu instid0(SALU_CYCLE_1)
	s_and_b32 vcc_lo, exec_lo, s25
	s_cbranch_vccnz .LBB59_34
.LBB59_28:                              ;   in Loop: Header=BB59_8 Depth=1
	s_and_b32 vcc_lo, exec_lo, s24
	s_cbranch_vccnz .LBB59_40
.LBB59_29:                              ;   in Loop: Header=BB59_8 Depth=1
	s_cmp_gt_i32 s27, 3
	s_mov_b32 s13, -1
	s_cbranch_scc1 .LBB59_41
.LBB59_30:                              ;   in Loop: Header=BB59_8 Depth=1
	s_cmp_eq_u32 s27, 0
	s_cselect_b32 s24, -1, 0
	s_delay_alu instid0(SALU_CYCLE_1)
	s_and_not1_b32 vcc_lo, exec_lo, s24
	s_cbranch_vccz .LBB59_6
	s_branch .LBB59_42
.LBB59_31:                              ;   in Loop: Header=BB59_8 Depth=1
	s_cmp_le_i32 s13, s16
	s_mov_b32 s25, 0
	s_cbranch_scc0 .LBB59_33
; %bb.32:                               ;   in Loop: Header=BB59_8 Depth=1
	s_cmp_lg_u32 s13, s16
	s_mov_b32 s24, -1
	s_cselect_b32 s25, -1, 0
.LBB59_33:                              ;   in Loop: Header=BB59_8 Depth=1
	v_dual_mov_b32 v11, v3 :: v_dual_mov_b32 v10, v2
	v_dual_mov_b32 v9, v5 :: v_dual_mov_b32 v8, v4
	s_mov_b32 s27, 2
	s_and_b32 vcc_lo, exec_lo, s25
	s_cbranch_vccz .LBB59_28
.LBB59_34:                              ;   in Loop: Header=BB59_8 Depth=1
	s_and_saveexec_b32 s27, s3
	s_cbranch_execz .LBB59_37
; %bb.35:                               ;   in Loop: Header=BB59_8 Depth=1
	s_add_i32 s24, s13, s7
	s_delay_alu instid0(SALU_CYCLE_1) | instskip(NEXT) | instid1(SALU_CYCLE_1)
	s_ashr_i32 s25, s24, 31
	s_lshl_b64 s[24:25], s[24:25], 2
	s_delay_alu instid0(SALU_CYCLE_1)
	s_add_u32 s24, s10, s24
	s_addc_u32 s25, s11, s25
	global_load_b32 v8, v1, s[24:25] glc
	s_waitcnt vmcnt(0)
	v_cmp_ne_u32_e32 vcc_lo, 0, v8
	s_cbranch_vccnz .LBB59_37
.LBB59_36:                              ;   Parent Loop BB59_8 Depth=1
                                        ; =>  This Inner Loop Header: Depth=2
	global_load_b32 v8, v1, s[24:25] glc
	s_waitcnt vmcnt(0)
	v_cmp_eq_u32_e32 vcc_lo, 0, v8
	s_cbranch_vccnz .LBB59_36
.LBB59_37:                              ;   in Loop: Header=BB59_8 Depth=1
	s_or_b32 exec_lo, exec_lo, s27
	v_mov_b32_e32 v10, 0
	v_mov_b32_e32 v11, 0
	s_waitcnt_vscnt null, 0x0
	s_barrier
	buffer_gl0_inv
	buffer_gl1_inv
	buffer_gl0_inv
	s_and_saveexec_b32 s24, s2
	s_cbranch_execz .LBB59_39
; %bb.38:                               ;   in Loop: Header=BB59_8 Depth=1
	s_mul_i32 s25, s13, s9
	s_mul_hi_u32 s27, s13, s8
	s_ashr_i32 s28, s13, 31
	s_add_i32 s25, s27, s25
	s_mul_i32 s28, s28, s8
	s_delay_alu instid0(SALU_CYCLE_1) | instskip(SKIP_1) | instid1(SALU_CYCLE_1)
	s_add_i32 s29, s25, s28
	s_mul_i32 s28, s13, s8
	s_lshl_b64 s[28:29], s[28:29], 3
	s_delay_alu instid0(SALU_CYCLE_1)
	v_add_co_u32 v8, vcc_lo, v12, s28
	v_add_co_ci_u32_e32 v9, vcc_lo, s29, v13, vcc_lo
	global_load_b64 v[8:9], v[8:9], off
	s_waitcnt vmcnt(0)
	v_fma_f64 v[10:11], -v[6:7], v[8:9], v[2:3]
.LBB59_39:                              ;   in Loop: Header=BB59_8 Depth=1
	s_or_b32 exec_lo, exec_lo, s24
	v_dual_mov_b32 v9, v5 :: v_dual_mov_b32 v8, v4
	s_mov_b32 s27, 0
	s_branch .LBB59_29
.LBB59_40:                              ;   in Loop: Header=BB59_8 Depth=1
	v_div_scale_f64 v[8:9], null, v[6:7], v[6:7], 1.0
	v_div_scale_f64 v[22:23], vcc_lo, 1.0, v[6:7], 1.0
	s_mov_b32 s27, 2
	s_delay_alu instid0(VALU_DEP_2) | instskip(SKIP_2) | instid1(VALU_DEP_1)
	v_rcp_f64_e32 v[10:11], v[8:9]
	s_waitcnt_depctr 0xfff
	v_fma_f64 v[20:21], -v[8:9], v[10:11], 1.0
	v_fma_f64 v[10:11], v[10:11], v[20:21], v[10:11]
	s_delay_alu instid0(VALU_DEP_1) | instskip(NEXT) | instid1(VALU_DEP_1)
	v_fma_f64 v[20:21], -v[8:9], v[10:11], 1.0
	v_fma_f64 v[10:11], v[10:11], v[20:21], v[10:11]
	s_delay_alu instid0(VALU_DEP_1) | instskip(NEXT) | instid1(VALU_DEP_1)
	v_mul_f64 v[20:21], v[22:23], v[10:11]
	v_fma_f64 v[8:9], -v[8:9], v[20:21], v[22:23]
	s_delay_alu instid0(VALU_DEP_1) | instskip(SKIP_1) | instid1(VALU_DEP_2)
	v_div_fmas_f64 v[8:9], v[8:9], v[10:11], v[20:21]
	v_dual_mov_b32 v11, v3 :: v_dual_mov_b32 v10, v2
	v_div_fixup_f64 v[6:7], v[8:9], v[6:7], 1.0
	s_delay_alu instid0(VALU_DEP_1) | instskip(NEXT) | instid1(VALU_DEP_2)
	v_cndmask_b32_e64 v9, v5, v7, s1
	v_cndmask_b32_e64 v8, v4, v6, s1
	s_cmp_gt_i32 s27, 3
	s_mov_b32 s13, -1
	s_cbranch_scc0 .LBB59_30
.LBB59_41:                              ;   in Loop: Header=BB59_8 Depth=1
	s_branch .LBB59_6
.LBB59_42:                              ;   in Loop: Header=BB59_8 Depth=1
                                        ; implicit-def: $sgpr22_sgpr23
	s_branch .LBB59_7
.LBB59_43:
	v_dual_mov_b32 v11, v3 :: v_dual_mov_b32 v10, v2
.LBB59_44:
	s_and_saveexec_b32 s0, s2
	s_cbranch_execz .LBB59_46
; %bb.45:
	s_delay_alu instid0(VALU_DEP_1) | instskip(SKIP_3) | instid1(VALU_DEP_1)
	v_mul_f64 v[1:2], v[8:9], v[10:11]
	s_cmp_eq_u32 s6, 0
	s_cselect_b32 vcc_lo, -1, 0
	s_lshl_b64 s[2:3], s[18:19], 3
	v_dual_cndmask_b32 v2, v11, v2 :: v_dual_cndmask_b32 v1, v10, v1
	v_add_co_u32 v3, vcc_lo, v12, s2
	v_add_co_ci_u32_e32 v4, vcc_lo, s3, v13, vcc_lo
	global_store_b64 v[3:4], v[1:2], off
.LBB59_46:
	s_or_b32 exec_lo, exec_lo, s0
	s_waitcnt_vscnt null, 0x0
	buffer_gl1_inv
	buffer_gl0_inv
	s_barrier
	buffer_gl0_inv
	s_mov_b32 s0, exec_lo
	v_cmpx_eq_u32_e32 0, v0
	s_cbranch_execz .LBB59_48
; %bb.47:
	s_add_i32 s0, s16, s7
	v_dual_mov_b32 v0, 0 :: v_dual_mov_b32 v1, 1
	s_ashr_i32 s1, s0, 31
	s_delay_alu instid0(SALU_CYCLE_1) | instskip(NEXT) | instid1(SALU_CYCLE_1)
	s_lshl_b64 s[0:1], s[0:1], 2
	s_add_u32 s0, s10, s0
	s_addc_u32 s1, s11, s1
	global_store_b32 v0, v1, s[0:1]
.LBB59_48:
	s_nop 0
	s_sendmsg sendmsg(MSG_DEALLOC_VGPRS)
	s_endpgm
	.section	.rodata,"a",@progbits
	.p2align	6, 0x0
	.amdhsa_kernel _ZN9rocsparseL5csrsmILj256ELj64ELb0ElidEEv20rocsparse_operation_T3_S2_NS_24const_host_device_scalarIT4_EEPKT2_PKS2_PKS4_PS4_lPiSA_PS2_21rocsparse_index_base_20rocsparse_fill_mode_20rocsparse_diag_type_b
		.amdhsa_group_segment_fixed_size 3072
		.amdhsa_private_segment_fixed_size 0
		.amdhsa_kernarg_size 104
		.amdhsa_user_sgpr_count 15
		.amdhsa_user_sgpr_dispatch_ptr 0
		.amdhsa_user_sgpr_queue_ptr 0
		.amdhsa_user_sgpr_kernarg_segment_ptr 1
		.amdhsa_user_sgpr_dispatch_id 0
		.amdhsa_user_sgpr_private_segment_size 0
		.amdhsa_wavefront_size32 1
		.amdhsa_uses_dynamic_stack 0
		.amdhsa_enable_private_segment 0
		.amdhsa_system_sgpr_workgroup_id_x 1
		.amdhsa_system_sgpr_workgroup_id_y 0
		.amdhsa_system_sgpr_workgroup_id_z 0
		.amdhsa_system_sgpr_workgroup_info 0
		.amdhsa_system_vgpr_workitem_id 0
		.amdhsa_next_free_vgpr 24
		.amdhsa_next_free_sgpr 30
		.amdhsa_reserve_vcc 1
		.amdhsa_float_round_mode_32 0
		.amdhsa_float_round_mode_16_64 0
		.amdhsa_float_denorm_mode_32 3
		.amdhsa_float_denorm_mode_16_64 3
		.amdhsa_dx10_clamp 1
		.amdhsa_ieee_mode 1
		.amdhsa_fp16_overflow 0
		.amdhsa_workgroup_processor_mode 1
		.amdhsa_memory_ordered 1
		.amdhsa_forward_progress 0
		.amdhsa_shared_vgpr_count 0
		.amdhsa_exception_fp_ieee_invalid_op 0
		.amdhsa_exception_fp_denorm_src 0
		.amdhsa_exception_fp_ieee_div_zero 0
		.amdhsa_exception_fp_ieee_overflow 0
		.amdhsa_exception_fp_ieee_underflow 0
		.amdhsa_exception_fp_ieee_inexact 0
		.amdhsa_exception_int_div_zero 0
	.end_amdhsa_kernel
	.section	.text._ZN9rocsparseL5csrsmILj256ELj64ELb0ElidEEv20rocsparse_operation_T3_S2_NS_24const_host_device_scalarIT4_EEPKT2_PKS2_PKS4_PS4_lPiSA_PS2_21rocsparse_index_base_20rocsparse_fill_mode_20rocsparse_diag_type_b,"axG",@progbits,_ZN9rocsparseL5csrsmILj256ELj64ELb0ElidEEv20rocsparse_operation_T3_S2_NS_24const_host_device_scalarIT4_EEPKT2_PKS2_PKS4_PS4_lPiSA_PS2_21rocsparse_index_base_20rocsparse_fill_mode_20rocsparse_diag_type_b,comdat
.Lfunc_end59:
	.size	_ZN9rocsparseL5csrsmILj256ELj64ELb0ElidEEv20rocsparse_operation_T3_S2_NS_24const_host_device_scalarIT4_EEPKT2_PKS2_PKS4_PS4_lPiSA_PS2_21rocsparse_index_base_20rocsparse_fill_mode_20rocsparse_diag_type_b, .Lfunc_end59-_ZN9rocsparseL5csrsmILj256ELj64ELb0ElidEEv20rocsparse_operation_T3_S2_NS_24const_host_device_scalarIT4_EEPKT2_PKS2_PKS4_PS4_lPiSA_PS2_21rocsparse_index_base_20rocsparse_fill_mode_20rocsparse_diag_type_b
                                        ; -- End function
	.section	.AMDGPU.csdata,"",@progbits
; Kernel info:
; codeLenInByte = 1880
; NumSgprs: 32
; NumVgprs: 24
; ScratchSize: 0
; MemoryBound: 0
; FloatMode: 240
; IeeeMode: 1
; LDSByteSize: 3072 bytes/workgroup (compile time only)
; SGPRBlocks: 3
; VGPRBlocks: 2
; NumSGPRsForWavesPerEU: 32
; NumVGPRsForWavesPerEU: 24
; Occupancy: 16
; WaveLimiterHint : 1
; COMPUTE_PGM_RSRC2:SCRATCH_EN: 0
; COMPUTE_PGM_RSRC2:USER_SGPR: 15
; COMPUTE_PGM_RSRC2:TRAP_HANDLER: 0
; COMPUTE_PGM_RSRC2:TGID_X_EN: 1
; COMPUTE_PGM_RSRC2:TGID_Y_EN: 0
; COMPUTE_PGM_RSRC2:TGID_Z_EN: 0
; COMPUTE_PGM_RSRC2:TIDIG_COMP_CNT: 0
	.section	.text._ZN9rocsparseL5csrsmILj512ELj64ELb1ElidEEv20rocsparse_operation_T3_S2_NS_24const_host_device_scalarIT4_EEPKT2_PKS2_PKS4_PS4_lPiSA_PS2_21rocsparse_index_base_20rocsparse_fill_mode_20rocsparse_diag_type_b,"axG",@progbits,_ZN9rocsparseL5csrsmILj512ELj64ELb1ElidEEv20rocsparse_operation_T3_S2_NS_24const_host_device_scalarIT4_EEPKT2_PKS2_PKS4_PS4_lPiSA_PS2_21rocsparse_index_base_20rocsparse_fill_mode_20rocsparse_diag_type_b,comdat
	.globl	_ZN9rocsparseL5csrsmILj512ELj64ELb1ElidEEv20rocsparse_operation_T3_S2_NS_24const_host_device_scalarIT4_EEPKT2_PKS2_PKS4_PS4_lPiSA_PS2_21rocsparse_index_base_20rocsparse_fill_mode_20rocsparse_diag_type_b ; -- Begin function _ZN9rocsparseL5csrsmILj512ELj64ELb1ElidEEv20rocsparse_operation_T3_S2_NS_24const_host_device_scalarIT4_EEPKT2_PKS2_PKS4_PS4_lPiSA_PS2_21rocsparse_index_base_20rocsparse_fill_mode_20rocsparse_diag_type_b
	.p2align	8
	.type	_ZN9rocsparseL5csrsmILj512ELj64ELb1ElidEEv20rocsparse_operation_T3_S2_NS_24const_host_device_scalarIT4_EEPKT2_PKS2_PKS4_PS4_lPiSA_PS2_21rocsparse_index_base_20rocsparse_fill_mode_20rocsparse_diag_type_b,@function
_ZN9rocsparseL5csrsmILj512ELj64ELb1ElidEEv20rocsparse_operation_T3_S2_NS_24const_host_device_scalarIT4_EEPKT2_PKS2_PKS4_PS4_lPiSA_PS2_21rocsparse_index_base_20rocsparse_fill_mode_20rocsparse_diag_type_b: ; @_ZN9rocsparseL5csrsmILj512ELj64ELb1ElidEEv20rocsparse_operation_T3_S2_NS_24const_host_device_scalarIT4_EEPKT2_PKS2_PKS4_PS4_lPiSA_PS2_21rocsparse_index_base_20rocsparse_fill_mode_20rocsparse_diag_type_b
; %bb.0:
	s_clause 0x3
	s_load_b128 s[4:7], s[0:1], 0x58
	s_load_b128 s[16:19], s[0:1], 0x10
	s_load_b64 s[2:3], s[0:1], 0x48
	s_load_b64 s[20:21], s[0:1], 0x30
	s_waitcnt lgkmcnt(0)
	s_bitcmp1_b32 s7, 0
	v_dual_mov_b32 v4, s16 :: v_dual_mov_b32 v5, s17
	s_cselect_b32 s7, -1, 0
	s_delay_alu instid0(SALU_CYCLE_1)
	s_and_b32 vcc_lo, exec_lo, s7
	s_cbranch_vccnz .LBB60_2
; %bb.1:
	v_dual_mov_b32 v1, s16 :: v_dual_mov_b32 v2, s17
	flat_load_b64 v[4:5], v[1:2]
.LBB60_2:
	s_load_b64 s[22:23], s[0:1], 0x4
	v_mov_b32_e32 v2, 0
	v_mov_b32_e32 v3, 0
	s_waitcnt lgkmcnt(0)
	v_cvt_f32_u32_e32 v1, s22
	s_sub_i32 s8, 0, s22
	s_delay_alu instid0(VALU_DEP_1) | instskip(SKIP_2) | instid1(VALU_DEP_1)
	v_rcp_iflag_f32_e32 v1, v1
	s_waitcnt_depctr 0xfff
	v_mul_f32_e32 v1, 0x4f7ffffe, v1
	v_cvt_u32_f32_e32 v1, v1
	s_delay_alu instid0(VALU_DEP_1) | instskip(NEXT) | instid1(VALU_DEP_1)
	v_readfirstlane_b32 s7, v1
	s_mul_i32 s8, s8, s7
	s_delay_alu instid0(SALU_CYCLE_1) | instskip(NEXT) | instid1(SALU_CYCLE_1)
	s_mul_hi_u32 s8, s7, s8
	s_add_i32 s7, s7, s8
	s_delay_alu instid0(SALU_CYCLE_1) | instskip(NEXT) | instid1(SALU_CYCLE_1)
	s_mul_hi_u32 s7, s15, s7
	s_mul_i32 s8, s7, s22
	s_add_i32 s9, s7, 1
	s_sub_i32 s8, s15, s8
	s_delay_alu instid0(SALU_CYCLE_1)
	s_sub_i32 s10, s8, s22
	s_cmp_ge_u32 s8, s22
	s_cselect_b32 s7, s9, s7
	s_cselect_b32 s8, s10, s8
	s_add_i32 s9, s7, 1
	s_cmp_ge_u32 s8, s22
	s_cselect_b32 s24, s9, s7
	s_delay_alu instid0(SALU_CYCLE_1) | instskip(SKIP_2) | instid1(SALU_CYCLE_1)
	s_mul_i32 s7, s24, s22
	v_lshl_or_b32 v6, s24, 9, v0
	s_sub_i32 s8, s15, s7
	s_ashr_i32 s9, s8, 31
	s_delay_alu instid0(VALU_DEP_1) | instskip(SKIP_1) | instid1(SALU_CYCLE_1)
	v_ashrrev_i32_e32 v7, 31, v6
	s_lshl_b64 s[8:9], s[8:9], 2
	s_add_u32 s2, s2, s8
	s_addc_u32 s3, s3, s9
	s_load_b32 s16, s[2:3], 0x0
	s_load_b128 s[8:11], s[0:1], 0x38
	s_waitcnt lgkmcnt(0)
	s_ashr_i32 s17, s16, 31
	s_delay_alu instid0(SALU_CYCLE_1)
	s_lshl_b64 s[2:3], s[16:17], 3
	s_mul_i32 s17, s17, s8
	s_add_u32 s2, s18, s2
	s_addc_u32 s3, s19, s3
	s_mul_i32 s18, s16, s8
	s_load_b128 s[12:15], s[2:3], 0x0
	s_mul_i32 s2, s16, s9
	s_mul_hi_u32 s3, s16, s8
	s_delay_alu instid0(SALU_CYCLE_1) | instskip(SKIP_2) | instid1(VALU_DEP_1)
	s_add_i32 s3, s3, s2
	v_cmp_gt_i32_e64 s2, s23, v6
	s_add_i32 s19, s3, s17
	s_and_saveexec_b32 s3, s2
	s_cbranch_execz .LBB60_4
; %bb.3:
	v_add_co_u32 v1, vcc_lo, s18, v6
	v_add_co_ci_u32_e32 v2, vcc_lo, s19, v7, vcc_lo
	s_delay_alu instid0(VALU_DEP_1) | instskip(NEXT) | instid1(VALU_DEP_1)
	v_lshlrev_b64 v[1:2], 3, v[1:2]
	v_add_co_u32 v1, vcc_lo, s20, v1
	s_delay_alu instid0(VALU_DEP_2)
	v_add_co_ci_u32_e32 v2, vcc_lo, s21, v2, vcc_lo
	global_load_b64 v[1:2], v[1:2], off
	s_waitcnt vmcnt(0)
	v_mul_f64 v[2:3], v[4:5], v[1:2]
.LBB60_4:
	s_or_b32 exec_lo, exec_lo, s3
	s_waitcnt vmcnt(0)
	v_lshlrev_b64 v[4:5], 3, v[6:7]
	s_waitcnt lgkmcnt(0)
	v_cmp_ge_i64_e64 s3, s[12:13], s[14:15]
	v_mov_b32_e32 v8, 0
	v_mov_b32_e32 v9, 0x3ff00000
	s_delay_alu instid0(VALU_DEP_4)
	v_add_co_u32 v12, vcc_lo, s20, v4
	v_add_co_ci_u32_e32 v13, vcc_lo, s21, v5, vcc_lo
	s_and_b32 vcc_lo, exec_lo, s3
	v_cmp_eq_u32_e64 s3, 0, v0
	s_cbranch_vccnz .LBB60_46
; %bb.5:
	s_clause 0x1
	s_load_b128 s[24:27], s[0:1], 0x20
	s_load_b64 s[20:21], s[0:1], 0x50
	v_dual_mov_b32 v1, 0 :: v_dual_lshlrev_b32 v4, 2, v0
	v_lshlrev_b32_e32 v14, 3, v0
	s_sub_u32 s12, s12, s4
	s_subb_u32 s13, s13, 0
	s_sub_u32 s14, s14, s4
	s_subb_u32 s15, s15, 0
	v_or_b32_e32 v15, 0x1000, v4
	s_cmp_lg_u32 s6, 0
	v_cmp_ne_u32_e64 s0, 0, v0
	s_cselect_b32 s17, -1, 0
	s_mov_b64 s[22:23], s[12:13]
	s_waitcnt lgkmcnt(0)
	v_add_co_u32 v16, s1, s24, v4
	v_mov_b32_e32 v4, 0
	v_mov_b32_e32 v5, 0x3ff00000
	v_add_co_ci_u32_e64 v17, null, s25, 0, s1
	v_add_co_u32 v18, s1, s26, v14
	s_delay_alu instid0(VALU_DEP_1)
	v_add_co_ci_u32_e64 v19, null, s27, 0, s1
	s_add_i32 s26, s16, s4
	s_cmp_eq_u32 s6, 0
	s_cselect_b32 s1, -1, 0
	s_branch .LBB60_8
.LBB60_6:                               ;   in Loop: Header=BB60_8 Depth=1
	s_add_u32 s22, s22, 1
	s_addc_u32 s23, s23, 0
	s_delay_alu instid0(SALU_CYCLE_1)
	v_cmp_ge_i64_e64 s13, s[22:23], s[14:15]
.LBB60_7:                               ;   in Loop: Header=BB60_8 Depth=1
	s_delay_alu instid0(VALU_DEP_2) | instskip(SKIP_1) | instid1(VALU_DEP_3)
	v_dual_mov_b32 v2, v10 :: v_dual_mov_b32 v3, v11
	v_dual_mov_b32 v4, v8 :: v_dual_mov_b32 v5, v9
	s_and_not1_b32 vcc_lo, exec_lo, s13
	s_cbranch_vccz .LBB60_47
.LBB60_8:                               ; =>This Loop Header: Depth=1
                                        ;     Child Loop BB60_44 Depth 2
                                        ;       Child Loop BB60_45 Depth 3
	s_sub_i32 s13, s22, s12
	s_delay_alu instid0(SALU_CYCLE_1) | instskip(NEXT) | instid1(SALU_CYCLE_1)
	s_and_b32 s13, s13, 0x1ff
	s_cmp_lg_u32 s13, 0
	s_cbranch_scc1 .LBB60_12
; %bb.9:                                ;   in Loop: Header=BB60_8 Depth=1
	s_sub_u32 s24, s14, s22
	s_subb_u32 s25, s15, s23
	v_mov_b32_e32 v6, 0
	v_cmp_gt_i64_e32 vcc_lo, s[24:25], v[0:1]
	v_dual_mov_b32 v7, 0xbff00000 :: v_dual_mov_b32 v8, -1
	s_and_saveexec_b32 s24, vcc_lo
	s_cbranch_execz .LBB60_11
; %bb.10:                               ;   in Loop: Header=BB60_8 Depth=1
	s_lshl_b64 s[28:29], s[22:23], 2
	s_delay_alu instid0(SALU_CYCLE_1)
	v_add_co_u32 v6, vcc_lo, v16, s28
	v_add_co_ci_u32_e32 v7, vcc_lo, s29, v17, vcc_lo
	s_lshl_b64 s[28:29], s[22:23], 3
	global_load_b32 v8, v[6:7], off
	v_add_co_u32 v6, vcc_lo, v18, s28
	v_add_co_ci_u32_e32 v7, vcc_lo, s29, v19, vcc_lo
	global_load_b64 v[6:7], v[6:7], off
	s_waitcnt vmcnt(1)
	v_subrev_nc_u32_e32 v8, s4, v8
.LBB60_11:                              ;   in Loop: Header=BB60_8 Depth=1
	s_or_b32 exec_lo, exec_lo, s24
	ds_store_b32 v15, v8
	s_waitcnt vmcnt(0)
	ds_store_b64 v14, v[6:7]
.LBB60_12:                              ;   in Loop: Header=BB60_8 Depth=1
	s_lshl_b32 s24, s13, 3
	s_waitcnt lgkmcnt(0)
	v_mov_b32_e32 v6, s24
	s_waitcnt_vscnt null, 0x0
	s_barrier
	buffer_gl0_inv
	s_lshl_b32 s13, s13, 2
	s_delay_alu instid0(SALU_CYCLE_1)
	v_mov_b32_e32 v8, s13
	ds_load_b64 v[6:7], v6
	ds_load_b32 v8, v8 offset:4096
	s_waitcnt lgkmcnt(1)
	v_cmp_neq_f64_e32 vcc_lo, 0, v[6:7]
	s_waitcnt lgkmcnt(0)
	v_readfirstlane_b32 s13, v8
	s_delay_alu instid0(VALU_DEP_1) | instskip(SKIP_1) | instid1(SALU_CYCLE_1)
	s_cmp_lg_u32 s13, s16
	s_cselect_b32 s24, -1, 0
	s_or_b32 s24, s17, s24
	s_delay_alu instid0(SALU_CYCLE_1) | instskip(SKIP_3) | instid1(SALU_CYCLE_1)
	s_or_b32 vcc_lo, vcc_lo, s24
	v_cndmask_b32_e32 v7, 0x3ff00000, v7, vcc_lo
	v_cndmask_b32_e32 v6, 0, v6, vcc_lo
	s_or_b32 s24, s0, vcc_lo
	s_xor_b32 s25, s24, -1
	s_delay_alu instid0(SALU_CYCLE_1)
	s_and_saveexec_b32 s24, s25
	s_cbranch_execz .LBB60_16
; %bb.13:                               ;   in Loop: Header=BB60_8 Depth=1
	v_mbcnt_lo_u32_b32 v6, exec_lo, 0
	s_mov_b32 s25, exec_lo
	s_delay_alu instid0(VALU_DEP_1)
	v_cmpx_eq_u32_e32 0, v6
	s_cbranch_execz .LBB60_15
; %bb.14:                               ;   in Loop: Header=BB60_8 Depth=1
	v_mov_b32_e32 v6, s26
	global_atomic_min_i32 v1, v6, s[20:21]
.LBB60_15:                              ;   in Loop: Header=BB60_8 Depth=1
	s_or_b32 exec_lo, exec_lo, s25
	v_mov_b32_e32 v6, 0
	v_mov_b32_e32 v7, 0x3ff00000
.LBB60_16:                              ;   in Loop: Header=BB60_8 Depth=1
	s_or_b32 exec_lo, exec_lo, s24
	s_cmp_lt_i32 s5, 1
	s_mov_b32 s24, 0
	s_cbranch_scc1 .LBB60_21
; %bb.17:                               ;   in Loop: Header=BB60_8 Depth=1
	s_cmp_eq_u32 s5, 1
	s_cbranch_scc0 .LBB60_22
; %bb.18:                               ;   in Loop: Header=BB60_8 Depth=1
	v_dual_mov_b32 v9, v5 :: v_dual_mov_b32 v8, v4
	s_cmp_ge_i32 s13, s16
	s_mov_b32 s25, 0
	s_cbranch_scc0 .LBB60_24
; %bb.19:                               ;   in Loop: Header=BB60_8 Depth=1
	s_cmp_eq_u32 s13, s16
	s_cbranch_scc0 .LBB60_23
; %bb.20:                               ;   in Loop: Header=BB60_8 Depth=1
	v_div_scale_f64 v[8:9], null, v[6:7], v[6:7], 1.0
	v_div_scale_f64 v[22:23], vcc_lo, 1.0, v[6:7], 1.0
	s_delay_alu instid0(VALU_DEP_2) | instskip(SKIP_2) | instid1(VALU_DEP_1)
	v_rcp_f64_e32 v[10:11], v[8:9]
	s_waitcnt_depctr 0xfff
	v_fma_f64 v[20:21], -v[8:9], v[10:11], 1.0
	v_fma_f64 v[10:11], v[10:11], v[20:21], v[10:11]
	s_delay_alu instid0(VALU_DEP_1) | instskip(NEXT) | instid1(VALU_DEP_1)
	v_fma_f64 v[20:21], -v[8:9], v[10:11], 1.0
	v_fma_f64 v[10:11], v[10:11], v[20:21], v[10:11]
	s_delay_alu instid0(VALU_DEP_1) | instskip(NEXT) | instid1(VALU_DEP_1)
	v_mul_f64 v[20:21], v[22:23], v[10:11]
	v_fma_f64 v[8:9], -v[8:9], v[20:21], v[22:23]
	s_delay_alu instid0(VALU_DEP_1) | instskip(NEXT) | instid1(VALU_DEP_1)
	v_div_fmas_f64 v[8:9], v[8:9], v[10:11], v[20:21]
	v_div_fixup_f64 v[8:9], v[8:9], v[6:7], 1.0
	s_delay_alu instid0(VALU_DEP_1) | instskip(NEXT) | instid1(VALU_DEP_2)
	v_cndmask_b32_e64 v9, v5, v9, s1
	v_cndmask_b32_e64 v8, v4, v8, s1
	s_branch .LBB60_24
.LBB60_21:                              ;   in Loop: Header=BB60_8 Depth=1
	s_mov_b32 s25, 0
                                        ; implicit-def: $vgpr10_vgpr11
                                        ; implicit-def: $vgpr8_vgpr9
                                        ; implicit-def: $sgpr27
	s_cbranch_execnz .LBB60_25
	s_branch .LBB60_27
.LBB60_22:                              ;   in Loop: Header=BB60_8 Depth=1
	s_mov_b32 s25, -1
                                        ; implicit-def: $vgpr10_vgpr11
                                        ; implicit-def: $vgpr8_vgpr9
                                        ; implicit-def: $sgpr27
	s_branch .LBB60_27
.LBB60_23:                              ;   in Loop: Header=BB60_8 Depth=1
	s_mov_b32 s25, -1
                                        ; implicit-def: $vgpr8_vgpr9
.LBB60_24:                              ;   in Loop: Header=BB60_8 Depth=1
	v_dual_mov_b32 v11, v3 :: v_dual_mov_b32 v10, v2
	s_mov_b32 s27, 4
	s_branch .LBB60_27
.LBB60_25:                              ;   in Loop: Header=BB60_8 Depth=1
	s_cmp_eq_u32 s5, 0
	s_cbranch_scc1 .LBB60_31
; %bb.26:                               ;   in Loop: Header=BB60_8 Depth=1
	s_mov_b32 s25, -1
                                        ; implicit-def: $vgpr10_vgpr11
                                        ; implicit-def: $vgpr8_vgpr9
                                        ; implicit-def: $sgpr27
.LBB60_27:                              ;   in Loop: Header=BB60_8 Depth=1
	s_delay_alu instid0(SALU_CYCLE_1)
	s_and_b32 vcc_lo, exec_lo, s25
	s_cbranch_vccnz .LBB60_34
.LBB60_28:                              ;   in Loop: Header=BB60_8 Depth=1
	s_and_b32 vcc_lo, exec_lo, s24
	s_cbranch_vccnz .LBB60_39
.LBB60_29:                              ;   in Loop: Header=BB60_8 Depth=1
	s_cmp_gt_i32 s27, 3
	s_mov_b32 s13, -1
	s_cbranch_scc1 .LBB60_40
.LBB60_30:                              ;   in Loop: Header=BB60_8 Depth=1
	s_cmp_eq_u32 s27, 0
	s_cselect_b32 s24, -1, 0
	s_delay_alu instid0(SALU_CYCLE_1)
	s_and_not1_b32 vcc_lo, exec_lo, s24
	s_cbranch_vccz .LBB60_6
	s_branch .LBB60_41
.LBB60_31:                              ;   in Loop: Header=BB60_8 Depth=1
	s_cmp_le_i32 s13, s16
	s_mov_b32 s25, 0
	s_cbranch_scc0 .LBB60_33
; %bb.32:                               ;   in Loop: Header=BB60_8 Depth=1
	s_cmp_lg_u32 s13, s16
	s_mov_b32 s24, -1
	s_cselect_b32 s25, -1, 0
.LBB60_33:                              ;   in Loop: Header=BB60_8 Depth=1
	v_dual_mov_b32 v11, v3 :: v_dual_mov_b32 v10, v2
	v_dual_mov_b32 v9, v5 :: v_dual_mov_b32 v8, v4
	s_mov_b32 s27, 2
	s_and_b32 vcc_lo, exec_lo, s25
	s_cbranch_vccz .LBB60_28
.LBB60_34:                              ;   in Loop: Header=BB60_8 Depth=1
	s_and_saveexec_b32 s27, s3
	s_cbranch_execz .LBB60_36
; %bb.35:                               ;   in Loop: Header=BB60_8 Depth=1
	s_add_i32 s24, s13, s7
	s_delay_alu instid0(SALU_CYCLE_1) | instskip(NEXT) | instid1(SALU_CYCLE_1)
	s_ashr_i32 s25, s24, 31
	s_lshl_b64 s[24:25], s[24:25], 2
	s_delay_alu instid0(SALU_CYCLE_1)
	s_add_u32 s24, s10, s24
	s_addc_u32 s25, s11, s25
	global_load_b32 v8, v1, s[24:25] glc
	s_waitcnt vmcnt(0)
	v_cmp_ne_u32_e32 vcc_lo, 0, v8
	s_cbranch_vccz .LBB60_42
.LBB60_36:                              ;   in Loop: Header=BB60_8 Depth=1
	s_or_b32 exec_lo, exec_lo, s27
	v_mov_b32_e32 v10, 0
	v_mov_b32_e32 v11, 0
	s_waitcnt_vscnt null, 0x0
	s_barrier
	buffer_gl0_inv
	buffer_gl1_inv
	buffer_gl0_inv
	s_and_saveexec_b32 s24, s2
	s_cbranch_execz .LBB60_38
; %bb.37:                               ;   in Loop: Header=BB60_8 Depth=1
	s_mul_i32 s25, s13, s9
	s_mul_hi_u32 s27, s13, s8
	s_ashr_i32 s28, s13, 31
	s_add_i32 s25, s27, s25
	s_mul_i32 s28, s28, s8
	s_delay_alu instid0(SALU_CYCLE_1) | instskip(SKIP_1) | instid1(SALU_CYCLE_1)
	s_add_i32 s29, s25, s28
	s_mul_i32 s28, s13, s8
	s_lshl_b64 s[28:29], s[28:29], 3
	s_delay_alu instid0(SALU_CYCLE_1)
	v_add_co_u32 v8, vcc_lo, v12, s28
	v_add_co_ci_u32_e32 v9, vcc_lo, s29, v13, vcc_lo
	global_load_b64 v[8:9], v[8:9], off
	s_waitcnt vmcnt(0)
	v_fma_f64 v[10:11], -v[6:7], v[8:9], v[2:3]
.LBB60_38:                              ;   in Loop: Header=BB60_8 Depth=1
	s_or_b32 exec_lo, exec_lo, s24
	v_dual_mov_b32 v9, v5 :: v_dual_mov_b32 v8, v4
	s_mov_b32 s27, 0
	s_branch .LBB60_29
.LBB60_39:                              ;   in Loop: Header=BB60_8 Depth=1
	v_div_scale_f64 v[8:9], null, v[6:7], v[6:7], 1.0
	v_div_scale_f64 v[22:23], vcc_lo, 1.0, v[6:7], 1.0
	s_mov_b32 s27, 2
	s_delay_alu instid0(VALU_DEP_2) | instskip(SKIP_2) | instid1(VALU_DEP_1)
	v_rcp_f64_e32 v[10:11], v[8:9]
	s_waitcnt_depctr 0xfff
	v_fma_f64 v[20:21], -v[8:9], v[10:11], 1.0
	v_fma_f64 v[10:11], v[10:11], v[20:21], v[10:11]
	s_delay_alu instid0(VALU_DEP_1) | instskip(NEXT) | instid1(VALU_DEP_1)
	v_fma_f64 v[20:21], -v[8:9], v[10:11], 1.0
	v_fma_f64 v[10:11], v[10:11], v[20:21], v[10:11]
	s_delay_alu instid0(VALU_DEP_1) | instskip(NEXT) | instid1(VALU_DEP_1)
	v_mul_f64 v[20:21], v[22:23], v[10:11]
	v_fma_f64 v[8:9], -v[8:9], v[20:21], v[22:23]
	s_delay_alu instid0(VALU_DEP_1) | instskip(SKIP_1) | instid1(VALU_DEP_2)
	v_div_fmas_f64 v[8:9], v[8:9], v[10:11], v[20:21]
	v_dual_mov_b32 v11, v3 :: v_dual_mov_b32 v10, v2
	v_div_fixup_f64 v[6:7], v[8:9], v[6:7], 1.0
	s_delay_alu instid0(VALU_DEP_1) | instskip(NEXT) | instid1(VALU_DEP_2)
	v_cndmask_b32_e64 v9, v5, v7, s1
	v_cndmask_b32_e64 v8, v4, v6, s1
	s_cmp_gt_i32 s27, 3
	s_mov_b32 s13, -1
	s_cbranch_scc0 .LBB60_30
.LBB60_40:                              ;   in Loop: Header=BB60_8 Depth=1
	s_branch .LBB60_6
.LBB60_41:                              ;   in Loop: Header=BB60_8 Depth=1
                                        ; implicit-def: $sgpr22_sgpr23
	s_branch .LBB60_7
.LBB60_42:                              ;   in Loop: Header=BB60_8 Depth=1
	s_mov_b32 s28, 0
	s_branch .LBB60_44
	.p2align	6
.LBB60_43:                              ;   in Loop: Header=BB60_44 Depth=2
	global_load_b32 v8, v1, s[24:25] glc
	s_cmpk_lt_u32 s28, 0xf43
	s_cselect_b32 s29, -1, 0
	s_delay_alu instid0(SALU_CYCLE_1)
	s_cmp_lg_u32 s29, 0
	s_addc_u32 s28, s28, 0
	s_waitcnt vmcnt(0)
	v_cmp_ne_u32_e32 vcc_lo, 0, v8
	s_cbranch_vccnz .LBB60_36
.LBB60_44:                              ;   Parent Loop BB60_8 Depth=1
                                        ; =>  This Loop Header: Depth=2
                                        ;       Child Loop BB60_45 Depth 3
	s_cmp_eq_u32 s28, 0
	s_mov_b32 s29, s28
	s_cbranch_scc1 .LBB60_43
.LBB60_45:                              ;   Parent Loop BB60_8 Depth=1
                                        ;     Parent Loop BB60_44 Depth=2
                                        ; =>    This Inner Loop Header: Depth=3
	s_add_i32 s29, s29, -1
	s_sleep 1
	s_cmp_eq_u32 s29, 0
	s_cbranch_scc0 .LBB60_45
	s_branch .LBB60_43
.LBB60_46:
	v_dual_mov_b32 v11, v3 :: v_dual_mov_b32 v10, v2
.LBB60_47:
	s_and_saveexec_b32 s0, s2
	s_cbranch_execz .LBB60_49
; %bb.48:
	s_delay_alu instid0(VALU_DEP_1) | instskip(SKIP_3) | instid1(VALU_DEP_1)
	v_mul_f64 v[1:2], v[8:9], v[10:11]
	s_cmp_eq_u32 s6, 0
	s_cselect_b32 vcc_lo, -1, 0
	s_lshl_b64 s[2:3], s[18:19], 3
	v_dual_cndmask_b32 v2, v11, v2 :: v_dual_cndmask_b32 v1, v10, v1
	v_add_co_u32 v3, vcc_lo, v12, s2
	v_add_co_ci_u32_e32 v4, vcc_lo, s3, v13, vcc_lo
	global_store_b64 v[3:4], v[1:2], off
.LBB60_49:
	s_or_b32 exec_lo, exec_lo, s0
	s_waitcnt_vscnt null, 0x0
	buffer_gl1_inv
	buffer_gl0_inv
	s_barrier
	buffer_gl0_inv
	s_mov_b32 s0, exec_lo
	v_cmpx_eq_u32_e32 0, v0
	s_cbranch_execz .LBB60_51
; %bb.50:
	s_add_i32 s0, s16, s7
	v_dual_mov_b32 v0, 0 :: v_dual_mov_b32 v1, 1
	s_ashr_i32 s1, s0, 31
	s_delay_alu instid0(SALU_CYCLE_1) | instskip(NEXT) | instid1(SALU_CYCLE_1)
	s_lshl_b64 s[0:1], s[0:1], 2
	s_add_u32 s0, s10, s0
	s_addc_u32 s1, s11, s1
	global_store_b32 v0, v1, s[0:1]
.LBB60_51:
	s_nop 0
	s_sendmsg sendmsg(MSG_DEALLOC_VGPRS)
	s_endpgm
	.section	.rodata,"a",@progbits
	.p2align	6, 0x0
	.amdhsa_kernel _ZN9rocsparseL5csrsmILj512ELj64ELb1ElidEEv20rocsparse_operation_T3_S2_NS_24const_host_device_scalarIT4_EEPKT2_PKS2_PKS4_PS4_lPiSA_PS2_21rocsparse_index_base_20rocsparse_fill_mode_20rocsparse_diag_type_b
		.amdhsa_group_segment_fixed_size 6144
		.amdhsa_private_segment_fixed_size 0
		.amdhsa_kernarg_size 104
		.amdhsa_user_sgpr_count 15
		.amdhsa_user_sgpr_dispatch_ptr 0
		.amdhsa_user_sgpr_queue_ptr 0
		.amdhsa_user_sgpr_kernarg_segment_ptr 1
		.amdhsa_user_sgpr_dispatch_id 0
		.amdhsa_user_sgpr_private_segment_size 0
		.amdhsa_wavefront_size32 1
		.amdhsa_uses_dynamic_stack 0
		.amdhsa_enable_private_segment 0
		.amdhsa_system_sgpr_workgroup_id_x 1
		.amdhsa_system_sgpr_workgroup_id_y 0
		.amdhsa_system_sgpr_workgroup_id_z 0
		.amdhsa_system_sgpr_workgroup_info 0
		.amdhsa_system_vgpr_workitem_id 0
		.amdhsa_next_free_vgpr 24
		.amdhsa_next_free_sgpr 30
		.amdhsa_reserve_vcc 1
		.amdhsa_float_round_mode_32 0
		.amdhsa_float_round_mode_16_64 0
		.amdhsa_float_denorm_mode_32 3
		.amdhsa_float_denorm_mode_16_64 3
		.amdhsa_dx10_clamp 1
		.amdhsa_ieee_mode 1
		.amdhsa_fp16_overflow 0
		.amdhsa_workgroup_processor_mode 1
		.amdhsa_memory_ordered 1
		.amdhsa_forward_progress 0
		.amdhsa_shared_vgpr_count 0
		.amdhsa_exception_fp_ieee_invalid_op 0
		.amdhsa_exception_fp_denorm_src 0
		.amdhsa_exception_fp_ieee_div_zero 0
		.amdhsa_exception_fp_ieee_overflow 0
		.amdhsa_exception_fp_ieee_underflow 0
		.amdhsa_exception_fp_ieee_inexact 0
		.amdhsa_exception_int_div_zero 0
	.end_amdhsa_kernel
	.section	.text._ZN9rocsparseL5csrsmILj512ELj64ELb1ElidEEv20rocsparse_operation_T3_S2_NS_24const_host_device_scalarIT4_EEPKT2_PKS2_PKS4_PS4_lPiSA_PS2_21rocsparse_index_base_20rocsparse_fill_mode_20rocsparse_diag_type_b,"axG",@progbits,_ZN9rocsparseL5csrsmILj512ELj64ELb1ElidEEv20rocsparse_operation_T3_S2_NS_24const_host_device_scalarIT4_EEPKT2_PKS2_PKS4_PS4_lPiSA_PS2_21rocsparse_index_base_20rocsparse_fill_mode_20rocsparse_diag_type_b,comdat
.Lfunc_end60:
	.size	_ZN9rocsparseL5csrsmILj512ELj64ELb1ElidEEv20rocsparse_operation_T3_S2_NS_24const_host_device_scalarIT4_EEPKT2_PKS2_PKS4_PS4_lPiSA_PS2_21rocsparse_index_base_20rocsparse_fill_mode_20rocsparse_diag_type_b, .Lfunc_end60-_ZN9rocsparseL5csrsmILj512ELj64ELb1ElidEEv20rocsparse_operation_T3_S2_NS_24const_host_device_scalarIT4_EEPKT2_PKS2_PKS4_PS4_lPiSA_PS2_21rocsparse_index_base_20rocsparse_fill_mode_20rocsparse_diag_type_b
                                        ; -- End function
	.section	.AMDGPU.csdata,"",@progbits
; Kernel info:
; codeLenInByte = 1940
; NumSgprs: 32
; NumVgprs: 24
; ScratchSize: 0
; MemoryBound: 0
; FloatMode: 240
; IeeeMode: 1
; LDSByteSize: 6144 bytes/workgroup (compile time only)
; SGPRBlocks: 3
; VGPRBlocks: 2
; NumSGPRsForWavesPerEU: 32
; NumVGPRsForWavesPerEU: 24
; Occupancy: 16
; WaveLimiterHint : 1
; COMPUTE_PGM_RSRC2:SCRATCH_EN: 0
; COMPUTE_PGM_RSRC2:USER_SGPR: 15
; COMPUTE_PGM_RSRC2:TRAP_HANDLER: 0
; COMPUTE_PGM_RSRC2:TGID_X_EN: 1
; COMPUTE_PGM_RSRC2:TGID_Y_EN: 0
; COMPUTE_PGM_RSRC2:TGID_Z_EN: 0
; COMPUTE_PGM_RSRC2:TIDIG_COMP_CNT: 0
	.section	.text._ZN9rocsparseL5csrsmILj512ELj64ELb0ElidEEv20rocsparse_operation_T3_S2_NS_24const_host_device_scalarIT4_EEPKT2_PKS2_PKS4_PS4_lPiSA_PS2_21rocsparse_index_base_20rocsparse_fill_mode_20rocsparse_diag_type_b,"axG",@progbits,_ZN9rocsparseL5csrsmILj512ELj64ELb0ElidEEv20rocsparse_operation_T3_S2_NS_24const_host_device_scalarIT4_EEPKT2_PKS2_PKS4_PS4_lPiSA_PS2_21rocsparse_index_base_20rocsparse_fill_mode_20rocsparse_diag_type_b,comdat
	.globl	_ZN9rocsparseL5csrsmILj512ELj64ELb0ElidEEv20rocsparse_operation_T3_S2_NS_24const_host_device_scalarIT4_EEPKT2_PKS2_PKS4_PS4_lPiSA_PS2_21rocsparse_index_base_20rocsparse_fill_mode_20rocsparse_diag_type_b ; -- Begin function _ZN9rocsparseL5csrsmILj512ELj64ELb0ElidEEv20rocsparse_operation_T3_S2_NS_24const_host_device_scalarIT4_EEPKT2_PKS2_PKS4_PS4_lPiSA_PS2_21rocsparse_index_base_20rocsparse_fill_mode_20rocsparse_diag_type_b
	.p2align	8
	.type	_ZN9rocsparseL5csrsmILj512ELj64ELb0ElidEEv20rocsparse_operation_T3_S2_NS_24const_host_device_scalarIT4_EEPKT2_PKS2_PKS4_PS4_lPiSA_PS2_21rocsparse_index_base_20rocsparse_fill_mode_20rocsparse_diag_type_b,@function
_ZN9rocsparseL5csrsmILj512ELj64ELb0ElidEEv20rocsparse_operation_T3_S2_NS_24const_host_device_scalarIT4_EEPKT2_PKS2_PKS4_PS4_lPiSA_PS2_21rocsparse_index_base_20rocsparse_fill_mode_20rocsparse_diag_type_b: ; @_ZN9rocsparseL5csrsmILj512ELj64ELb0ElidEEv20rocsparse_operation_T3_S2_NS_24const_host_device_scalarIT4_EEPKT2_PKS2_PKS4_PS4_lPiSA_PS2_21rocsparse_index_base_20rocsparse_fill_mode_20rocsparse_diag_type_b
; %bb.0:
	s_clause 0x3
	s_load_b128 s[4:7], s[0:1], 0x58
	s_load_b128 s[16:19], s[0:1], 0x10
	s_load_b64 s[2:3], s[0:1], 0x48
	s_load_b64 s[20:21], s[0:1], 0x30
	s_waitcnt lgkmcnt(0)
	s_bitcmp1_b32 s7, 0
	v_dual_mov_b32 v4, s16 :: v_dual_mov_b32 v5, s17
	s_cselect_b32 s7, -1, 0
	s_delay_alu instid0(SALU_CYCLE_1)
	s_and_b32 vcc_lo, exec_lo, s7
	s_cbranch_vccnz .LBB61_2
; %bb.1:
	v_dual_mov_b32 v1, s16 :: v_dual_mov_b32 v2, s17
	flat_load_b64 v[4:5], v[1:2]
.LBB61_2:
	s_load_b64 s[22:23], s[0:1], 0x4
	v_mov_b32_e32 v2, 0
	v_mov_b32_e32 v3, 0
	s_waitcnt lgkmcnt(0)
	v_cvt_f32_u32_e32 v1, s22
	s_sub_i32 s8, 0, s22
	s_delay_alu instid0(VALU_DEP_1) | instskip(SKIP_2) | instid1(VALU_DEP_1)
	v_rcp_iflag_f32_e32 v1, v1
	s_waitcnt_depctr 0xfff
	v_mul_f32_e32 v1, 0x4f7ffffe, v1
	v_cvt_u32_f32_e32 v1, v1
	s_delay_alu instid0(VALU_DEP_1) | instskip(NEXT) | instid1(VALU_DEP_1)
	v_readfirstlane_b32 s7, v1
	s_mul_i32 s8, s8, s7
	s_delay_alu instid0(SALU_CYCLE_1) | instskip(NEXT) | instid1(SALU_CYCLE_1)
	s_mul_hi_u32 s8, s7, s8
	s_add_i32 s7, s7, s8
	s_delay_alu instid0(SALU_CYCLE_1) | instskip(NEXT) | instid1(SALU_CYCLE_1)
	s_mul_hi_u32 s7, s15, s7
	s_mul_i32 s8, s7, s22
	s_add_i32 s9, s7, 1
	s_sub_i32 s8, s15, s8
	s_delay_alu instid0(SALU_CYCLE_1)
	s_sub_i32 s10, s8, s22
	s_cmp_ge_u32 s8, s22
	s_cselect_b32 s7, s9, s7
	s_cselect_b32 s8, s10, s8
	s_add_i32 s9, s7, 1
	s_cmp_ge_u32 s8, s22
	s_cselect_b32 s24, s9, s7
	s_delay_alu instid0(SALU_CYCLE_1) | instskip(SKIP_2) | instid1(SALU_CYCLE_1)
	s_mul_i32 s7, s24, s22
	v_lshl_or_b32 v6, s24, 9, v0
	s_sub_i32 s8, s15, s7
	s_ashr_i32 s9, s8, 31
	s_delay_alu instid0(VALU_DEP_1) | instskip(SKIP_1) | instid1(SALU_CYCLE_1)
	v_ashrrev_i32_e32 v7, 31, v6
	s_lshl_b64 s[8:9], s[8:9], 2
	s_add_u32 s2, s2, s8
	s_addc_u32 s3, s3, s9
	s_load_b32 s16, s[2:3], 0x0
	s_load_b128 s[8:11], s[0:1], 0x38
	s_waitcnt lgkmcnt(0)
	s_ashr_i32 s17, s16, 31
	s_delay_alu instid0(SALU_CYCLE_1)
	s_lshl_b64 s[2:3], s[16:17], 3
	s_mul_i32 s17, s17, s8
	s_add_u32 s2, s18, s2
	s_addc_u32 s3, s19, s3
	s_mul_i32 s18, s16, s8
	s_load_b128 s[12:15], s[2:3], 0x0
	s_mul_i32 s2, s16, s9
	s_mul_hi_u32 s3, s16, s8
	s_delay_alu instid0(SALU_CYCLE_1) | instskip(SKIP_2) | instid1(VALU_DEP_1)
	s_add_i32 s3, s3, s2
	v_cmp_gt_i32_e64 s2, s23, v6
	s_add_i32 s19, s3, s17
	s_and_saveexec_b32 s3, s2
	s_cbranch_execz .LBB61_4
; %bb.3:
	v_add_co_u32 v1, vcc_lo, s18, v6
	v_add_co_ci_u32_e32 v2, vcc_lo, s19, v7, vcc_lo
	s_delay_alu instid0(VALU_DEP_1) | instskip(NEXT) | instid1(VALU_DEP_1)
	v_lshlrev_b64 v[1:2], 3, v[1:2]
	v_add_co_u32 v1, vcc_lo, s20, v1
	s_delay_alu instid0(VALU_DEP_2)
	v_add_co_ci_u32_e32 v2, vcc_lo, s21, v2, vcc_lo
	global_load_b64 v[1:2], v[1:2], off
	s_waitcnt vmcnt(0)
	v_mul_f64 v[2:3], v[4:5], v[1:2]
.LBB61_4:
	s_or_b32 exec_lo, exec_lo, s3
	s_waitcnt vmcnt(0)
	v_lshlrev_b64 v[4:5], 3, v[6:7]
	s_waitcnt lgkmcnt(0)
	v_cmp_ge_i64_e64 s3, s[12:13], s[14:15]
	v_mov_b32_e32 v8, 0
	v_mov_b32_e32 v9, 0x3ff00000
	s_delay_alu instid0(VALU_DEP_4)
	v_add_co_u32 v12, vcc_lo, s20, v4
	v_add_co_ci_u32_e32 v13, vcc_lo, s21, v5, vcc_lo
	s_and_b32 vcc_lo, exec_lo, s3
	v_cmp_eq_u32_e64 s3, 0, v0
	s_cbranch_vccnz .LBB61_43
; %bb.5:
	s_clause 0x1
	s_load_b128 s[24:27], s[0:1], 0x20
	s_load_b64 s[20:21], s[0:1], 0x50
	v_dual_mov_b32 v1, 0 :: v_dual_lshlrev_b32 v4, 2, v0
	v_lshlrev_b32_e32 v14, 3, v0
	s_sub_u32 s12, s12, s4
	s_subb_u32 s13, s13, 0
	s_sub_u32 s14, s14, s4
	s_subb_u32 s15, s15, 0
	v_or_b32_e32 v15, 0x1000, v4
	s_cmp_lg_u32 s6, 0
	v_cmp_ne_u32_e64 s0, 0, v0
	s_cselect_b32 s17, -1, 0
	s_mov_b64 s[22:23], s[12:13]
	s_waitcnt lgkmcnt(0)
	v_add_co_u32 v16, s1, s24, v4
	v_mov_b32_e32 v4, 0
	v_mov_b32_e32 v5, 0x3ff00000
	v_add_co_ci_u32_e64 v17, null, s25, 0, s1
	v_add_co_u32 v18, s1, s26, v14
	s_delay_alu instid0(VALU_DEP_1)
	v_add_co_ci_u32_e64 v19, null, s27, 0, s1
	s_add_i32 s26, s16, s4
	s_cmp_eq_u32 s6, 0
	s_cselect_b32 s1, -1, 0
	s_branch .LBB61_8
.LBB61_6:                               ;   in Loop: Header=BB61_8 Depth=1
	s_add_u32 s22, s22, 1
	s_addc_u32 s23, s23, 0
	s_delay_alu instid0(SALU_CYCLE_1)
	v_cmp_ge_i64_e64 s13, s[22:23], s[14:15]
.LBB61_7:                               ;   in Loop: Header=BB61_8 Depth=1
	s_delay_alu instid0(VALU_DEP_2) | instskip(SKIP_1) | instid1(VALU_DEP_3)
	v_dual_mov_b32 v2, v10 :: v_dual_mov_b32 v3, v11
	v_dual_mov_b32 v4, v8 :: v_dual_mov_b32 v5, v9
	s_and_not1_b32 vcc_lo, exec_lo, s13
	s_cbranch_vccz .LBB61_44
.LBB61_8:                               ; =>This Loop Header: Depth=1
                                        ;     Child Loop BB61_36 Depth 2
	s_sub_i32 s13, s22, s12
	s_delay_alu instid0(SALU_CYCLE_1) | instskip(NEXT) | instid1(SALU_CYCLE_1)
	s_and_b32 s13, s13, 0x1ff
	s_cmp_lg_u32 s13, 0
	s_cbranch_scc1 .LBB61_12
; %bb.9:                                ;   in Loop: Header=BB61_8 Depth=1
	s_sub_u32 s24, s14, s22
	s_subb_u32 s25, s15, s23
	v_mov_b32_e32 v6, 0
	v_cmp_gt_i64_e32 vcc_lo, s[24:25], v[0:1]
	v_dual_mov_b32 v7, 0xbff00000 :: v_dual_mov_b32 v8, -1
	s_and_saveexec_b32 s24, vcc_lo
	s_cbranch_execz .LBB61_11
; %bb.10:                               ;   in Loop: Header=BB61_8 Depth=1
	s_lshl_b64 s[28:29], s[22:23], 2
	s_delay_alu instid0(SALU_CYCLE_1)
	v_add_co_u32 v6, vcc_lo, v16, s28
	v_add_co_ci_u32_e32 v7, vcc_lo, s29, v17, vcc_lo
	s_lshl_b64 s[28:29], s[22:23], 3
	global_load_b32 v8, v[6:7], off
	v_add_co_u32 v6, vcc_lo, v18, s28
	v_add_co_ci_u32_e32 v7, vcc_lo, s29, v19, vcc_lo
	global_load_b64 v[6:7], v[6:7], off
	s_waitcnt vmcnt(1)
	v_subrev_nc_u32_e32 v8, s4, v8
.LBB61_11:                              ;   in Loop: Header=BB61_8 Depth=1
	s_or_b32 exec_lo, exec_lo, s24
	ds_store_b32 v15, v8
	s_waitcnt vmcnt(0)
	ds_store_b64 v14, v[6:7]
.LBB61_12:                              ;   in Loop: Header=BB61_8 Depth=1
	s_lshl_b32 s24, s13, 3
	s_waitcnt lgkmcnt(0)
	v_mov_b32_e32 v6, s24
	s_waitcnt_vscnt null, 0x0
	s_barrier
	buffer_gl0_inv
	s_lshl_b32 s13, s13, 2
	s_delay_alu instid0(SALU_CYCLE_1)
	v_mov_b32_e32 v8, s13
	ds_load_b64 v[6:7], v6
	ds_load_b32 v8, v8 offset:4096
	s_waitcnt lgkmcnt(1)
	v_cmp_neq_f64_e32 vcc_lo, 0, v[6:7]
	s_waitcnt lgkmcnt(0)
	v_readfirstlane_b32 s13, v8
	s_delay_alu instid0(VALU_DEP_1) | instskip(SKIP_1) | instid1(SALU_CYCLE_1)
	s_cmp_lg_u32 s13, s16
	s_cselect_b32 s24, -1, 0
	s_or_b32 s24, s17, s24
	s_delay_alu instid0(SALU_CYCLE_1) | instskip(SKIP_3) | instid1(SALU_CYCLE_1)
	s_or_b32 vcc_lo, vcc_lo, s24
	v_cndmask_b32_e32 v7, 0x3ff00000, v7, vcc_lo
	v_cndmask_b32_e32 v6, 0, v6, vcc_lo
	s_or_b32 s24, s0, vcc_lo
	s_xor_b32 s25, s24, -1
	s_delay_alu instid0(SALU_CYCLE_1)
	s_and_saveexec_b32 s24, s25
	s_cbranch_execz .LBB61_16
; %bb.13:                               ;   in Loop: Header=BB61_8 Depth=1
	v_mbcnt_lo_u32_b32 v6, exec_lo, 0
	s_mov_b32 s25, exec_lo
	s_delay_alu instid0(VALU_DEP_1)
	v_cmpx_eq_u32_e32 0, v6
	s_cbranch_execz .LBB61_15
; %bb.14:                               ;   in Loop: Header=BB61_8 Depth=1
	v_mov_b32_e32 v6, s26
	global_atomic_min_i32 v1, v6, s[20:21]
.LBB61_15:                              ;   in Loop: Header=BB61_8 Depth=1
	s_or_b32 exec_lo, exec_lo, s25
	v_mov_b32_e32 v6, 0
	v_mov_b32_e32 v7, 0x3ff00000
.LBB61_16:                              ;   in Loop: Header=BB61_8 Depth=1
	s_or_b32 exec_lo, exec_lo, s24
	s_cmp_lt_i32 s5, 1
	s_mov_b32 s24, 0
	s_cbranch_scc1 .LBB61_21
; %bb.17:                               ;   in Loop: Header=BB61_8 Depth=1
	s_cmp_eq_u32 s5, 1
	s_cbranch_scc0 .LBB61_22
; %bb.18:                               ;   in Loop: Header=BB61_8 Depth=1
	v_dual_mov_b32 v9, v5 :: v_dual_mov_b32 v8, v4
	s_cmp_ge_i32 s13, s16
	s_mov_b32 s25, 0
	s_cbranch_scc0 .LBB61_24
; %bb.19:                               ;   in Loop: Header=BB61_8 Depth=1
	s_cmp_eq_u32 s13, s16
	s_cbranch_scc0 .LBB61_23
; %bb.20:                               ;   in Loop: Header=BB61_8 Depth=1
	v_div_scale_f64 v[8:9], null, v[6:7], v[6:7], 1.0
	v_div_scale_f64 v[22:23], vcc_lo, 1.0, v[6:7], 1.0
	s_delay_alu instid0(VALU_DEP_2) | instskip(SKIP_2) | instid1(VALU_DEP_1)
	v_rcp_f64_e32 v[10:11], v[8:9]
	s_waitcnt_depctr 0xfff
	v_fma_f64 v[20:21], -v[8:9], v[10:11], 1.0
	v_fma_f64 v[10:11], v[10:11], v[20:21], v[10:11]
	s_delay_alu instid0(VALU_DEP_1) | instskip(NEXT) | instid1(VALU_DEP_1)
	v_fma_f64 v[20:21], -v[8:9], v[10:11], 1.0
	v_fma_f64 v[10:11], v[10:11], v[20:21], v[10:11]
	s_delay_alu instid0(VALU_DEP_1) | instskip(NEXT) | instid1(VALU_DEP_1)
	v_mul_f64 v[20:21], v[22:23], v[10:11]
	v_fma_f64 v[8:9], -v[8:9], v[20:21], v[22:23]
	s_delay_alu instid0(VALU_DEP_1) | instskip(NEXT) | instid1(VALU_DEP_1)
	v_div_fmas_f64 v[8:9], v[8:9], v[10:11], v[20:21]
	v_div_fixup_f64 v[8:9], v[8:9], v[6:7], 1.0
	s_delay_alu instid0(VALU_DEP_1) | instskip(NEXT) | instid1(VALU_DEP_2)
	v_cndmask_b32_e64 v9, v5, v9, s1
	v_cndmask_b32_e64 v8, v4, v8, s1
	s_branch .LBB61_24
.LBB61_21:                              ;   in Loop: Header=BB61_8 Depth=1
	s_mov_b32 s25, 0
                                        ; implicit-def: $vgpr10_vgpr11
                                        ; implicit-def: $vgpr8_vgpr9
                                        ; implicit-def: $sgpr27
	s_cbranch_execnz .LBB61_25
	s_branch .LBB61_27
.LBB61_22:                              ;   in Loop: Header=BB61_8 Depth=1
	s_mov_b32 s25, -1
                                        ; implicit-def: $vgpr10_vgpr11
                                        ; implicit-def: $vgpr8_vgpr9
                                        ; implicit-def: $sgpr27
	s_branch .LBB61_27
.LBB61_23:                              ;   in Loop: Header=BB61_8 Depth=1
	s_mov_b32 s25, -1
                                        ; implicit-def: $vgpr8_vgpr9
.LBB61_24:                              ;   in Loop: Header=BB61_8 Depth=1
	v_dual_mov_b32 v11, v3 :: v_dual_mov_b32 v10, v2
	s_mov_b32 s27, 4
	s_branch .LBB61_27
.LBB61_25:                              ;   in Loop: Header=BB61_8 Depth=1
	s_cmp_eq_u32 s5, 0
	s_cbranch_scc1 .LBB61_31
; %bb.26:                               ;   in Loop: Header=BB61_8 Depth=1
	s_mov_b32 s25, -1
                                        ; implicit-def: $vgpr10_vgpr11
                                        ; implicit-def: $vgpr8_vgpr9
                                        ; implicit-def: $sgpr27
.LBB61_27:                              ;   in Loop: Header=BB61_8 Depth=1
	s_delay_alu instid0(SALU_CYCLE_1)
	s_and_b32 vcc_lo, exec_lo, s25
	s_cbranch_vccnz .LBB61_34
.LBB61_28:                              ;   in Loop: Header=BB61_8 Depth=1
	s_and_b32 vcc_lo, exec_lo, s24
	s_cbranch_vccnz .LBB61_40
.LBB61_29:                              ;   in Loop: Header=BB61_8 Depth=1
	s_cmp_gt_i32 s27, 3
	s_mov_b32 s13, -1
	s_cbranch_scc1 .LBB61_41
.LBB61_30:                              ;   in Loop: Header=BB61_8 Depth=1
	s_cmp_eq_u32 s27, 0
	s_cselect_b32 s24, -1, 0
	s_delay_alu instid0(SALU_CYCLE_1)
	s_and_not1_b32 vcc_lo, exec_lo, s24
	s_cbranch_vccz .LBB61_6
	s_branch .LBB61_42
.LBB61_31:                              ;   in Loop: Header=BB61_8 Depth=1
	s_cmp_le_i32 s13, s16
	s_mov_b32 s25, 0
	s_cbranch_scc0 .LBB61_33
; %bb.32:                               ;   in Loop: Header=BB61_8 Depth=1
	s_cmp_lg_u32 s13, s16
	s_mov_b32 s24, -1
	s_cselect_b32 s25, -1, 0
.LBB61_33:                              ;   in Loop: Header=BB61_8 Depth=1
	v_dual_mov_b32 v11, v3 :: v_dual_mov_b32 v10, v2
	v_dual_mov_b32 v9, v5 :: v_dual_mov_b32 v8, v4
	s_mov_b32 s27, 2
	s_and_b32 vcc_lo, exec_lo, s25
	s_cbranch_vccz .LBB61_28
.LBB61_34:                              ;   in Loop: Header=BB61_8 Depth=1
	s_and_saveexec_b32 s27, s3
	s_cbranch_execz .LBB61_37
; %bb.35:                               ;   in Loop: Header=BB61_8 Depth=1
	s_add_i32 s24, s13, s7
	s_delay_alu instid0(SALU_CYCLE_1) | instskip(NEXT) | instid1(SALU_CYCLE_1)
	s_ashr_i32 s25, s24, 31
	s_lshl_b64 s[24:25], s[24:25], 2
	s_delay_alu instid0(SALU_CYCLE_1)
	s_add_u32 s24, s10, s24
	s_addc_u32 s25, s11, s25
	global_load_b32 v8, v1, s[24:25] glc
	s_waitcnt vmcnt(0)
	v_cmp_ne_u32_e32 vcc_lo, 0, v8
	s_cbranch_vccnz .LBB61_37
.LBB61_36:                              ;   Parent Loop BB61_8 Depth=1
                                        ; =>  This Inner Loop Header: Depth=2
	global_load_b32 v8, v1, s[24:25] glc
	s_waitcnt vmcnt(0)
	v_cmp_eq_u32_e32 vcc_lo, 0, v8
	s_cbranch_vccnz .LBB61_36
.LBB61_37:                              ;   in Loop: Header=BB61_8 Depth=1
	s_or_b32 exec_lo, exec_lo, s27
	v_mov_b32_e32 v10, 0
	v_mov_b32_e32 v11, 0
	s_waitcnt_vscnt null, 0x0
	s_barrier
	buffer_gl0_inv
	buffer_gl1_inv
	buffer_gl0_inv
	s_and_saveexec_b32 s24, s2
	s_cbranch_execz .LBB61_39
; %bb.38:                               ;   in Loop: Header=BB61_8 Depth=1
	s_mul_i32 s25, s13, s9
	s_mul_hi_u32 s27, s13, s8
	s_ashr_i32 s28, s13, 31
	s_add_i32 s25, s27, s25
	s_mul_i32 s28, s28, s8
	s_delay_alu instid0(SALU_CYCLE_1) | instskip(SKIP_1) | instid1(SALU_CYCLE_1)
	s_add_i32 s29, s25, s28
	s_mul_i32 s28, s13, s8
	s_lshl_b64 s[28:29], s[28:29], 3
	s_delay_alu instid0(SALU_CYCLE_1)
	v_add_co_u32 v8, vcc_lo, v12, s28
	v_add_co_ci_u32_e32 v9, vcc_lo, s29, v13, vcc_lo
	global_load_b64 v[8:9], v[8:9], off
	s_waitcnt vmcnt(0)
	v_fma_f64 v[10:11], -v[6:7], v[8:9], v[2:3]
.LBB61_39:                              ;   in Loop: Header=BB61_8 Depth=1
	s_or_b32 exec_lo, exec_lo, s24
	v_dual_mov_b32 v9, v5 :: v_dual_mov_b32 v8, v4
	s_mov_b32 s27, 0
	s_branch .LBB61_29
.LBB61_40:                              ;   in Loop: Header=BB61_8 Depth=1
	v_div_scale_f64 v[8:9], null, v[6:7], v[6:7], 1.0
	v_div_scale_f64 v[22:23], vcc_lo, 1.0, v[6:7], 1.0
	s_mov_b32 s27, 2
	s_delay_alu instid0(VALU_DEP_2) | instskip(SKIP_2) | instid1(VALU_DEP_1)
	v_rcp_f64_e32 v[10:11], v[8:9]
	s_waitcnt_depctr 0xfff
	v_fma_f64 v[20:21], -v[8:9], v[10:11], 1.0
	v_fma_f64 v[10:11], v[10:11], v[20:21], v[10:11]
	s_delay_alu instid0(VALU_DEP_1) | instskip(NEXT) | instid1(VALU_DEP_1)
	v_fma_f64 v[20:21], -v[8:9], v[10:11], 1.0
	v_fma_f64 v[10:11], v[10:11], v[20:21], v[10:11]
	s_delay_alu instid0(VALU_DEP_1) | instskip(NEXT) | instid1(VALU_DEP_1)
	v_mul_f64 v[20:21], v[22:23], v[10:11]
	v_fma_f64 v[8:9], -v[8:9], v[20:21], v[22:23]
	s_delay_alu instid0(VALU_DEP_1) | instskip(SKIP_1) | instid1(VALU_DEP_2)
	v_div_fmas_f64 v[8:9], v[8:9], v[10:11], v[20:21]
	v_dual_mov_b32 v11, v3 :: v_dual_mov_b32 v10, v2
	v_div_fixup_f64 v[6:7], v[8:9], v[6:7], 1.0
	s_delay_alu instid0(VALU_DEP_1) | instskip(NEXT) | instid1(VALU_DEP_2)
	v_cndmask_b32_e64 v9, v5, v7, s1
	v_cndmask_b32_e64 v8, v4, v6, s1
	s_cmp_gt_i32 s27, 3
	s_mov_b32 s13, -1
	s_cbranch_scc0 .LBB61_30
.LBB61_41:                              ;   in Loop: Header=BB61_8 Depth=1
	s_branch .LBB61_6
.LBB61_42:                              ;   in Loop: Header=BB61_8 Depth=1
                                        ; implicit-def: $sgpr22_sgpr23
	s_branch .LBB61_7
.LBB61_43:
	v_dual_mov_b32 v11, v3 :: v_dual_mov_b32 v10, v2
.LBB61_44:
	s_and_saveexec_b32 s0, s2
	s_cbranch_execz .LBB61_46
; %bb.45:
	s_delay_alu instid0(VALU_DEP_1) | instskip(SKIP_3) | instid1(VALU_DEP_1)
	v_mul_f64 v[1:2], v[8:9], v[10:11]
	s_cmp_eq_u32 s6, 0
	s_cselect_b32 vcc_lo, -1, 0
	s_lshl_b64 s[2:3], s[18:19], 3
	v_dual_cndmask_b32 v2, v11, v2 :: v_dual_cndmask_b32 v1, v10, v1
	v_add_co_u32 v3, vcc_lo, v12, s2
	v_add_co_ci_u32_e32 v4, vcc_lo, s3, v13, vcc_lo
	global_store_b64 v[3:4], v[1:2], off
.LBB61_46:
	s_or_b32 exec_lo, exec_lo, s0
	s_waitcnt_vscnt null, 0x0
	buffer_gl1_inv
	buffer_gl0_inv
	s_barrier
	buffer_gl0_inv
	s_mov_b32 s0, exec_lo
	v_cmpx_eq_u32_e32 0, v0
	s_cbranch_execz .LBB61_48
; %bb.47:
	s_add_i32 s0, s16, s7
	v_dual_mov_b32 v0, 0 :: v_dual_mov_b32 v1, 1
	s_ashr_i32 s1, s0, 31
	s_delay_alu instid0(SALU_CYCLE_1) | instskip(NEXT) | instid1(SALU_CYCLE_1)
	s_lshl_b64 s[0:1], s[0:1], 2
	s_add_u32 s0, s10, s0
	s_addc_u32 s1, s11, s1
	global_store_b32 v0, v1, s[0:1]
.LBB61_48:
	s_nop 0
	s_sendmsg sendmsg(MSG_DEALLOC_VGPRS)
	s_endpgm
	.section	.rodata,"a",@progbits
	.p2align	6, 0x0
	.amdhsa_kernel _ZN9rocsparseL5csrsmILj512ELj64ELb0ElidEEv20rocsparse_operation_T3_S2_NS_24const_host_device_scalarIT4_EEPKT2_PKS2_PKS4_PS4_lPiSA_PS2_21rocsparse_index_base_20rocsparse_fill_mode_20rocsparse_diag_type_b
		.amdhsa_group_segment_fixed_size 6144
		.amdhsa_private_segment_fixed_size 0
		.amdhsa_kernarg_size 104
		.amdhsa_user_sgpr_count 15
		.amdhsa_user_sgpr_dispatch_ptr 0
		.amdhsa_user_sgpr_queue_ptr 0
		.amdhsa_user_sgpr_kernarg_segment_ptr 1
		.amdhsa_user_sgpr_dispatch_id 0
		.amdhsa_user_sgpr_private_segment_size 0
		.amdhsa_wavefront_size32 1
		.amdhsa_uses_dynamic_stack 0
		.amdhsa_enable_private_segment 0
		.amdhsa_system_sgpr_workgroup_id_x 1
		.amdhsa_system_sgpr_workgroup_id_y 0
		.amdhsa_system_sgpr_workgroup_id_z 0
		.amdhsa_system_sgpr_workgroup_info 0
		.amdhsa_system_vgpr_workitem_id 0
		.amdhsa_next_free_vgpr 24
		.amdhsa_next_free_sgpr 30
		.amdhsa_reserve_vcc 1
		.amdhsa_float_round_mode_32 0
		.amdhsa_float_round_mode_16_64 0
		.amdhsa_float_denorm_mode_32 3
		.amdhsa_float_denorm_mode_16_64 3
		.amdhsa_dx10_clamp 1
		.amdhsa_ieee_mode 1
		.amdhsa_fp16_overflow 0
		.amdhsa_workgroup_processor_mode 1
		.amdhsa_memory_ordered 1
		.amdhsa_forward_progress 0
		.amdhsa_shared_vgpr_count 0
		.amdhsa_exception_fp_ieee_invalid_op 0
		.amdhsa_exception_fp_denorm_src 0
		.amdhsa_exception_fp_ieee_div_zero 0
		.amdhsa_exception_fp_ieee_overflow 0
		.amdhsa_exception_fp_ieee_underflow 0
		.amdhsa_exception_fp_ieee_inexact 0
		.amdhsa_exception_int_div_zero 0
	.end_amdhsa_kernel
	.section	.text._ZN9rocsparseL5csrsmILj512ELj64ELb0ElidEEv20rocsparse_operation_T3_S2_NS_24const_host_device_scalarIT4_EEPKT2_PKS2_PKS4_PS4_lPiSA_PS2_21rocsparse_index_base_20rocsparse_fill_mode_20rocsparse_diag_type_b,"axG",@progbits,_ZN9rocsparseL5csrsmILj512ELj64ELb0ElidEEv20rocsparse_operation_T3_S2_NS_24const_host_device_scalarIT4_EEPKT2_PKS2_PKS4_PS4_lPiSA_PS2_21rocsparse_index_base_20rocsparse_fill_mode_20rocsparse_diag_type_b,comdat
.Lfunc_end61:
	.size	_ZN9rocsparseL5csrsmILj512ELj64ELb0ElidEEv20rocsparse_operation_T3_S2_NS_24const_host_device_scalarIT4_EEPKT2_PKS2_PKS4_PS4_lPiSA_PS2_21rocsparse_index_base_20rocsparse_fill_mode_20rocsparse_diag_type_b, .Lfunc_end61-_ZN9rocsparseL5csrsmILj512ELj64ELb0ElidEEv20rocsparse_operation_T3_S2_NS_24const_host_device_scalarIT4_EEPKT2_PKS2_PKS4_PS4_lPiSA_PS2_21rocsparse_index_base_20rocsparse_fill_mode_20rocsparse_diag_type_b
                                        ; -- End function
	.section	.AMDGPU.csdata,"",@progbits
; Kernel info:
; codeLenInByte = 1880
; NumSgprs: 32
; NumVgprs: 24
; ScratchSize: 0
; MemoryBound: 0
; FloatMode: 240
; IeeeMode: 1
; LDSByteSize: 6144 bytes/workgroup (compile time only)
; SGPRBlocks: 3
; VGPRBlocks: 2
; NumSGPRsForWavesPerEU: 32
; NumVGPRsForWavesPerEU: 24
; Occupancy: 16
; WaveLimiterHint : 1
; COMPUTE_PGM_RSRC2:SCRATCH_EN: 0
; COMPUTE_PGM_RSRC2:USER_SGPR: 15
; COMPUTE_PGM_RSRC2:TRAP_HANDLER: 0
; COMPUTE_PGM_RSRC2:TGID_X_EN: 1
; COMPUTE_PGM_RSRC2:TGID_Y_EN: 0
; COMPUTE_PGM_RSRC2:TGID_Z_EN: 0
; COMPUTE_PGM_RSRC2:TIDIG_COMP_CNT: 0
	.section	.text._ZN9rocsparseL5csrsmILj1024ELj64ELb1ElidEEv20rocsparse_operation_T3_S2_NS_24const_host_device_scalarIT4_EEPKT2_PKS2_PKS4_PS4_lPiSA_PS2_21rocsparse_index_base_20rocsparse_fill_mode_20rocsparse_diag_type_b,"axG",@progbits,_ZN9rocsparseL5csrsmILj1024ELj64ELb1ElidEEv20rocsparse_operation_T3_S2_NS_24const_host_device_scalarIT4_EEPKT2_PKS2_PKS4_PS4_lPiSA_PS2_21rocsparse_index_base_20rocsparse_fill_mode_20rocsparse_diag_type_b,comdat
	.globl	_ZN9rocsparseL5csrsmILj1024ELj64ELb1ElidEEv20rocsparse_operation_T3_S2_NS_24const_host_device_scalarIT4_EEPKT2_PKS2_PKS4_PS4_lPiSA_PS2_21rocsparse_index_base_20rocsparse_fill_mode_20rocsparse_diag_type_b ; -- Begin function _ZN9rocsparseL5csrsmILj1024ELj64ELb1ElidEEv20rocsparse_operation_T3_S2_NS_24const_host_device_scalarIT4_EEPKT2_PKS2_PKS4_PS4_lPiSA_PS2_21rocsparse_index_base_20rocsparse_fill_mode_20rocsparse_diag_type_b
	.p2align	8
	.type	_ZN9rocsparseL5csrsmILj1024ELj64ELb1ElidEEv20rocsparse_operation_T3_S2_NS_24const_host_device_scalarIT4_EEPKT2_PKS2_PKS4_PS4_lPiSA_PS2_21rocsparse_index_base_20rocsparse_fill_mode_20rocsparse_diag_type_b,@function
_ZN9rocsparseL5csrsmILj1024ELj64ELb1ElidEEv20rocsparse_operation_T3_S2_NS_24const_host_device_scalarIT4_EEPKT2_PKS2_PKS4_PS4_lPiSA_PS2_21rocsparse_index_base_20rocsparse_fill_mode_20rocsparse_diag_type_b: ; @_ZN9rocsparseL5csrsmILj1024ELj64ELb1ElidEEv20rocsparse_operation_T3_S2_NS_24const_host_device_scalarIT4_EEPKT2_PKS2_PKS4_PS4_lPiSA_PS2_21rocsparse_index_base_20rocsparse_fill_mode_20rocsparse_diag_type_b
; %bb.0:
	s_clause 0x3
	s_load_b128 s[4:7], s[0:1], 0x58
	s_load_b128 s[16:19], s[0:1], 0x10
	s_load_b64 s[2:3], s[0:1], 0x48
	s_load_b64 s[20:21], s[0:1], 0x30
	s_waitcnt lgkmcnt(0)
	s_bitcmp1_b32 s7, 0
	v_dual_mov_b32 v4, s16 :: v_dual_mov_b32 v5, s17
	s_cselect_b32 s7, -1, 0
	s_delay_alu instid0(SALU_CYCLE_1)
	s_and_b32 vcc_lo, exec_lo, s7
	s_cbranch_vccnz .LBB62_2
; %bb.1:
	v_dual_mov_b32 v1, s16 :: v_dual_mov_b32 v2, s17
	flat_load_b64 v[4:5], v[1:2]
.LBB62_2:
	s_load_b64 s[22:23], s[0:1], 0x4
	v_mov_b32_e32 v2, 0
	v_mov_b32_e32 v3, 0
	s_waitcnt lgkmcnt(0)
	v_cvt_f32_u32_e32 v1, s22
	s_sub_i32 s8, 0, s22
	s_delay_alu instid0(VALU_DEP_1) | instskip(SKIP_2) | instid1(VALU_DEP_1)
	v_rcp_iflag_f32_e32 v1, v1
	s_waitcnt_depctr 0xfff
	v_mul_f32_e32 v1, 0x4f7ffffe, v1
	v_cvt_u32_f32_e32 v1, v1
	s_delay_alu instid0(VALU_DEP_1) | instskip(NEXT) | instid1(VALU_DEP_1)
	v_readfirstlane_b32 s7, v1
	s_mul_i32 s8, s8, s7
	s_delay_alu instid0(SALU_CYCLE_1) | instskip(NEXT) | instid1(SALU_CYCLE_1)
	s_mul_hi_u32 s8, s7, s8
	s_add_i32 s7, s7, s8
	s_delay_alu instid0(SALU_CYCLE_1) | instskip(NEXT) | instid1(SALU_CYCLE_1)
	s_mul_hi_u32 s7, s15, s7
	s_mul_i32 s8, s7, s22
	s_add_i32 s9, s7, 1
	s_sub_i32 s8, s15, s8
	s_delay_alu instid0(SALU_CYCLE_1)
	s_sub_i32 s10, s8, s22
	s_cmp_ge_u32 s8, s22
	s_cselect_b32 s7, s9, s7
	s_cselect_b32 s8, s10, s8
	s_add_i32 s9, s7, 1
	s_cmp_ge_u32 s8, s22
	s_cselect_b32 s24, s9, s7
	s_delay_alu instid0(SALU_CYCLE_1) | instskip(SKIP_2) | instid1(SALU_CYCLE_1)
	s_mul_i32 s7, s24, s22
	v_lshl_or_b32 v6, s24, 10, v0
	s_sub_i32 s8, s15, s7
	s_ashr_i32 s9, s8, 31
	s_delay_alu instid0(VALU_DEP_1) | instskip(SKIP_1) | instid1(SALU_CYCLE_1)
	v_ashrrev_i32_e32 v7, 31, v6
	s_lshl_b64 s[8:9], s[8:9], 2
	s_add_u32 s2, s2, s8
	s_addc_u32 s3, s3, s9
	s_load_b32 s16, s[2:3], 0x0
	s_load_b128 s[8:11], s[0:1], 0x38
	s_waitcnt lgkmcnt(0)
	s_ashr_i32 s17, s16, 31
	s_delay_alu instid0(SALU_CYCLE_1)
	s_lshl_b64 s[2:3], s[16:17], 3
	s_mul_i32 s17, s17, s8
	s_add_u32 s2, s18, s2
	s_addc_u32 s3, s19, s3
	s_mul_i32 s18, s16, s8
	s_load_b128 s[12:15], s[2:3], 0x0
	s_mul_i32 s2, s16, s9
	s_mul_hi_u32 s3, s16, s8
	s_delay_alu instid0(SALU_CYCLE_1) | instskip(SKIP_2) | instid1(VALU_DEP_1)
	s_add_i32 s3, s3, s2
	v_cmp_gt_i32_e64 s2, s23, v6
	s_add_i32 s19, s3, s17
	s_and_saveexec_b32 s3, s2
	s_cbranch_execz .LBB62_4
; %bb.3:
	v_add_co_u32 v1, vcc_lo, s18, v6
	v_add_co_ci_u32_e32 v2, vcc_lo, s19, v7, vcc_lo
	s_delay_alu instid0(VALU_DEP_1) | instskip(NEXT) | instid1(VALU_DEP_1)
	v_lshlrev_b64 v[1:2], 3, v[1:2]
	v_add_co_u32 v1, vcc_lo, s20, v1
	s_delay_alu instid0(VALU_DEP_2)
	v_add_co_ci_u32_e32 v2, vcc_lo, s21, v2, vcc_lo
	global_load_b64 v[1:2], v[1:2], off
	s_waitcnt vmcnt(0)
	v_mul_f64 v[2:3], v[4:5], v[1:2]
.LBB62_4:
	s_or_b32 exec_lo, exec_lo, s3
	s_waitcnt vmcnt(0)
	v_lshlrev_b64 v[4:5], 3, v[6:7]
	s_waitcnt lgkmcnt(0)
	v_cmp_ge_i64_e64 s3, s[12:13], s[14:15]
	v_mov_b32_e32 v8, 0
	v_mov_b32_e32 v9, 0x3ff00000
	s_delay_alu instid0(VALU_DEP_4)
	v_add_co_u32 v12, vcc_lo, s20, v4
	v_add_co_ci_u32_e32 v13, vcc_lo, s21, v5, vcc_lo
	s_and_b32 vcc_lo, exec_lo, s3
	v_cmp_eq_u32_e64 s3, 0, v0
	s_cbranch_vccnz .LBB62_46
; %bb.5:
	s_clause 0x1
	s_load_b128 s[24:27], s[0:1], 0x20
	s_load_b64 s[20:21], s[0:1], 0x50
	v_dual_mov_b32 v1, 0 :: v_dual_lshlrev_b32 v4, 2, v0
	v_lshlrev_b32_e32 v14, 3, v0
	s_sub_u32 s12, s12, s4
	s_subb_u32 s13, s13, 0
	s_sub_u32 s14, s14, s4
	s_subb_u32 s15, s15, 0
	v_or_b32_e32 v15, 0x2000, v4
	s_cmp_lg_u32 s6, 0
	v_cmp_ne_u32_e64 s0, 0, v0
	s_cselect_b32 s17, -1, 0
	s_mov_b64 s[22:23], s[12:13]
	s_waitcnt lgkmcnt(0)
	v_add_co_u32 v16, s1, s24, v4
	v_mov_b32_e32 v4, 0
	v_mov_b32_e32 v5, 0x3ff00000
	v_add_co_ci_u32_e64 v17, null, s25, 0, s1
	v_add_co_u32 v18, s1, s26, v14
	s_delay_alu instid0(VALU_DEP_1)
	v_add_co_ci_u32_e64 v19, null, s27, 0, s1
	s_add_i32 s26, s16, s4
	s_cmp_eq_u32 s6, 0
	s_cselect_b32 s1, -1, 0
	s_branch .LBB62_8
.LBB62_6:                               ;   in Loop: Header=BB62_8 Depth=1
	s_add_u32 s22, s22, 1
	s_addc_u32 s23, s23, 0
	s_delay_alu instid0(SALU_CYCLE_1)
	v_cmp_ge_i64_e64 s13, s[22:23], s[14:15]
.LBB62_7:                               ;   in Loop: Header=BB62_8 Depth=1
	s_delay_alu instid0(VALU_DEP_2) | instskip(SKIP_1) | instid1(VALU_DEP_3)
	v_dual_mov_b32 v2, v10 :: v_dual_mov_b32 v3, v11
	v_dual_mov_b32 v4, v8 :: v_dual_mov_b32 v5, v9
	s_and_not1_b32 vcc_lo, exec_lo, s13
	s_cbranch_vccz .LBB62_47
.LBB62_8:                               ; =>This Loop Header: Depth=1
                                        ;     Child Loop BB62_44 Depth 2
                                        ;       Child Loop BB62_45 Depth 3
	s_sub_i32 s13, s22, s12
	s_delay_alu instid0(SALU_CYCLE_1) | instskip(NEXT) | instid1(SALU_CYCLE_1)
	s_and_b32 s13, s13, 0x3ff
	s_cmp_lg_u32 s13, 0
	s_cbranch_scc1 .LBB62_12
; %bb.9:                                ;   in Loop: Header=BB62_8 Depth=1
	s_sub_u32 s24, s14, s22
	s_subb_u32 s25, s15, s23
	v_mov_b32_e32 v6, 0
	v_cmp_gt_i64_e32 vcc_lo, s[24:25], v[0:1]
	v_dual_mov_b32 v7, 0xbff00000 :: v_dual_mov_b32 v8, -1
	s_and_saveexec_b32 s24, vcc_lo
	s_cbranch_execz .LBB62_11
; %bb.10:                               ;   in Loop: Header=BB62_8 Depth=1
	s_lshl_b64 s[28:29], s[22:23], 2
	s_delay_alu instid0(SALU_CYCLE_1)
	v_add_co_u32 v6, vcc_lo, v16, s28
	v_add_co_ci_u32_e32 v7, vcc_lo, s29, v17, vcc_lo
	s_lshl_b64 s[28:29], s[22:23], 3
	global_load_b32 v8, v[6:7], off
	v_add_co_u32 v6, vcc_lo, v18, s28
	v_add_co_ci_u32_e32 v7, vcc_lo, s29, v19, vcc_lo
	global_load_b64 v[6:7], v[6:7], off
	s_waitcnt vmcnt(1)
	v_subrev_nc_u32_e32 v8, s4, v8
.LBB62_11:                              ;   in Loop: Header=BB62_8 Depth=1
	s_or_b32 exec_lo, exec_lo, s24
	ds_store_b32 v15, v8
	s_waitcnt vmcnt(0)
	ds_store_b64 v14, v[6:7]
.LBB62_12:                              ;   in Loop: Header=BB62_8 Depth=1
	s_lshl_b32 s24, s13, 3
	s_waitcnt lgkmcnt(0)
	v_mov_b32_e32 v6, s24
	s_waitcnt_vscnt null, 0x0
	s_barrier
	buffer_gl0_inv
	s_lshl_b32 s13, s13, 2
	s_delay_alu instid0(SALU_CYCLE_1)
	v_mov_b32_e32 v8, s13
	ds_load_b64 v[6:7], v6
	ds_load_b32 v8, v8 offset:8192
	s_waitcnt lgkmcnt(1)
	v_cmp_neq_f64_e32 vcc_lo, 0, v[6:7]
	s_waitcnt lgkmcnt(0)
	v_readfirstlane_b32 s13, v8
	s_delay_alu instid0(VALU_DEP_1) | instskip(SKIP_1) | instid1(SALU_CYCLE_1)
	s_cmp_lg_u32 s13, s16
	s_cselect_b32 s24, -1, 0
	s_or_b32 s24, s17, s24
	s_delay_alu instid0(SALU_CYCLE_1) | instskip(SKIP_3) | instid1(SALU_CYCLE_1)
	s_or_b32 vcc_lo, vcc_lo, s24
	v_cndmask_b32_e32 v7, 0x3ff00000, v7, vcc_lo
	v_cndmask_b32_e32 v6, 0, v6, vcc_lo
	s_or_b32 s24, s0, vcc_lo
	s_xor_b32 s25, s24, -1
	s_delay_alu instid0(SALU_CYCLE_1)
	s_and_saveexec_b32 s24, s25
	s_cbranch_execz .LBB62_16
; %bb.13:                               ;   in Loop: Header=BB62_8 Depth=1
	v_mbcnt_lo_u32_b32 v6, exec_lo, 0
	s_mov_b32 s25, exec_lo
	s_delay_alu instid0(VALU_DEP_1)
	v_cmpx_eq_u32_e32 0, v6
	s_cbranch_execz .LBB62_15
; %bb.14:                               ;   in Loop: Header=BB62_8 Depth=1
	v_mov_b32_e32 v6, s26
	global_atomic_min_i32 v1, v6, s[20:21]
.LBB62_15:                              ;   in Loop: Header=BB62_8 Depth=1
	s_or_b32 exec_lo, exec_lo, s25
	v_mov_b32_e32 v6, 0
	v_mov_b32_e32 v7, 0x3ff00000
.LBB62_16:                              ;   in Loop: Header=BB62_8 Depth=1
	s_or_b32 exec_lo, exec_lo, s24
	s_cmp_lt_i32 s5, 1
	s_mov_b32 s24, 0
	s_cbranch_scc1 .LBB62_21
; %bb.17:                               ;   in Loop: Header=BB62_8 Depth=1
	s_cmp_eq_u32 s5, 1
	s_cbranch_scc0 .LBB62_22
; %bb.18:                               ;   in Loop: Header=BB62_8 Depth=1
	v_dual_mov_b32 v9, v5 :: v_dual_mov_b32 v8, v4
	s_cmp_ge_i32 s13, s16
	s_mov_b32 s25, 0
	s_cbranch_scc0 .LBB62_24
; %bb.19:                               ;   in Loop: Header=BB62_8 Depth=1
	s_cmp_eq_u32 s13, s16
	s_cbranch_scc0 .LBB62_23
; %bb.20:                               ;   in Loop: Header=BB62_8 Depth=1
	v_div_scale_f64 v[8:9], null, v[6:7], v[6:7], 1.0
	v_div_scale_f64 v[22:23], vcc_lo, 1.0, v[6:7], 1.0
	s_delay_alu instid0(VALU_DEP_2) | instskip(SKIP_2) | instid1(VALU_DEP_1)
	v_rcp_f64_e32 v[10:11], v[8:9]
	s_waitcnt_depctr 0xfff
	v_fma_f64 v[20:21], -v[8:9], v[10:11], 1.0
	v_fma_f64 v[10:11], v[10:11], v[20:21], v[10:11]
	s_delay_alu instid0(VALU_DEP_1) | instskip(NEXT) | instid1(VALU_DEP_1)
	v_fma_f64 v[20:21], -v[8:9], v[10:11], 1.0
	v_fma_f64 v[10:11], v[10:11], v[20:21], v[10:11]
	s_delay_alu instid0(VALU_DEP_1) | instskip(NEXT) | instid1(VALU_DEP_1)
	v_mul_f64 v[20:21], v[22:23], v[10:11]
	v_fma_f64 v[8:9], -v[8:9], v[20:21], v[22:23]
	s_delay_alu instid0(VALU_DEP_1) | instskip(NEXT) | instid1(VALU_DEP_1)
	v_div_fmas_f64 v[8:9], v[8:9], v[10:11], v[20:21]
	v_div_fixup_f64 v[8:9], v[8:9], v[6:7], 1.0
	s_delay_alu instid0(VALU_DEP_1) | instskip(NEXT) | instid1(VALU_DEP_2)
	v_cndmask_b32_e64 v9, v5, v9, s1
	v_cndmask_b32_e64 v8, v4, v8, s1
	s_branch .LBB62_24
.LBB62_21:                              ;   in Loop: Header=BB62_8 Depth=1
	s_mov_b32 s25, 0
                                        ; implicit-def: $vgpr10_vgpr11
                                        ; implicit-def: $vgpr8_vgpr9
                                        ; implicit-def: $sgpr27
	s_cbranch_execnz .LBB62_25
	s_branch .LBB62_27
.LBB62_22:                              ;   in Loop: Header=BB62_8 Depth=1
	s_mov_b32 s25, -1
                                        ; implicit-def: $vgpr10_vgpr11
                                        ; implicit-def: $vgpr8_vgpr9
                                        ; implicit-def: $sgpr27
	s_branch .LBB62_27
.LBB62_23:                              ;   in Loop: Header=BB62_8 Depth=1
	s_mov_b32 s25, -1
                                        ; implicit-def: $vgpr8_vgpr9
.LBB62_24:                              ;   in Loop: Header=BB62_8 Depth=1
	v_dual_mov_b32 v11, v3 :: v_dual_mov_b32 v10, v2
	s_mov_b32 s27, 4
	s_branch .LBB62_27
.LBB62_25:                              ;   in Loop: Header=BB62_8 Depth=1
	s_cmp_eq_u32 s5, 0
	s_cbranch_scc1 .LBB62_31
; %bb.26:                               ;   in Loop: Header=BB62_8 Depth=1
	s_mov_b32 s25, -1
                                        ; implicit-def: $vgpr10_vgpr11
                                        ; implicit-def: $vgpr8_vgpr9
                                        ; implicit-def: $sgpr27
.LBB62_27:                              ;   in Loop: Header=BB62_8 Depth=1
	s_delay_alu instid0(SALU_CYCLE_1)
	s_and_b32 vcc_lo, exec_lo, s25
	s_cbranch_vccnz .LBB62_34
.LBB62_28:                              ;   in Loop: Header=BB62_8 Depth=1
	s_and_b32 vcc_lo, exec_lo, s24
	s_cbranch_vccnz .LBB62_39
.LBB62_29:                              ;   in Loop: Header=BB62_8 Depth=1
	s_cmp_gt_i32 s27, 3
	s_mov_b32 s13, -1
	s_cbranch_scc1 .LBB62_40
.LBB62_30:                              ;   in Loop: Header=BB62_8 Depth=1
	s_cmp_eq_u32 s27, 0
	s_cselect_b32 s24, -1, 0
	s_delay_alu instid0(SALU_CYCLE_1)
	s_and_not1_b32 vcc_lo, exec_lo, s24
	s_cbranch_vccz .LBB62_6
	s_branch .LBB62_41
.LBB62_31:                              ;   in Loop: Header=BB62_8 Depth=1
	s_cmp_le_i32 s13, s16
	s_mov_b32 s25, 0
	s_cbranch_scc0 .LBB62_33
; %bb.32:                               ;   in Loop: Header=BB62_8 Depth=1
	s_cmp_lg_u32 s13, s16
	s_mov_b32 s24, -1
	s_cselect_b32 s25, -1, 0
.LBB62_33:                              ;   in Loop: Header=BB62_8 Depth=1
	v_dual_mov_b32 v11, v3 :: v_dual_mov_b32 v10, v2
	v_dual_mov_b32 v9, v5 :: v_dual_mov_b32 v8, v4
	s_mov_b32 s27, 2
	s_and_b32 vcc_lo, exec_lo, s25
	s_cbranch_vccz .LBB62_28
.LBB62_34:                              ;   in Loop: Header=BB62_8 Depth=1
	s_and_saveexec_b32 s27, s3
	s_cbranch_execz .LBB62_36
; %bb.35:                               ;   in Loop: Header=BB62_8 Depth=1
	s_add_i32 s24, s13, s7
	s_delay_alu instid0(SALU_CYCLE_1) | instskip(NEXT) | instid1(SALU_CYCLE_1)
	s_ashr_i32 s25, s24, 31
	s_lshl_b64 s[24:25], s[24:25], 2
	s_delay_alu instid0(SALU_CYCLE_1)
	s_add_u32 s24, s10, s24
	s_addc_u32 s25, s11, s25
	global_load_b32 v8, v1, s[24:25] glc
	s_waitcnt vmcnt(0)
	v_cmp_ne_u32_e32 vcc_lo, 0, v8
	s_cbranch_vccz .LBB62_42
.LBB62_36:                              ;   in Loop: Header=BB62_8 Depth=1
	s_or_b32 exec_lo, exec_lo, s27
	v_mov_b32_e32 v10, 0
	v_mov_b32_e32 v11, 0
	s_waitcnt_vscnt null, 0x0
	s_barrier
	buffer_gl0_inv
	buffer_gl1_inv
	buffer_gl0_inv
	s_and_saveexec_b32 s24, s2
	s_cbranch_execz .LBB62_38
; %bb.37:                               ;   in Loop: Header=BB62_8 Depth=1
	s_mul_i32 s25, s13, s9
	s_mul_hi_u32 s27, s13, s8
	s_ashr_i32 s28, s13, 31
	s_add_i32 s25, s27, s25
	s_mul_i32 s28, s28, s8
	s_delay_alu instid0(SALU_CYCLE_1) | instskip(SKIP_1) | instid1(SALU_CYCLE_1)
	s_add_i32 s29, s25, s28
	s_mul_i32 s28, s13, s8
	s_lshl_b64 s[28:29], s[28:29], 3
	s_delay_alu instid0(SALU_CYCLE_1)
	v_add_co_u32 v8, vcc_lo, v12, s28
	v_add_co_ci_u32_e32 v9, vcc_lo, s29, v13, vcc_lo
	global_load_b64 v[8:9], v[8:9], off
	s_waitcnt vmcnt(0)
	v_fma_f64 v[10:11], -v[6:7], v[8:9], v[2:3]
.LBB62_38:                              ;   in Loop: Header=BB62_8 Depth=1
	s_or_b32 exec_lo, exec_lo, s24
	v_dual_mov_b32 v9, v5 :: v_dual_mov_b32 v8, v4
	s_mov_b32 s27, 0
	s_branch .LBB62_29
.LBB62_39:                              ;   in Loop: Header=BB62_8 Depth=1
	v_div_scale_f64 v[8:9], null, v[6:7], v[6:7], 1.0
	v_div_scale_f64 v[22:23], vcc_lo, 1.0, v[6:7], 1.0
	s_mov_b32 s27, 2
	s_delay_alu instid0(VALU_DEP_2) | instskip(SKIP_2) | instid1(VALU_DEP_1)
	v_rcp_f64_e32 v[10:11], v[8:9]
	s_waitcnt_depctr 0xfff
	v_fma_f64 v[20:21], -v[8:9], v[10:11], 1.0
	v_fma_f64 v[10:11], v[10:11], v[20:21], v[10:11]
	s_delay_alu instid0(VALU_DEP_1) | instskip(NEXT) | instid1(VALU_DEP_1)
	v_fma_f64 v[20:21], -v[8:9], v[10:11], 1.0
	v_fma_f64 v[10:11], v[10:11], v[20:21], v[10:11]
	s_delay_alu instid0(VALU_DEP_1) | instskip(NEXT) | instid1(VALU_DEP_1)
	v_mul_f64 v[20:21], v[22:23], v[10:11]
	v_fma_f64 v[8:9], -v[8:9], v[20:21], v[22:23]
	s_delay_alu instid0(VALU_DEP_1) | instskip(SKIP_1) | instid1(VALU_DEP_2)
	v_div_fmas_f64 v[8:9], v[8:9], v[10:11], v[20:21]
	v_dual_mov_b32 v11, v3 :: v_dual_mov_b32 v10, v2
	v_div_fixup_f64 v[6:7], v[8:9], v[6:7], 1.0
	s_delay_alu instid0(VALU_DEP_1) | instskip(NEXT) | instid1(VALU_DEP_2)
	v_cndmask_b32_e64 v9, v5, v7, s1
	v_cndmask_b32_e64 v8, v4, v6, s1
	s_cmp_gt_i32 s27, 3
	s_mov_b32 s13, -1
	s_cbranch_scc0 .LBB62_30
.LBB62_40:                              ;   in Loop: Header=BB62_8 Depth=1
	s_branch .LBB62_6
.LBB62_41:                              ;   in Loop: Header=BB62_8 Depth=1
                                        ; implicit-def: $sgpr22_sgpr23
	s_branch .LBB62_7
.LBB62_42:                              ;   in Loop: Header=BB62_8 Depth=1
	s_mov_b32 s28, 0
	s_branch .LBB62_44
	.p2align	6
.LBB62_43:                              ;   in Loop: Header=BB62_44 Depth=2
	global_load_b32 v8, v1, s[24:25] glc
	s_cmpk_lt_u32 s28, 0xf43
	s_cselect_b32 s29, -1, 0
	s_delay_alu instid0(SALU_CYCLE_1)
	s_cmp_lg_u32 s29, 0
	s_addc_u32 s28, s28, 0
	s_waitcnt vmcnt(0)
	v_cmp_ne_u32_e32 vcc_lo, 0, v8
	s_cbranch_vccnz .LBB62_36
.LBB62_44:                              ;   Parent Loop BB62_8 Depth=1
                                        ; =>  This Loop Header: Depth=2
                                        ;       Child Loop BB62_45 Depth 3
	s_cmp_eq_u32 s28, 0
	s_mov_b32 s29, s28
	s_cbranch_scc1 .LBB62_43
.LBB62_45:                              ;   Parent Loop BB62_8 Depth=1
                                        ;     Parent Loop BB62_44 Depth=2
                                        ; =>    This Inner Loop Header: Depth=3
	s_add_i32 s29, s29, -1
	s_sleep 1
	s_cmp_eq_u32 s29, 0
	s_cbranch_scc0 .LBB62_45
	s_branch .LBB62_43
.LBB62_46:
	v_dual_mov_b32 v11, v3 :: v_dual_mov_b32 v10, v2
.LBB62_47:
	s_and_saveexec_b32 s0, s2
	s_cbranch_execz .LBB62_49
; %bb.48:
	s_delay_alu instid0(VALU_DEP_1) | instskip(SKIP_3) | instid1(VALU_DEP_1)
	v_mul_f64 v[1:2], v[8:9], v[10:11]
	s_cmp_eq_u32 s6, 0
	s_cselect_b32 vcc_lo, -1, 0
	s_lshl_b64 s[2:3], s[18:19], 3
	v_dual_cndmask_b32 v2, v11, v2 :: v_dual_cndmask_b32 v1, v10, v1
	v_add_co_u32 v3, vcc_lo, v12, s2
	v_add_co_ci_u32_e32 v4, vcc_lo, s3, v13, vcc_lo
	global_store_b64 v[3:4], v[1:2], off
.LBB62_49:
	s_or_b32 exec_lo, exec_lo, s0
	s_waitcnt_vscnt null, 0x0
	buffer_gl1_inv
	buffer_gl0_inv
	s_barrier
	buffer_gl0_inv
	s_mov_b32 s0, exec_lo
	v_cmpx_eq_u32_e32 0, v0
	s_cbranch_execz .LBB62_51
; %bb.50:
	s_add_i32 s0, s16, s7
	v_dual_mov_b32 v0, 0 :: v_dual_mov_b32 v1, 1
	s_ashr_i32 s1, s0, 31
	s_delay_alu instid0(SALU_CYCLE_1) | instskip(NEXT) | instid1(SALU_CYCLE_1)
	s_lshl_b64 s[0:1], s[0:1], 2
	s_add_u32 s0, s10, s0
	s_addc_u32 s1, s11, s1
	global_store_b32 v0, v1, s[0:1]
.LBB62_51:
	s_nop 0
	s_sendmsg sendmsg(MSG_DEALLOC_VGPRS)
	s_endpgm
	.section	.rodata,"a",@progbits
	.p2align	6, 0x0
	.amdhsa_kernel _ZN9rocsparseL5csrsmILj1024ELj64ELb1ElidEEv20rocsparse_operation_T3_S2_NS_24const_host_device_scalarIT4_EEPKT2_PKS2_PKS4_PS4_lPiSA_PS2_21rocsparse_index_base_20rocsparse_fill_mode_20rocsparse_diag_type_b
		.amdhsa_group_segment_fixed_size 12288
		.amdhsa_private_segment_fixed_size 0
		.amdhsa_kernarg_size 104
		.amdhsa_user_sgpr_count 15
		.amdhsa_user_sgpr_dispatch_ptr 0
		.amdhsa_user_sgpr_queue_ptr 0
		.amdhsa_user_sgpr_kernarg_segment_ptr 1
		.amdhsa_user_sgpr_dispatch_id 0
		.amdhsa_user_sgpr_private_segment_size 0
		.amdhsa_wavefront_size32 1
		.amdhsa_uses_dynamic_stack 0
		.amdhsa_enable_private_segment 0
		.amdhsa_system_sgpr_workgroup_id_x 1
		.amdhsa_system_sgpr_workgroup_id_y 0
		.amdhsa_system_sgpr_workgroup_id_z 0
		.amdhsa_system_sgpr_workgroup_info 0
		.amdhsa_system_vgpr_workitem_id 0
		.amdhsa_next_free_vgpr 24
		.amdhsa_next_free_sgpr 30
		.amdhsa_reserve_vcc 1
		.amdhsa_float_round_mode_32 0
		.amdhsa_float_round_mode_16_64 0
		.amdhsa_float_denorm_mode_32 3
		.amdhsa_float_denorm_mode_16_64 3
		.amdhsa_dx10_clamp 1
		.amdhsa_ieee_mode 1
		.amdhsa_fp16_overflow 0
		.amdhsa_workgroup_processor_mode 1
		.amdhsa_memory_ordered 1
		.amdhsa_forward_progress 0
		.amdhsa_shared_vgpr_count 0
		.amdhsa_exception_fp_ieee_invalid_op 0
		.amdhsa_exception_fp_denorm_src 0
		.amdhsa_exception_fp_ieee_div_zero 0
		.amdhsa_exception_fp_ieee_overflow 0
		.amdhsa_exception_fp_ieee_underflow 0
		.amdhsa_exception_fp_ieee_inexact 0
		.amdhsa_exception_int_div_zero 0
	.end_amdhsa_kernel
	.section	.text._ZN9rocsparseL5csrsmILj1024ELj64ELb1ElidEEv20rocsparse_operation_T3_S2_NS_24const_host_device_scalarIT4_EEPKT2_PKS2_PKS4_PS4_lPiSA_PS2_21rocsparse_index_base_20rocsparse_fill_mode_20rocsparse_diag_type_b,"axG",@progbits,_ZN9rocsparseL5csrsmILj1024ELj64ELb1ElidEEv20rocsparse_operation_T3_S2_NS_24const_host_device_scalarIT4_EEPKT2_PKS2_PKS4_PS4_lPiSA_PS2_21rocsparse_index_base_20rocsparse_fill_mode_20rocsparse_diag_type_b,comdat
.Lfunc_end62:
	.size	_ZN9rocsparseL5csrsmILj1024ELj64ELb1ElidEEv20rocsparse_operation_T3_S2_NS_24const_host_device_scalarIT4_EEPKT2_PKS2_PKS4_PS4_lPiSA_PS2_21rocsparse_index_base_20rocsparse_fill_mode_20rocsparse_diag_type_b, .Lfunc_end62-_ZN9rocsparseL5csrsmILj1024ELj64ELb1ElidEEv20rocsparse_operation_T3_S2_NS_24const_host_device_scalarIT4_EEPKT2_PKS2_PKS4_PS4_lPiSA_PS2_21rocsparse_index_base_20rocsparse_fill_mode_20rocsparse_diag_type_b
                                        ; -- End function
	.section	.AMDGPU.csdata,"",@progbits
; Kernel info:
; codeLenInByte = 1940
; NumSgprs: 32
; NumVgprs: 24
; ScratchSize: 0
; MemoryBound: 0
; FloatMode: 240
; IeeeMode: 1
; LDSByteSize: 12288 bytes/workgroup (compile time only)
; SGPRBlocks: 3
; VGPRBlocks: 2
; NumSGPRsForWavesPerEU: 32
; NumVGPRsForWavesPerEU: 24
; Occupancy: 16
; WaveLimiterHint : 1
; COMPUTE_PGM_RSRC2:SCRATCH_EN: 0
; COMPUTE_PGM_RSRC2:USER_SGPR: 15
; COMPUTE_PGM_RSRC2:TRAP_HANDLER: 0
; COMPUTE_PGM_RSRC2:TGID_X_EN: 1
; COMPUTE_PGM_RSRC2:TGID_Y_EN: 0
; COMPUTE_PGM_RSRC2:TGID_Z_EN: 0
; COMPUTE_PGM_RSRC2:TIDIG_COMP_CNT: 0
	.section	.text._ZN9rocsparseL5csrsmILj1024ELj64ELb0ElidEEv20rocsparse_operation_T3_S2_NS_24const_host_device_scalarIT4_EEPKT2_PKS2_PKS4_PS4_lPiSA_PS2_21rocsparse_index_base_20rocsparse_fill_mode_20rocsparse_diag_type_b,"axG",@progbits,_ZN9rocsparseL5csrsmILj1024ELj64ELb0ElidEEv20rocsparse_operation_T3_S2_NS_24const_host_device_scalarIT4_EEPKT2_PKS2_PKS4_PS4_lPiSA_PS2_21rocsparse_index_base_20rocsparse_fill_mode_20rocsparse_diag_type_b,comdat
	.globl	_ZN9rocsparseL5csrsmILj1024ELj64ELb0ElidEEv20rocsparse_operation_T3_S2_NS_24const_host_device_scalarIT4_EEPKT2_PKS2_PKS4_PS4_lPiSA_PS2_21rocsparse_index_base_20rocsparse_fill_mode_20rocsparse_diag_type_b ; -- Begin function _ZN9rocsparseL5csrsmILj1024ELj64ELb0ElidEEv20rocsparse_operation_T3_S2_NS_24const_host_device_scalarIT4_EEPKT2_PKS2_PKS4_PS4_lPiSA_PS2_21rocsparse_index_base_20rocsparse_fill_mode_20rocsparse_diag_type_b
	.p2align	8
	.type	_ZN9rocsparseL5csrsmILj1024ELj64ELb0ElidEEv20rocsparse_operation_T3_S2_NS_24const_host_device_scalarIT4_EEPKT2_PKS2_PKS4_PS4_lPiSA_PS2_21rocsparse_index_base_20rocsparse_fill_mode_20rocsparse_diag_type_b,@function
_ZN9rocsparseL5csrsmILj1024ELj64ELb0ElidEEv20rocsparse_operation_T3_S2_NS_24const_host_device_scalarIT4_EEPKT2_PKS2_PKS4_PS4_lPiSA_PS2_21rocsparse_index_base_20rocsparse_fill_mode_20rocsparse_diag_type_b: ; @_ZN9rocsparseL5csrsmILj1024ELj64ELb0ElidEEv20rocsparse_operation_T3_S2_NS_24const_host_device_scalarIT4_EEPKT2_PKS2_PKS4_PS4_lPiSA_PS2_21rocsparse_index_base_20rocsparse_fill_mode_20rocsparse_diag_type_b
; %bb.0:
	s_clause 0x3
	s_load_b128 s[4:7], s[0:1], 0x58
	s_load_b128 s[16:19], s[0:1], 0x10
	s_load_b64 s[2:3], s[0:1], 0x48
	s_load_b64 s[20:21], s[0:1], 0x30
	s_waitcnt lgkmcnt(0)
	s_bitcmp1_b32 s7, 0
	v_dual_mov_b32 v4, s16 :: v_dual_mov_b32 v5, s17
	s_cselect_b32 s7, -1, 0
	s_delay_alu instid0(SALU_CYCLE_1)
	s_and_b32 vcc_lo, exec_lo, s7
	s_cbranch_vccnz .LBB63_2
; %bb.1:
	v_dual_mov_b32 v1, s16 :: v_dual_mov_b32 v2, s17
	flat_load_b64 v[4:5], v[1:2]
.LBB63_2:
	s_load_b64 s[22:23], s[0:1], 0x4
	v_mov_b32_e32 v2, 0
	v_mov_b32_e32 v3, 0
	s_waitcnt lgkmcnt(0)
	v_cvt_f32_u32_e32 v1, s22
	s_sub_i32 s8, 0, s22
	s_delay_alu instid0(VALU_DEP_1) | instskip(SKIP_2) | instid1(VALU_DEP_1)
	v_rcp_iflag_f32_e32 v1, v1
	s_waitcnt_depctr 0xfff
	v_mul_f32_e32 v1, 0x4f7ffffe, v1
	v_cvt_u32_f32_e32 v1, v1
	s_delay_alu instid0(VALU_DEP_1) | instskip(NEXT) | instid1(VALU_DEP_1)
	v_readfirstlane_b32 s7, v1
	s_mul_i32 s8, s8, s7
	s_delay_alu instid0(SALU_CYCLE_1) | instskip(NEXT) | instid1(SALU_CYCLE_1)
	s_mul_hi_u32 s8, s7, s8
	s_add_i32 s7, s7, s8
	s_delay_alu instid0(SALU_CYCLE_1) | instskip(NEXT) | instid1(SALU_CYCLE_1)
	s_mul_hi_u32 s7, s15, s7
	s_mul_i32 s8, s7, s22
	s_add_i32 s9, s7, 1
	s_sub_i32 s8, s15, s8
	s_delay_alu instid0(SALU_CYCLE_1)
	s_sub_i32 s10, s8, s22
	s_cmp_ge_u32 s8, s22
	s_cselect_b32 s7, s9, s7
	s_cselect_b32 s8, s10, s8
	s_add_i32 s9, s7, 1
	s_cmp_ge_u32 s8, s22
	s_cselect_b32 s24, s9, s7
	s_delay_alu instid0(SALU_CYCLE_1) | instskip(SKIP_2) | instid1(SALU_CYCLE_1)
	s_mul_i32 s7, s24, s22
	v_lshl_or_b32 v6, s24, 10, v0
	s_sub_i32 s8, s15, s7
	s_ashr_i32 s9, s8, 31
	s_delay_alu instid0(VALU_DEP_1) | instskip(SKIP_1) | instid1(SALU_CYCLE_1)
	v_ashrrev_i32_e32 v7, 31, v6
	s_lshl_b64 s[8:9], s[8:9], 2
	s_add_u32 s2, s2, s8
	s_addc_u32 s3, s3, s9
	s_load_b32 s16, s[2:3], 0x0
	s_load_b128 s[8:11], s[0:1], 0x38
	s_waitcnt lgkmcnt(0)
	s_ashr_i32 s17, s16, 31
	s_delay_alu instid0(SALU_CYCLE_1)
	s_lshl_b64 s[2:3], s[16:17], 3
	s_mul_i32 s17, s17, s8
	s_add_u32 s2, s18, s2
	s_addc_u32 s3, s19, s3
	s_mul_i32 s18, s16, s8
	s_load_b128 s[12:15], s[2:3], 0x0
	s_mul_i32 s2, s16, s9
	s_mul_hi_u32 s3, s16, s8
	s_delay_alu instid0(SALU_CYCLE_1) | instskip(SKIP_2) | instid1(VALU_DEP_1)
	s_add_i32 s3, s3, s2
	v_cmp_gt_i32_e64 s2, s23, v6
	s_add_i32 s19, s3, s17
	s_and_saveexec_b32 s3, s2
	s_cbranch_execz .LBB63_4
; %bb.3:
	v_add_co_u32 v1, vcc_lo, s18, v6
	v_add_co_ci_u32_e32 v2, vcc_lo, s19, v7, vcc_lo
	s_delay_alu instid0(VALU_DEP_1) | instskip(NEXT) | instid1(VALU_DEP_1)
	v_lshlrev_b64 v[1:2], 3, v[1:2]
	v_add_co_u32 v1, vcc_lo, s20, v1
	s_delay_alu instid0(VALU_DEP_2)
	v_add_co_ci_u32_e32 v2, vcc_lo, s21, v2, vcc_lo
	global_load_b64 v[1:2], v[1:2], off
	s_waitcnt vmcnt(0)
	v_mul_f64 v[2:3], v[4:5], v[1:2]
.LBB63_4:
	s_or_b32 exec_lo, exec_lo, s3
	s_waitcnt vmcnt(0)
	v_lshlrev_b64 v[4:5], 3, v[6:7]
	s_waitcnt lgkmcnt(0)
	v_cmp_ge_i64_e64 s3, s[12:13], s[14:15]
	v_mov_b32_e32 v8, 0
	v_mov_b32_e32 v9, 0x3ff00000
	s_delay_alu instid0(VALU_DEP_4)
	v_add_co_u32 v12, vcc_lo, s20, v4
	v_add_co_ci_u32_e32 v13, vcc_lo, s21, v5, vcc_lo
	s_and_b32 vcc_lo, exec_lo, s3
	v_cmp_eq_u32_e64 s3, 0, v0
	s_cbranch_vccnz .LBB63_43
; %bb.5:
	s_clause 0x1
	s_load_b128 s[24:27], s[0:1], 0x20
	s_load_b64 s[20:21], s[0:1], 0x50
	v_dual_mov_b32 v1, 0 :: v_dual_lshlrev_b32 v4, 2, v0
	v_lshlrev_b32_e32 v14, 3, v0
	s_sub_u32 s12, s12, s4
	s_subb_u32 s13, s13, 0
	s_sub_u32 s14, s14, s4
	s_subb_u32 s15, s15, 0
	v_or_b32_e32 v15, 0x2000, v4
	s_cmp_lg_u32 s6, 0
	v_cmp_ne_u32_e64 s0, 0, v0
	s_cselect_b32 s17, -1, 0
	s_mov_b64 s[22:23], s[12:13]
	s_waitcnt lgkmcnt(0)
	v_add_co_u32 v16, s1, s24, v4
	v_mov_b32_e32 v4, 0
	v_mov_b32_e32 v5, 0x3ff00000
	v_add_co_ci_u32_e64 v17, null, s25, 0, s1
	v_add_co_u32 v18, s1, s26, v14
	s_delay_alu instid0(VALU_DEP_1)
	v_add_co_ci_u32_e64 v19, null, s27, 0, s1
	s_add_i32 s26, s16, s4
	s_cmp_eq_u32 s6, 0
	s_cselect_b32 s1, -1, 0
	s_branch .LBB63_8
.LBB63_6:                               ;   in Loop: Header=BB63_8 Depth=1
	s_add_u32 s22, s22, 1
	s_addc_u32 s23, s23, 0
	s_delay_alu instid0(SALU_CYCLE_1)
	v_cmp_ge_i64_e64 s13, s[22:23], s[14:15]
.LBB63_7:                               ;   in Loop: Header=BB63_8 Depth=1
	s_delay_alu instid0(VALU_DEP_2) | instskip(SKIP_1) | instid1(VALU_DEP_3)
	v_dual_mov_b32 v2, v10 :: v_dual_mov_b32 v3, v11
	v_dual_mov_b32 v4, v8 :: v_dual_mov_b32 v5, v9
	s_and_not1_b32 vcc_lo, exec_lo, s13
	s_cbranch_vccz .LBB63_44
.LBB63_8:                               ; =>This Loop Header: Depth=1
                                        ;     Child Loop BB63_36 Depth 2
	s_sub_i32 s13, s22, s12
	s_delay_alu instid0(SALU_CYCLE_1) | instskip(NEXT) | instid1(SALU_CYCLE_1)
	s_and_b32 s13, s13, 0x3ff
	s_cmp_lg_u32 s13, 0
	s_cbranch_scc1 .LBB63_12
; %bb.9:                                ;   in Loop: Header=BB63_8 Depth=1
	s_sub_u32 s24, s14, s22
	s_subb_u32 s25, s15, s23
	v_mov_b32_e32 v6, 0
	v_cmp_gt_i64_e32 vcc_lo, s[24:25], v[0:1]
	v_dual_mov_b32 v7, 0xbff00000 :: v_dual_mov_b32 v8, -1
	s_and_saveexec_b32 s24, vcc_lo
	s_cbranch_execz .LBB63_11
; %bb.10:                               ;   in Loop: Header=BB63_8 Depth=1
	s_lshl_b64 s[28:29], s[22:23], 2
	s_delay_alu instid0(SALU_CYCLE_1)
	v_add_co_u32 v6, vcc_lo, v16, s28
	v_add_co_ci_u32_e32 v7, vcc_lo, s29, v17, vcc_lo
	s_lshl_b64 s[28:29], s[22:23], 3
	global_load_b32 v8, v[6:7], off
	v_add_co_u32 v6, vcc_lo, v18, s28
	v_add_co_ci_u32_e32 v7, vcc_lo, s29, v19, vcc_lo
	global_load_b64 v[6:7], v[6:7], off
	s_waitcnt vmcnt(1)
	v_subrev_nc_u32_e32 v8, s4, v8
.LBB63_11:                              ;   in Loop: Header=BB63_8 Depth=1
	s_or_b32 exec_lo, exec_lo, s24
	ds_store_b32 v15, v8
	s_waitcnt vmcnt(0)
	ds_store_b64 v14, v[6:7]
.LBB63_12:                              ;   in Loop: Header=BB63_8 Depth=1
	s_lshl_b32 s24, s13, 3
	s_waitcnt lgkmcnt(0)
	v_mov_b32_e32 v6, s24
	s_waitcnt_vscnt null, 0x0
	s_barrier
	buffer_gl0_inv
	s_lshl_b32 s13, s13, 2
	s_delay_alu instid0(SALU_CYCLE_1)
	v_mov_b32_e32 v8, s13
	ds_load_b64 v[6:7], v6
	ds_load_b32 v8, v8 offset:8192
	s_waitcnt lgkmcnt(1)
	v_cmp_neq_f64_e32 vcc_lo, 0, v[6:7]
	s_waitcnt lgkmcnt(0)
	v_readfirstlane_b32 s13, v8
	s_delay_alu instid0(VALU_DEP_1) | instskip(SKIP_1) | instid1(SALU_CYCLE_1)
	s_cmp_lg_u32 s13, s16
	s_cselect_b32 s24, -1, 0
	s_or_b32 s24, s17, s24
	s_delay_alu instid0(SALU_CYCLE_1) | instskip(SKIP_3) | instid1(SALU_CYCLE_1)
	s_or_b32 vcc_lo, vcc_lo, s24
	v_cndmask_b32_e32 v7, 0x3ff00000, v7, vcc_lo
	v_cndmask_b32_e32 v6, 0, v6, vcc_lo
	s_or_b32 s24, s0, vcc_lo
	s_xor_b32 s25, s24, -1
	s_delay_alu instid0(SALU_CYCLE_1)
	s_and_saveexec_b32 s24, s25
	s_cbranch_execz .LBB63_16
; %bb.13:                               ;   in Loop: Header=BB63_8 Depth=1
	v_mbcnt_lo_u32_b32 v6, exec_lo, 0
	s_mov_b32 s25, exec_lo
	s_delay_alu instid0(VALU_DEP_1)
	v_cmpx_eq_u32_e32 0, v6
	s_cbranch_execz .LBB63_15
; %bb.14:                               ;   in Loop: Header=BB63_8 Depth=1
	v_mov_b32_e32 v6, s26
	global_atomic_min_i32 v1, v6, s[20:21]
.LBB63_15:                              ;   in Loop: Header=BB63_8 Depth=1
	s_or_b32 exec_lo, exec_lo, s25
	v_mov_b32_e32 v6, 0
	v_mov_b32_e32 v7, 0x3ff00000
.LBB63_16:                              ;   in Loop: Header=BB63_8 Depth=1
	s_or_b32 exec_lo, exec_lo, s24
	s_cmp_lt_i32 s5, 1
	s_mov_b32 s24, 0
	s_cbranch_scc1 .LBB63_21
; %bb.17:                               ;   in Loop: Header=BB63_8 Depth=1
	s_cmp_eq_u32 s5, 1
	s_cbranch_scc0 .LBB63_22
; %bb.18:                               ;   in Loop: Header=BB63_8 Depth=1
	v_dual_mov_b32 v9, v5 :: v_dual_mov_b32 v8, v4
	s_cmp_ge_i32 s13, s16
	s_mov_b32 s25, 0
	s_cbranch_scc0 .LBB63_24
; %bb.19:                               ;   in Loop: Header=BB63_8 Depth=1
	s_cmp_eq_u32 s13, s16
	s_cbranch_scc0 .LBB63_23
; %bb.20:                               ;   in Loop: Header=BB63_8 Depth=1
	v_div_scale_f64 v[8:9], null, v[6:7], v[6:7], 1.0
	v_div_scale_f64 v[22:23], vcc_lo, 1.0, v[6:7], 1.0
	s_delay_alu instid0(VALU_DEP_2) | instskip(SKIP_2) | instid1(VALU_DEP_1)
	v_rcp_f64_e32 v[10:11], v[8:9]
	s_waitcnt_depctr 0xfff
	v_fma_f64 v[20:21], -v[8:9], v[10:11], 1.0
	v_fma_f64 v[10:11], v[10:11], v[20:21], v[10:11]
	s_delay_alu instid0(VALU_DEP_1) | instskip(NEXT) | instid1(VALU_DEP_1)
	v_fma_f64 v[20:21], -v[8:9], v[10:11], 1.0
	v_fma_f64 v[10:11], v[10:11], v[20:21], v[10:11]
	s_delay_alu instid0(VALU_DEP_1) | instskip(NEXT) | instid1(VALU_DEP_1)
	v_mul_f64 v[20:21], v[22:23], v[10:11]
	v_fma_f64 v[8:9], -v[8:9], v[20:21], v[22:23]
	s_delay_alu instid0(VALU_DEP_1) | instskip(NEXT) | instid1(VALU_DEP_1)
	v_div_fmas_f64 v[8:9], v[8:9], v[10:11], v[20:21]
	v_div_fixup_f64 v[8:9], v[8:9], v[6:7], 1.0
	s_delay_alu instid0(VALU_DEP_1) | instskip(NEXT) | instid1(VALU_DEP_2)
	v_cndmask_b32_e64 v9, v5, v9, s1
	v_cndmask_b32_e64 v8, v4, v8, s1
	s_branch .LBB63_24
.LBB63_21:                              ;   in Loop: Header=BB63_8 Depth=1
	s_mov_b32 s25, 0
                                        ; implicit-def: $vgpr10_vgpr11
                                        ; implicit-def: $vgpr8_vgpr9
                                        ; implicit-def: $sgpr27
	s_cbranch_execnz .LBB63_25
	s_branch .LBB63_27
.LBB63_22:                              ;   in Loop: Header=BB63_8 Depth=1
	s_mov_b32 s25, -1
                                        ; implicit-def: $vgpr10_vgpr11
                                        ; implicit-def: $vgpr8_vgpr9
                                        ; implicit-def: $sgpr27
	s_branch .LBB63_27
.LBB63_23:                              ;   in Loop: Header=BB63_8 Depth=1
	s_mov_b32 s25, -1
                                        ; implicit-def: $vgpr8_vgpr9
.LBB63_24:                              ;   in Loop: Header=BB63_8 Depth=1
	v_dual_mov_b32 v11, v3 :: v_dual_mov_b32 v10, v2
	s_mov_b32 s27, 4
	s_branch .LBB63_27
.LBB63_25:                              ;   in Loop: Header=BB63_8 Depth=1
	s_cmp_eq_u32 s5, 0
	s_cbranch_scc1 .LBB63_31
; %bb.26:                               ;   in Loop: Header=BB63_8 Depth=1
	s_mov_b32 s25, -1
                                        ; implicit-def: $vgpr10_vgpr11
                                        ; implicit-def: $vgpr8_vgpr9
                                        ; implicit-def: $sgpr27
.LBB63_27:                              ;   in Loop: Header=BB63_8 Depth=1
	s_delay_alu instid0(SALU_CYCLE_1)
	s_and_b32 vcc_lo, exec_lo, s25
	s_cbranch_vccnz .LBB63_34
.LBB63_28:                              ;   in Loop: Header=BB63_8 Depth=1
	s_and_b32 vcc_lo, exec_lo, s24
	s_cbranch_vccnz .LBB63_40
.LBB63_29:                              ;   in Loop: Header=BB63_8 Depth=1
	s_cmp_gt_i32 s27, 3
	s_mov_b32 s13, -1
	s_cbranch_scc1 .LBB63_41
.LBB63_30:                              ;   in Loop: Header=BB63_8 Depth=1
	s_cmp_eq_u32 s27, 0
	s_cselect_b32 s24, -1, 0
	s_delay_alu instid0(SALU_CYCLE_1)
	s_and_not1_b32 vcc_lo, exec_lo, s24
	s_cbranch_vccz .LBB63_6
	s_branch .LBB63_42
.LBB63_31:                              ;   in Loop: Header=BB63_8 Depth=1
	s_cmp_le_i32 s13, s16
	s_mov_b32 s25, 0
	s_cbranch_scc0 .LBB63_33
; %bb.32:                               ;   in Loop: Header=BB63_8 Depth=1
	s_cmp_lg_u32 s13, s16
	s_mov_b32 s24, -1
	s_cselect_b32 s25, -1, 0
.LBB63_33:                              ;   in Loop: Header=BB63_8 Depth=1
	v_dual_mov_b32 v11, v3 :: v_dual_mov_b32 v10, v2
	v_dual_mov_b32 v9, v5 :: v_dual_mov_b32 v8, v4
	s_mov_b32 s27, 2
	s_and_b32 vcc_lo, exec_lo, s25
	s_cbranch_vccz .LBB63_28
.LBB63_34:                              ;   in Loop: Header=BB63_8 Depth=1
	s_and_saveexec_b32 s27, s3
	s_cbranch_execz .LBB63_37
; %bb.35:                               ;   in Loop: Header=BB63_8 Depth=1
	s_add_i32 s24, s13, s7
	s_delay_alu instid0(SALU_CYCLE_1) | instskip(NEXT) | instid1(SALU_CYCLE_1)
	s_ashr_i32 s25, s24, 31
	s_lshl_b64 s[24:25], s[24:25], 2
	s_delay_alu instid0(SALU_CYCLE_1)
	s_add_u32 s24, s10, s24
	s_addc_u32 s25, s11, s25
	global_load_b32 v8, v1, s[24:25] glc
	s_waitcnt vmcnt(0)
	v_cmp_ne_u32_e32 vcc_lo, 0, v8
	s_cbranch_vccnz .LBB63_37
.LBB63_36:                              ;   Parent Loop BB63_8 Depth=1
                                        ; =>  This Inner Loop Header: Depth=2
	global_load_b32 v8, v1, s[24:25] glc
	s_waitcnt vmcnt(0)
	v_cmp_eq_u32_e32 vcc_lo, 0, v8
	s_cbranch_vccnz .LBB63_36
.LBB63_37:                              ;   in Loop: Header=BB63_8 Depth=1
	s_or_b32 exec_lo, exec_lo, s27
	v_mov_b32_e32 v10, 0
	v_mov_b32_e32 v11, 0
	s_waitcnt_vscnt null, 0x0
	s_barrier
	buffer_gl0_inv
	buffer_gl1_inv
	buffer_gl0_inv
	s_and_saveexec_b32 s24, s2
	s_cbranch_execz .LBB63_39
; %bb.38:                               ;   in Loop: Header=BB63_8 Depth=1
	s_mul_i32 s25, s13, s9
	s_mul_hi_u32 s27, s13, s8
	s_ashr_i32 s28, s13, 31
	s_add_i32 s25, s27, s25
	s_mul_i32 s28, s28, s8
	s_delay_alu instid0(SALU_CYCLE_1) | instskip(SKIP_1) | instid1(SALU_CYCLE_1)
	s_add_i32 s29, s25, s28
	s_mul_i32 s28, s13, s8
	s_lshl_b64 s[28:29], s[28:29], 3
	s_delay_alu instid0(SALU_CYCLE_1)
	v_add_co_u32 v8, vcc_lo, v12, s28
	v_add_co_ci_u32_e32 v9, vcc_lo, s29, v13, vcc_lo
	global_load_b64 v[8:9], v[8:9], off
	s_waitcnt vmcnt(0)
	v_fma_f64 v[10:11], -v[6:7], v[8:9], v[2:3]
.LBB63_39:                              ;   in Loop: Header=BB63_8 Depth=1
	s_or_b32 exec_lo, exec_lo, s24
	v_dual_mov_b32 v9, v5 :: v_dual_mov_b32 v8, v4
	s_mov_b32 s27, 0
	s_branch .LBB63_29
.LBB63_40:                              ;   in Loop: Header=BB63_8 Depth=1
	v_div_scale_f64 v[8:9], null, v[6:7], v[6:7], 1.0
	v_div_scale_f64 v[22:23], vcc_lo, 1.0, v[6:7], 1.0
	s_mov_b32 s27, 2
	s_delay_alu instid0(VALU_DEP_2) | instskip(SKIP_2) | instid1(VALU_DEP_1)
	v_rcp_f64_e32 v[10:11], v[8:9]
	s_waitcnt_depctr 0xfff
	v_fma_f64 v[20:21], -v[8:9], v[10:11], 1.0
	v_fma_f64 v[10:11], v[10:11], v[20:21], v[10:11]
	s_delay_alu instid0(VALU_DEP_1) | instskip(NEXT) | instid1(VALU_DEP_1)
	v_fma_f64 v[20:21], -v[8:9], v[10:11], 1.0
	v_fma_f64 v[10:11], v[10:11], v[20:21], v[10:11]
	s_delay_alu instid0(VALU_DEP_1) | instskip(NEXT) | instid1(VALU_DEP_1)
	v_mul_f64 v[20:21], v[22:23], v[10:11]
	v_fma_f64 v[8:9], -v[8:9], v[20:21], v[22:23]
	s_delay_alu instid0(VALU_DEP_1) | instskip(SKIP_1) | instid1(VALU_DEP_2)
	v_div_fmas_f64 v[8:9], v[8:9], v[10:11], v[20:21]
	v_dual_mov_b32 v11, v3 :: v_dual_mov_b32 v10, v2
	v_div_fixup_f64 v[6:7], v[8:9], v[6:7], 1.0
	s_delay_alu instid0(VALU_DEP_1) | instskip(NEXT) | instid1(VALU_DEP_2)
	v_cndmask_b32_e64 v9, v5, v7, s1
	v_cndmask_b32_e64 v8, v4, v6, s1
	s_cmp_gt_i32 s27, 3
	s_mov_b32 s13, -1
	s_cbranch_scc0 .LBB63_30
.LBB63_41:                              ;   in Loop: Header=BB63_8 Depth=1
	s_branch .LBB63_6
.LBB63_42:                              ;   in Loop: Header=BB63_8 Depth=1
                                        ; implicit-def: $sgpr22_sgpr23
	s_branch .LBB63_7
.LBB63_43:
	v_dual_mov_b32 v11, v3 :: v_dual_mov_b32 v10, v2
.LBB63_44:
	s_and_saveexec_b32 s0, s2
	s_cbranch_execz .LBB63_46
; %bb.45:
	s_delay_alu instid0(VALU_DEP_1) | instskip(SKIP_3) | instid1(VALU_DEP_1)
	v_mul_f64 v[1:2], v[8:9], v[10:11]
	s_cmp_eq_u32 s6, 0
	s_cselect_b32 vcc_lo, -1, 0
	s_lshl_b64 s[2:3], s[18:19], 3
	v_dual_cndmask_b32 v2, v11, v2 :: v_dual_cndmask_b32 v1, v10, v1
	v_add_co_u32 v3, vcc_lo, v12, s2
	v_add_co_ci_u32_e32 v4, vcc_lo, s3, v13, vcc_lo
	global_store_b64 v[3:4], v[1:2], off
.LBB63_46:
	s_or_b32 exec_lo, exec_lo, s0
	s_waitcnt_vscnt null, 0x0
	buffer_gl1_inv
	buffer_gl0_inv
	s_barrier
	buffer_gl0_inv
	s_mov_b32 s0, exec_lo
	v_cmpx_eq_u32_e32 0, v0
	s_cbranch_execz .LBB63_48
; %bb.47:
	s_add_i32 s0, s16, s7
	v_dual_mov_b32 v0, 0 :: v_dual_mov_b32 v1, 1
	s_ashr_i32 s1, s0, 31
	s_delay_alu instid0(SALU_CYCLE_1) | instskip(NEXT) | instid1(SALU_CYCLE_1)
	s_lshl_b64 s[0:1], s[0:1], 2
	s_add_u32 s0, s10, s0
	s_addc_u32 s1, s11, s1
	global_store_b32 v0, v1, s[0:1]
.LBB63_48:
	s_nop 0
	s_sendmsg sendmsg(MSG_DEALLOC_VGPRS)
	s_endpgm
	.section	.rodata,"a",@progbits
	.p2align	6, 0x0
	.amdhsa_kernel _ZN9rocsparseL5csrsmILj1024ELj64ELb0ElidEEv20rocsparse_operation_T3_S2_NS_24const_host_device_scalarIT4_EEPKT2_PKS2_PKS4_PS4_lPiSA_PS2_21rocsparse_index_base_20rocsparse_fill_mode_20rocsparse_diag_type_b
		.amdhsa_group_segment_fixed_size 12288
		.amdhsa_private_segment_fixed_size 0
		.amdhsa_kernarg_size 104
		.amdhsa_user_sgpr_count 15
		.amdhsa_user_sgpr_dispatch_ptr 0
		.amdhsa_user_sgpr_queue_ptr 0
		.amdhsa_user_sgpr_kernarg_segment_ptr 1
		.amdhsa_user_sgpr_dispatch_id 0
		.amdhsa_user_sgpr_private_segment_size 0
		.amdhsa_wavefront_size32 1
		.amdhsa_uses_dynamic_stack 0
		.amdhsa_enable_private_segment 0
		.amdhsa_system_sgpr_workgroup_id_x 1
		.amdhsa_system_sgpr_workgroup_id_y 0
		.amdhsa_system_sgpr_workgroup_id_z 0
		.amdhsa_system_sgpr_workgroup_info 0
		.amdhsa_system_vgpr_workitem_id 0
		.amdhsa_next_free_vgpr 24
		.amdhsa_next_free_sgpr 30
		.amdhsa_reserve_vcc 1
		.amdhsa_float_round_mode_32 0
		.amdhsa_float_round_mode_16_64 0
		.amdhsa_float_denorm_mode_32 3
		.amdhsa_float_denorm_mode_16_64 3
		.amdhsa_dx10_clamp 1
		.amdhsa_ieee_mode 1
		.amdhsa_fp16_overflow 0
		.amdhsa_workgroup_processor_mode 1
		.amdhsa_memory_ordered 1
		.amdhsa_forward_progress 0
		.amdhsa_shared_vgpr_count 0
		.amdhsa_exception_fp_ieee_invalid_op 0
		.amdhsa_exception_fp_denorm_src 0
		.amdhsa_exception_fp_ieee_div_zero 0
		.amdhsa_exception_fp_ieee_overflow 0
		.amdhsa_exception_fp_ieee_underflow 0
		.amdhsa_exception_fp_ieee_inexact 0
		.amdhsa_exception_int_div_zero 0
	.end_amdhsa_kernel
	.section	.text._ZN9rocsparseL5csrsmILj1024ELj64ELb0ElidEEv20rocsparse_operation_T3_S2_NS_24const_host_device_scalarIT4_EEPKT2_PKS2_PKS4_PS4_lPiSA_PS2_21rocsparse_index_base_20rocsparse_fill_mode_20rocsparse_diag_type_b,"axG",@progbits,_ZN9rocsparseL5csrsmILj1024ELj64ELb0ElidEEv20rocsparse_operation_T3_S2_NS_24const_host_device_scalarIT4_EEPKT2_PKS2_PKS4_PS4_lPiSA_PS2_21rocsparse_index_base_20rocsparse_fill_mode_20rocsparse_diag_type_b,comdat
.Lfunc_end63:
	.size	_ZN9rocsparseL5csrsmILj1024ELj64ELb0ElidEEv20rocsparse_operation_T3_S2_NS_24const_host_device_scalarIT4_EEPKT2_PKS2_PKS4_PS4_lPiSA_PS2_21rocsparse_index_base_20rocsparse_fill_mode_20rocsparse_diag_type_b, .Lfunc_end63-_ZN9rocsparseL5csrsmILj1024ELj64ELb0ElidEEv20rocsparse_operation_T3_S2_NS_24const_host_device_scalarIT4_EEPKT2_PKS2_PKS4_PS4_lPiSA_PS2_21rocsparse_index_base_20rocsparse_fill_mode_20rocsparse_diag_type_b
                                        ; -- End function
	.section	.AMDGPU.csdata,"",@progbits
; Kernel info:
; codeLenInByte = 1880
; NumSgprs: 32
; NumVgprs: 24
; ScratchSize: 0
; MemoryBound: 0
; FloatMode: 240
; IeeeMode: 1
; LDSByteSize: 12288 bytes/workgroup (compile time only)
; SGPRBlocks: 3
; VGPRBlocks: 2
; NumSGPRsForWavesPerEU: 32
; NumVGPRsForWavesPerEU: 24
; Occupancy: 16
; WaveLimiterHint : 1
; COMPUTE_PGM_RSRC2:SCRATCH_EN: 0
; COMPUTE_PGM_RSRC2:USER_SGPR: 15
; COMPUTE_PGM_RSRC2:TRAP_HANDLER: 0
; COMPUTE_PGM_RSRC2:TGID_X_EN: 1
; COMPUTE_PGM_RSRC2:TGID_Y_EN: 0
; COMPUTE_PGM_RSRC2:TGID_Z_EN: 0
; COMPUTE_PGM_RSRC2:TIDIG_COMP_CNT: 0
	.section	.text._ZN9rocsparseL5csrsmILj64ELj64ELb1Eli21rocsparse_complex_numIfEEEv20rocsparse_operation_T3_S4_NS_24const_host_device_scalarIT4_EEPKT2_PKS4_PKS6_PS6_lPiSC_PS4_21rocsparse_index_base_20rocsparse_fill_mode_20rocsparse_diag_type_b,"axG",@progbits,_ZN9rocsparseL5csrsmILj64ELj64ELb1Eli21rocsparse_complex_numIfEEEv20rocsparse_operation_T3_S4_NS_24const_host_device_scalarIT4_EEPKT2_PKS4_PKS6_PS6_lPiSC_PS4_21rocsparse_index_base_20rocsparse_fill_mode_20rocsparse_diag_type_b,comdat
	.globl	_ZN9rocsparseL5csrsmILj64ELj64ELb1Eli21rocsparse_complex_numIfEEEv20rocsparse_operation_T3_S4_NS_24const_host_device_scalarIT4_EEPKT2_PKS4_PKS6_PS6_lPiSC_PS4_21rocsparse_index_base_20rocsparse_fill_mode_20rocsparse_diag_type_b ; -- Begin function _ZN9rocsparseL5csrsmILj64ELj64ELb1Eli21rocsparse_complex_numIfEEEv20rocsparse_operation_T3_S4_NS_24const_host_device_scalarIT4_EEPKT2_PKS4_PKS6_PS6_lPiSC_PS4_21rocsparse_index_base_20rocsparse_fill_mode_20rocsparse_diag_type_b
	.p2align	8
	.type	_ZN9rocsparseL5csrsmILj64ELj64ELb1Eli21rocsparse_complex_numIfEEEv20rocsparse_operation_T3_S4_NS_24const_host_device_scalarIT4_EEPKT2_PKS4_PKS6_PS6_lPiSC_PS4_21rocsparse_index_base_20rocsparse_fill_mode_20rocsparse_diag_type_b,@function
_ZN9rocsparseL5csrsmILj64ELj64ELb1Eli21rocsparse_complex_numIfEEEv20rocsparse_operation_T3_S4_NS_24const_host_device_scalarIT4_EEPKT2_PKS4_PKS6_PS6_lPiSC_PS4_21rocsparse_index_base_20rocsparse_fill_mode_20rocsparse_diag_type_b: ; @_ZN9rocsparseL5csrsmILj64ELj64ELb1Eli21rocsparse_complex_numIfEEEv20rocsparse_operation_T3_S4_NS_24const_host_device_scalarIT4_EEPKT2_PKS4_PKS6_PS6_lPiSC_PS4_21rocsparse_index_base_20rocsparse_fill_mode_20rocsparse_diag_type_b
; %bb.0:
	s_clause 0x2
	s_load_b128 s[4:7], s[0:1], 0x58
	s_load_b128 s[8:11], s[0:1], 0x10
	s_load_b64 s[2:3], s[0:1], 0x48
	s_waitcnt lgkmcnt(0)
	s_bitcmp1_b32 s7, 0
	s_mov_b32 s26, s8
	s_cselect_b32 s12, -1, 0
	s_delay_alu instid0(SALU_CYCLE_1)
	s_xor_b32 s7, s12, -1
	s_and_b32 vcc_lo, exec_lo, s12
	s_cbranch_vccnz .LBB64_2
; %bb.1:
	s_load_b32 s26, s[8:9], 0x0
.LBB64_2:
	s_load_b64 s[24:25], s[0:1], 0x30
	s_and_not1_b32 vcc_lo, exec_lo, s7
	s_cbranch_vccnz .LBB64_4
; %bb.3:
	s_load_b32 s9, s[8:9], 0x4
.LBB64_4:
	s_clause 0x1
	s_load_b128 s[16:19], s[0:1], 0x0
	s_load_b64 s[22:23], s[0:1], 0x38
	s_waitcnt lgkmcnt(0)
	v_cvt_f32_u32_e32 v1, s17
	s_sub_i32 s8, 0, s17
	s_delay_alu instid0(VALU_DEP_1) | instskip(SKIP_2) | instid1(VALU_DEP_1)
	v_rcp_iflag_f32_e32 v1, v1
	s_waitcnt_depctr 0xfff
	v_mul_f32_e32 v1, 0x4f7ffffe, v1
	v_cvt_u32_f32_e32 v1, v1
	s_delay_alu instid0(VALU_DEP_1) | instskip(NEXT) | instid1(VALU_DEP_1)
	v_readfirstlane_b32 s7, v1
	s_mul_i32 s8, s8, s7
	s_delay_alu instid0(SALU_CYCLE_1) | instskip(NEXT) | instid1(SALU_CYCLE_1)
	s_mul_hi_u32 s8, s7, s8
	s_add_i32 s7, s7, s8
	s_delay_alu instid0(SALU_CYCLE_1) | instskip(NEXT) | instid1(SALU_CYCLE_1)
	s_mul_hi_u32 s7, s15, s7
	s_mul_i32 s8, s7, s17
	s_add_i32 s12, s7, 1
	s_sub_i32 s8, s15, s8
	s_delay_alu instid0(SALU_CYCLE_1)
	s_sub_i32 s13, s8, s17
	s_cmp_ge_u32 s8, s17
	s_cselect_b32 s7, s12, s7
	s_cselect_b32 s8, s13, s8
	s_add_i32 s12, s7, 1
	s_cmp_ge_u32 s8, s17
	s_cselect_b32 s8, s12, s7
	s_delay_alu instid0(SALU_CYCLE_1) | instskip(SKIP_2) | instid1(SALU_CYCLE_1)
	s_mul_i32 s7, s8, s17
	v_lshl_or_b32 v1, s8, 6, v0
	s_sub_i32 s12, s15, s7
	s_ashr_i32 s13, s12, 31
	s_delay_alu instid0(VALU_DEP_1) | instskip(SKIP_1) | instid1(SALU_CYCLE_1)
	v_ashrrev_i32_e32 v2, 31, v1
	s_lshl_b64 s[12:13], s[12:13], 2
	s_add_u32 s2, s2, s12
	s_addc_u32 s3, s3, s13
	s_load_b32 s20, s[2:3], 0x0
	s_waitcnt lgkmcnt(0)
	s_ashr_i32 s21, s20, 31
	s_delay_alu instid0(SALU_CYCLE_1) | instskip(NEXT) | instid1(SALU_CYCLE_1)
	s_lshl_b64 s[2:3], s[20:21], 3
	s_add_u32 s2, s10, s2
	s_addc_u32 s3, s11, s3
	s_mul_i32 s10, s20, s22
	s_load_b128 s[12:15], s[2:3], 0x0
	s_mul_i32 s2, s20, s23
	s_mul_hi_u32 s3, s20, s22
	v_add_co_u32 v3, vcc_lo, s10, v1
	s_add_i32 s2, s3, s2
	s_mul_i32 s3, s21, s22
	s_delay_alu instid0(SALU_CYCLE_1)
	s_add_i32 s11, s2, s3
	v_cmp_gt_i32_e64 s2, s18, v1
	v_add_co_ci_u32_e32 v4, vcc_lo, s11, v2, vcc_lo
	s_cmpk_lg_i32 s16, 0x71
	s_cbranch_scc0 .LBB64_8
; %bb.5:
	v_dual_mov_b32 v6, 0 :: v_dual_mov_b32 v7, 0
	s_mov_b32 s3, 0
	s_and_saveexec_b32 s8, s2
	s_cbranch_execz .LBB64_7
; %bb.6:
	v_lshlrev_b64 v[5:6], 3, v[3:4]
	s_delay_alu instid0(VALU_DEP_1) | instskip(NEXT) | instid1(VALU_DEP_2)
	v_add_co_u32 v5, vcc_lo, s24, v5
	v_add_co_ci_u32_e32 v6, vcc_lo, s25, v6, vcc_lo
	global_load_b64 v[5:6], v[5:6], off
	s_waitcnt vmcnt(0)
	v_mul_f32_e64 v7, v6, -s9
	s_delay_alu instid0(VALU_DEP_1) | instskip(NEXT) | instid1(VALU_DEP_1)
	v_dual_mul_f32 v6, s26, v6 :: v_dual_fmac_f32 v7, s26, v5
	v_fmac_f32_e32 v6, s9, v5
.LBB64_7:
	s_or_b32 exec_lo, exec_lo, s8
	s_load_b64 s[16:17], s[0:1], 0x40
	s_and_not1_b32 vcc_lo, exec_lo, s3
	s_cbranch_vccz .LBB64_9
	s_branch .LBB64_12
.LBB64_8:
                                        ; implicit-def: $vgpr6
                                        ; implicit-def: $vgpr7
	s_load_b64 s[16:17], s[0:1], 0x40
.LBB64_9:
	v_dual_mov_b32 v6, 0 :: v_dual_mov_b32 v7, 0
	s_and_saveexec_b32 s3, s2
	s_cbranch_execz .LBB64_11
; %bb.10:
	v_lshlrev_b64 v[3:4], 3, v[3:4]
	s_delay_alu instid0(VALU_DEP_1) | instskip(NEXT) | instid1(VALU_DEP_2)
	v_add_co_u32 v3, vcc_lo, s24, v3
	v_add_co_ci_u32_e32 v4, vcc_lo, s25, v4, vcc_lo
	global_load_b64 v[3:4], v[3:4], off
	s_waitcnt vmcnt(0)
	v_mul_f32_e64 v6, s26, -v4
	s_delay_alu instid0(VALU_DEP_1) | instskip(NEXT) | instid1(VALU_DEP_1)
	v_dual_mul_f32 v7, s9, v4 :: v_dual_fmac_f32 v6, s9, v3
	v_fmac_f32_e32 v7, s26, v3
.LBB64_11:
	s_or_b32 exec_lo, exec_lo, s3
.LBB64_12:
	v_lshlrev_b64 v[1:2], 3, v[1:2]
	s_waitcnt lgkmcnt(0)
	v_cmp_ge_i64_e64 s3, s[12:13], s[14:15]
	s_delay_alu instid0(VALU_DEP_2) | instskip(NEXT) | instid1(VALU_DEP_3)
	v_add_co_u32 v4, vcc_lo, s24, v1
	v_add_co_ci_u32_e32 v5, vcc_lo, s25, v2, vcc_lo
	s_delay_alu instid0(VALU_DEP_3)
	s_and_b32 vcc_lo, exec_lo, s3
	v_cmp_eq_u32_e64 s3, 0, v0
	s_cbranch_vccnz .LBB64_57
; %bb.13:
	s_clause 0x1
	s_load_b128 s[24:27], s[0:1], 0x20
	s_load_b64 s[8:9], s[0:1], 0x50
	v_dual_mov_b32 v1, 0 :: v_dual_lshlrev_b32 v2, 2, v0
	v_lshlrev_b32_e32 v8, 3, v0
	s_sub_u32 s12, s12, s4
	s_subb_u32 s13, s13, 0
	s_delay_alu instid0(VALU_DEP_2)
	v_mov_b32_e32 v15, v1
	s_sub_u32 s14, s14, s4
	v_mov_b32_e32 v14, 1.0
	s_subb_u32 s15, s15, 0
	v_or_b32_e32 v9, 0x200, v2
	s_cmp_eq_u32 s6, 0
	s_mov_b64 s[18:19], s[12:13]
	s_cselect_b32 s21, -1, 0
	s_waitcnt lgkmcnt(0)
	v_add_co_u32 v10, s0, s24, v2
	s_delay_alu instid0(VALU_DEP_1) | instskip(SKIP_1) | instid1(VALU_DEP_1)
	v_add_co_ci_u32_e64 v11, null, s25, 0, s0
	v_add_co_u32 v12, s0, s26, v8
	v_add_co_ci_u32_e64 v13, null, s27, 0, s0
	s_add_i32 s24, s20, s4
	s_branch .LBB64_16
.LBB64_14:                              ;   in Loop: Header=BB64_16 Depth=1
	s_add_u32 s18, s18, 1
	s_addc_u32 s19, s19, 0
	s_delay_alu instid0(SALU_CYCLE_1)
	v_cmp_ge_i64_e64 s0, s[18:19], s[14:15]
.LBB64_15:                              ;   in Loop: Header=BB64_16 Depth=1
	v_dual_mov_b32 v6, v18 :: v_dual_mov_b32 v7, v19
	v_dual_mov_b32 v15, v16 :: v_dual_mov_b32 v14, v17
	s_delay_alu instid0(VALU_DEP_3)
	s_and_not1_b32 vcc_lo, exec_lo, s0
	s_cbranch_vccz .LBB64_58
.LBB64_16:                              ; =>This Loop Header: Depth=1
                                        ;     Child Loop BB64_55 Depth 2
                                        ;       Child Loop BB64_56 Depth 3
	s_sub_i32 s0, s18, s12
	s_delay_alu instid0(SALU_CYCLE_1) | instskip(NEXT) | instid1(SALU_CYCLE_1)
	s_and_b32 s0, s0, 63
	s_cmp_lg_u32 s0, 0
	s_cbranch_scc1 .LBB64_20
; %bb.17:                               ;   in Loop: Header=BB64_16 Depth=1
	v_dual_mov_b32 v16, -1 :: v_dual_mov_b32 v3, 0
	v_mov_b32_e32 v2, -1.0
	s_sub_u32 s26, s14, s18
	s_subb_u32 s27, s15, s19
	s_mov_b32 s1, exec_lo
	v_cmpx_gt_i64_e64 s[26:27], v[0:1]
	s_cbranch_execz .LBB64_19
; %bb.18:                               ;   in Loop: Header=BB64_16 Depth=1
	s_lshl_b64 s[26:27], s[18:19], 2
	s_delay_alu instid0(SALU_CYCLE_1)
	v_add_co_u32 v2, vcc_lo, v10, s26
	v_add_co_ci_u32_e32 v3, vcc_lo, s27, v11, vcc_lo
	s_lshl_b64 s[26:27], s[18:19], 3
	global_load_b32 v16, v[2:3], off
	v_add_co_u32 v2, vcc_lo, v12, s26
	v_add_co_ci_u32_e32 v3, vcc_lo, s27, v13, vcc_lo
	global_load_b64 v[2:3], v[2:3], off
	s_waitcnt vmcnt(1)
	v_subrev_nc_u32_e32 v16, s4, v16
.LBB64_19:                              ;   in Loop: Header=BB64_16 Depth=1
	s_or_b32 exec_lo, exec_lo, s1
	ds_store_b32 v9, v16
	s_waitcnt vmcnt(0)
	ds_store_b64 v8, v[2:3]
.LBB64_20:                              ;   in Loop: Header=BB64_16 Depth=1
	s_lshl_b32 s1, s0, 3
	s_lshl_b32 s0, s0, 2
	s_delay_alu instid0(SALU_CYCLE_1)
	v_dual_mov_b32 v2, s1 :: v_dual_mov_b32 v3, s0
	s_waitcnt lgkmcnt(0)
	s_waitcnt_vscnt null, 0x0
	s_barrier
	buffer_gl0_inv
	ds_load_b64 v[16:17], v2
	ds_load_b32 v2, v3 offset:512
	s_waitcnt lgkmcnt(1)
	v_cmp_eq_f32_e32 vcc_lo, 0, v16
	v_cmp_eq_f32_e64 s0, 0, v17
	s_waitcnt lgkmcnt(0)
	v_readfirstlane_b32 s13, v2
	v_cmp_ne_u32_e64 s1, s20, v2
	s_delay_alu instid0(VALU_DEP_3) | instskip(NEXT) | instid1(VALU_DEP_2)
	s_and_b32 s0, vcc_lo, s0
	s_cmp_eq_u32 s13, s20
	s_cselect_b32 s26, -1, 0
	s_delay_alu instid0(SALU_CYCLE_1) | instskip(NEXT) | instid1(SALU_CYCLE_1)
	s_and_b32 s0, s0, s26
	s_and_b32 s0, s21, s0
	s_delay_alu instid0(SALU_CYCLE_1) | instskip(SKIP_2) | instid1(SALU_CYCLE_1)
	v_cndmask_b32_e64 v2, v17, 0, s0
	v_cndmask_b32_e64 v3, v16, 1.0, s0
	s_and_b32 s25, s3, s0
	s_and_saveexec_b32 s0, s25
	s_cbranch_execz .LBB64_24
; %bb.21:                               ;   in Loop: Header=BB64_16 Depth=1
	v_mbcnt_lo_u32_b32 v2, exec_lo, 0
	s_mov_b32 s25, exec_lo
	s_delay_alu instid0(VALU_DEP_1)
	v_cmpx_eq_u32_e32 0, v2
	s_cbranch_execz .LBB64_23
; %bb.22:                               ;   in Loop: Header=BB64_16 Depth=1
	v_mov_b32_e32 v2, s24
	global_atomic_min_i32 v1, v2, s[8:9]
.LBB64_23:                              ;   in Loop: Header=BB64_16 Depth=1
	s_or_b32 exec_lo, exec_lo, s25
	v_dual_mov_b32 v2, 0 :: v_dual_mov_b32 v3, 1.0
.LBB64_24:                              ;   in Loop: Header=BB64_16 Depth=1
	s_or_b32 exec_lo, exec_lo, s0
	s_cmp_lt_i32 s5, 1
	s_mov_b32 s0, 0
	s_cbranch_scc1 .LBB64_30
; %bb.25:                               ;   in Loop: Header=BB64_16 Depth=1
	s_cmp_eq_u32 s5, 1
	s_cbranch_scc0 .LBB64_31
; %bb.26:                               ;   in Loop: Header=BB64_16 Depth=1
	v_dual_mov_b32 v16, v15 :: v_dual_mov_b32 v17, v14
	s_cmp_ge_i32 s13, s20
	s_mov_b32 s25, 0
	s_cbranch_scc0 .LBB64_33
; %bb.27:                               ;   in Loop: Header=BB64_16 Depth=1
	s_and_b32 vcc_lo, exec_lo, s26
	s_cbranch_vccz .LBB64_32
; %bb.28:                               ;   in Loop: Header=BB64_16 Depth=1
	v_dual_mov_b32 v16, v15 :: v_dual_mov_b32 v17, v14
	s_and_not1_b32 vcc_lo, exec_lo, s21
	s_cbranch_vccnz .LBB64_33
; %bb.29:                               ;   in Loop: Header=BB64_16 Depth=1
	v_mul_f32_e32 v16, v2, v2
	s_delay_alu instid0(VALU_DEP_1) | instskip(NEXT) | instid1(VALU_DEP_1)
	v_fmac_f32_e32 v16, v3, v3
	v_div_scale_f32 v17, null, v16, v16, 1.0
	v_div_scale_f32 v20, vcc_lo, 1.0, v16, 1.0
	s_delay_alu instid0(VALU_DEP_2) | instskip(SKIP_2) | instid1(VALU_DEP_1)
	v_rcp_f32_e32 v18, v17
	s_waitcnt_depctr 0xfff
	v_fma_f32 v19, -v17, v18, 1.0
	v_fmac_f32_e32 v18, v19, v18
	s_delay_alu instid0(VALU_DEP_1) | instskip(NEXT) | instid1(VALU_DEP_1)
	v_mul_f32_e32 v19, v20, v18
	v_fma_f32 v21, -v17, v19, v20
	s_delay_alu instid0(VALU_DEP_1) | instskip(NEXT) | instid1(VALU_DEP_1)
	v_fmac_f32_e32 v19, v21, v18
	v_fma_f32 v17, -v17, v19, v20
	s_delay_alu instid0(VALU_DEP_1) | instskip(SKIP_2) | instid1(VALU_DEP_3)
	v_div_fmas_f32 v17, v17, v18, v19
	v_fma_f32 v18, 0, v2, v3
	v_fma_f32 v19, v3, 0, -v2
	v_div_fixup_f32 v16, v17, v16, 1.0
	s_delay_alu instid0(VALU_DEP_1) | instskip(NEXT) | instid1(VALU_DEP_3)
	v_mul_f32_e32 v17, v18, v16
	v_mul_f32_e32 v16, v19, v16
	s_branch .LBB64_33
.LBB64_30:                              ;   in Loop: Header=BB64_16 Depth=1
	s_mov_b32 s25, 0
                                        ; implicit-def: $sgpr26
                                        ; implicit-def: $vgpr18
                                        ; implicit-def: $vgpr19
                                        ; implicit-def: $vgpr16
                                        ; implicit-def: $vgpr17
	s_cbranch_execnz .LBB64_34
	s_branch .LBB64_36
.LBB64_31:                              ;   in Loop: Header=BB64_16 Depth=1
	s_mov_b32 s25, -1
                                        ; implicit-def: $sgpr26
                                        ; implicit-def: $vgpr18
                                        ; implicit-def: $vgpr19
                                        ; implicit-def: $vgpr16
                                        ; implicit-def: $vgpr17
	s_branch .LBB64_36
.LBB64_32:                              ;   in Loop: Header=BB64_16 Depth=1
	s_mov_b32 s25, -1
                                        ; implicit-def: $vgpr16
                                        ; implicit-def: $vgpr17
.LBB64_33:                              ;   in Loop: Header=BB64_16 Depth=1
	v_dual_mov_b32 v18, v6 :: v_dual_mov_b32 v19, v7
	s_mov_b32 s26, 4
	s_branch .LBB64_36
.LBB64_34:                              ;   in Loop: Header=BB64_16 Depth=1
	s_cmp_eq_u32 s5, 0
	s_cbranch_scc1 .LBB64_40
; %bb.35:                               ;   in Loop: Header=BB64_16 Depth=1
	s_mov_b32 s25, -1
                                        ; implicit-def: $sgpr26
                                        ; implicit-def: $vgpr18
                                        ; implicit-def: $vgpr19
                                        ; implicit-def: $vgpr16
                                        ; implicit-def: $vgpr17
.LBB64_36:                              ;   in Loop: Header=BB64_16 Depth=1
	s_delay_alu instid0(SALU_CYCLE_1)
	s_and_b32 vcc_lo, exec_lo, s25
	s_cbranch_vccnz .LBB64_43
.LBB64_37:                              ;   in Loop: Header=BB64_16 Depth=1
	s_and_b32 vcc_lo, exec_lo, s0
	s_cbranch_vccnz .LBB64_48
.LBB64_38:                              ;   in Loop: Header=BB64_16 Depth=1
	s_cmp_gt_i32 s26, 3
	s_mov_b32 s0, -1
	s_cbranch_scc1 .LBB64_51
.LBB64_39:                              ;   in Loop: Header=BB64_16 Depth=1
	s_cmp_eq_u32 s26, 0
	s_cselect_b32 s1, -1, 0
	s_delay_alu instid0(SALU_CYCLE_1)
	s_and_not1_b32 vcc_lo, exec_lo, s1
	s_cbranch_vccz .LBB64_14
	s_branch .LBB64_52
.LBB64_40:                              ;   in Loop: Header=BB64_16 Depth=1
	s_cmp_le_i32 s13, s20
	s_mov_b32 s25, 0
	s_cbranch_scc0 .LBB64_42
; %bb.41:                               ;   in Loop: Header=BB64_16 Depth=1
	s_mov_b32 s0, -1
	s_mov_b32 s25, s1
.LBB64_42:                              ;   in Loop: Header=BB64_16 Depth=1
	v_dual_mov_b32 v18, v6 :: v_dual_mov_b32 v19, v7
	v_dual_mov_b32 v16, v15 :: v_dual_mov_b32 v17, v14
	s_mov_b32 s26, 2
	s_and_b32 vcc_lo, exec_lo, s25
	s_cbranch_vccz .LBB64_37
.LBB64_43:                              ;   in Loop: Header=BB64_16 Depth=1
	s_and_saveexec_b32 s25, s3
	s_cbranch_execz .LBB64_45
; %bb.44:                               ;   in Loop: Header=BB64_16 Depth=1
	s_add_i32 s0, s13, s7
	s_delay_alu instid0(SALU_CYCLE_1) | instskip(NEXT) | instid1(SALU_CYCLE_1)
	s_ashr_i32 s1, s0, 31
	s_lshl_b64 s[0:1], s[0:1], 2
	s_delay_alu instid0(SALU_CYCLE_1)
	s_add_u32 s0, s16, s0
	s_addc_u32 s1, s17, s1
	global_load_b32 v16, v1, s[0:1] glc
	s_waitcnt vmcnt(0)
	v_cmp_ne_u32_e32 vcc_lo, 0, v16
	s_cbranch_vccz .LBB64_53
.LBB64_45:                              ;   in Loop: Header=BB64_16 Depth=1
	s_or_b32 exec_lo, exec_lo, s25
	v_dual_mov_b32 v18, 0 :: v_dual_mov_b32 v19, 0
	s_mov_b32 s0, 0
	s_waitcnt_vscnt null, 0x0
	s_barrier
	buffer_gl0_inv
	buffer_gl1_inv
	buffer_gl0_inv
	s_and_saveexec_b32 s1, s2
	s_cbranch_execz .LBB64_47
; %bb.46:                               ;   in Loop: Header=BB64_16 Depth=1
	s_mul_i32 s25, s13, s23
	s_mul_hi_u32 s26, s13, s22
	s_ashr_i32 s27, s13, 31
	s_add_i32 s25, s26, s25
	s_mul_i32 s27, s27, s22
	s_mul_i32 s26, s13, s22
	s_add_i32 s27, s25, s27
	s_delay_alu instid0(SALU_CYCLE_1) | instskip(NEXT) | instid1(SALU_CYCLE_1)
	s_lshl_b64 s[26:27], s[26:27], 3
	v_add_co_u32 v16, vcc_lo, v4, s26
	v_add_co_ci_u32_e32 v17, vcc_lo, s27, v5, vcc_lo
	global_load_b64 v[16:17], v[16:17], off
	s_waitcnt vmcnt(0)
	v_fma_f32 v19, -v3, v16, v7
	v_fma_f32 v16, -v2, v16, v6
	s_delay_alu instid0(VALU_DEP_2) | instskip(NEXT) | instid1(VALU_DEP_2)
	v_fmac_f32_e32 v19, v2, v17
	v_fma_f32 v18, -v3, v17, v16
.LBB64_47:                              ;   in Loop: Header=BB64_16 Depth=1
	s_or_b32 exec_lo, exec_lo, s1
	v_dual_mov_b32 v16, v15 :: v_dual_mov_b32 v17, v14
	s_mov_b32 s26, 0
	s_and_b32 vcc_lo, exec_lo, s0
	s_cbranch_vccz .LBB64_38
.LBB64_48:                              ;   in Loop: Header=BB64_16 Depth=1
	s_and_not1_b32 vcc_lo, exec_lo, s21
	s_cbranch_vccnz .LBB64_50
; %bb.49:                               ;   in Loop: Header=BB64_16 Depth=1
	v_mul_f32_e32 v14, v2, v2
	s_delay_alu instid0(VALU_DEP_1) | instskip(NEXT) | instid1(VALU_DEP_1)
	v_fmac_f32_e32 v14, v3, v3
	v_div_scale_f32 v15, null, v14, v14, 1.0
	v_div_scale_f32 v18, vcc_lo, 1.0, v14, 1.0
	s_delay_alu instid0(VALU_DEP_2) | instskip(SKIP_2) | instid1(VALU_DEP_1)
	v_rcp_f32_e32 v16, v15
	s_waitcnt_depctr 0xfff
	v_fma_f32 v17, -v15, v16, 1.0
	v_fmac_f32_e32 v16, v17, v16
	s_delay_alu instid0(VALU_DEP_1) | instskip(NEXT) | instid1(VALU_DEP_1)
	v_mul_f32_e32 v17, v18, v16
	v_fma_f32 v19, -v15, v17, v18
	s_delay_alu instid0(VALU_DEP_1) | instskip(NEXT) | instid1(VALU_DEP_1)
	v_fmac_f32_e32 v17, v19, v16
	v_fma_f32 v15, -v15, v17, v18
	s_delay_alu instid0(VALU_DEP_1) | instskip(SKIP_2) | instid1(VALU_DEP_3)
	v_div_fmas_f32 v15, v15, v16, v17
	v_fma_f32 v16, 0, v2, v3
	v_fma_f32 v2, v3, 0, -v2
	v_div_fixup_f32 v15, v15, v14, 1.0
	s_delay_alu instid0(VALU_DEP_1) | instskip(NEXT) | instid1(VALU_DEP_3)
	v_mul_f32_e32 v14, v16, v15
	v_mul_f32_e32 v15, v2, v15
.LBB64_50:                              ;   in Loop: Header=BB64_16 Depth=1
	s_delay_alu instid0(VALU_DEP_1) | instskip(SKIP_2) | instid1(SALU_CYCLE_1)
	v_dual_mov_b32 v17, v14 :: v_dual_mov_b32 v16, v15
	v_dual_mov_b32 v19, v7 :: v_dual_mov_b32 v18, v6
	s_mov_b32 s26, 2
	s_cmp_gt_i32 s26, 3
	s_mov_b32 s0, -1
	s_cbranch_scc0 .LBB64_39
.LBB64_51:                              ;   in Loop: Header=BB64_16 Depth=1
	s_branch .LBB64_14
.LBB64_52:                              ;   in Loop: Header=BB64_16 Depth=1
                                        ; implicit-def: $sgpr18_sgpr19
	s_branch .LBB64_15
.LBB64_53:                              ;   in Loop: Header=BB64_16 Depth=1
	s_mov_b32 s26, 0
	s_branch .LBB64_55
	.p2align	6
.LBB64_54:                              ;   in Loop: Header=BB64_55 Depth=2
	global_load_b32 v16, v1, s[0:1] glc
	s_cmpk_lt_u32 s26, 0xf43
	s_cselect_b32 s27, -1, 0
	s_delay_alu instid0(SALU_CYCLE_1)
	s_cmp_lg_u32 s27, 0
	s_addc_u32 s26, s26, 0
	s_waitcnt vmcnt(0)
	v_cmp_ne_u32_e32 vcc_lo, 0, v16
	s_cbranch_vccnz .LBB64_45
.LBB64_55:                              ;   Parent Loop BB64_16 Depth=1
                                        ; =>  This Loop Header: Depth=2
                                        ;       Child Loop BB64_56 Depth 3
	s_cmp_eq_u32 s26, 0
	s_mov_b32 s27, s26
	s_cbranch_scc1 .LBB64_54
.LBB64_56:                              ;   Parent Loop BB64_16 Depth=1
                                        ;     Parent Loop BB64_55 Depth=2
                                        ; =>    This Inner Loop Header: Depth=3
	s_add_i32 s27, s27, -1
	s_sleep 1
	s_cmp_eq_u32 s27, 0
	s_cbranch_scc0 .LBB64_56
	s_branch .LBB64_54
.LBB64_57:
	v_dual_mov_b32 v16, 0 :: v_dual_mov_b32 v17, 1.0
	s_and_saveexec_b32 s0, s2
	s_cbranch_execnz .LBB64_59
	s_branch .LBB64_60
.LBB64_58:
	v_dual_mov_b32 v6, v18 :: v_dual_mov_b32 v7, v19
	s_and_saveexec_b32 s0, s2
	s_cbranch_execz .LBB64_60
.LBB64_59:
	s_delay_alu instid0(VALU_DEP_1) | instskip(NEXT) | instid1(VALU_DEP_2)
	v_mul_f32_e64 v8, v16, -v6
	v_mul_f32_e32 v3, v16, v7
	s_lshl_b64 s[2:3], s[10:11], 3
	s_cmp_eq_u32 s6, 0
	v_add_co_u32 v1, vcc_lo, v4, s2
	v_fmac_f32_e32 v8, v7, v17
	v_fmac_f32_e32 v3, v6, v17
	v_add_co_ci_u32_e32 v2, vcc_lo, s3, v5, vcc_lo
	s_cselect_b32 vcc_lo, -1, 0
	s_delay_alu instid0(VALU_DEP_2)
	v_dual_cndmask_b32 v4, v6, v3 :: v_dual_cndmask_b32 v3, v7, v8
	global_store_b64 v[1:2], v[3:4], off
.LBB64_60:
	s_or_b32 exec_lo, exec_lo, s0
	s_waitcnt_vscnt null, 0x0
	buffer_gl1_inv
	buffer_gl0_inv
	s_barrier
	buffer_gl0_inv
	s_mov_b32 s0, exec_lo
	v_cmpx_eq_u32_e32 0, v0
	s_cbranch_execz .LBB64_62
; %bb.61:
	s_add_i32 s0, s20, s7
	v_dual_mov_b32 v0, 0 :: v_dual_mov_b32 v1, 1
	s_ashr_i32 s1, s0, 31
	s_delay_alu instid0(SALU_CYCLE_1) | instskip(NEXT) | instid1(SALU_CYCLE_1)
	s_lshl_b64 s[0:1], s[0:1], 2
	s_add_u32 s0, s16, s0
	s_addc_u32 s1, s17, s1
	global_store_b32 v0, v1, s[0:1]
.LBB64_62:
	s_nop 0
	s_sendmsg sendmsg(MSG_DEALLOC_VGPRS)
	s_endpgm
	.section	.rodata,"a",@progbits
	.p2align	6, 0x0
	.amdhsa_kernel _ZN9rocsparseL5csrsmILj64ELj64ELb1Eli21rocsparse_complex_numIfEEEv20rocsparse_operation_T3_S4_NS_24const_host_device_scalarIT4_EEPKT2_PKS4_PKS6_PS6_lPiSC_PS4_21rocsparse_index_base_20rocsparse_fill_mode_20rocsparse_diag_type_b
		.amdhsa_group_segment_fixed_size 768
		.amdhsa_private_segment_fixed_size 0
		.amdhsa_kernarg_size 104
		.amdhsa_user_sgpr_count 15
		.amdhsa_user_sgpr_dispatch_ptr 0
		.amdhsa_user_sgpr_queue_ptr 0
		.amdhsa_user_sgpr_kernarg_segment_ptr 1
		.amdhsa_user_sgpr_dispatch_id 0
		.amdhsa_user_sgpr_private_segment_size 0
		.amdhsa_wavefront_size32 1
		.amdhsa_uses_dynamic_stack 0
		.amdhsa_enable_private_segment 0
		.amdhsa_system_sgpr_workgroup_id_x 1
		.amdhsa_system_sgpr_workgroup_id_y 0
		.amdhsa_system_sgpr_workgroup_id_z 0
		.amdhsa_system_sgpr_workgroup_info 0
		.amdhsa_system_vgpr_workitem_id 0
		.amdhsa_next_free_vgpr 22
		.amdhsa_next_free_sgpr 28
		.amdhsa_reserve_vcc 1
		.amdhsa_float_round_mode_32 0
		.amdhsa_float_round_mode_16_64 0
		.amdhsa_float_denorm_mode_32 3
		.amdhsa_float_denorm_mode_16_64 3
		.amdhsa_dx10_clamp 1
		.amdhsa_ieee_mode 1
		.amdhsa_fp16_overflow 0
		.amdhsa_workgroup_processor_mode 1
		.amdhsa_memory_ordered 1
		.amdhsa_forward_progress 0
		.amdhsa_shared_vgpr_count 0
		.amdhsa_exception_fp_ieee_invalid_op 0
		.amdhsa_exception_fp_denorm_src 0
		.amdhsa_exception_fp_ieee_div_zero 0
		.amdhsa_exception_fp_ieee_overflow 0
		.amdhsa_exception_fp_ieee_underflow 0
		.amdhsa_exception_fp_ieee_inexact 0
		.amdhsa_exception_int_div_zero 0
	.end_amdhsa_kernel
	.section	.text._ZN9rocsparseL5csrsmILj64ELj64ELb1Eli21rocsparse_complex_numIfEEEv20rocsparse_operation_T3_S4_NS_24const_host_device_scalarIT4_EEPKT2_PKS4_PKS6_PS6_lPiSC_PS4_21rocsparse_index_base_20rocsparse_fill_mode_20rocsparse_diag_type_b,"axG",@progbits,_ZN9rocsparseL5csrsmILj64ELj64ELb1Eli21rocsparse_complex_numIfEEEv20rocsparse_operation_T3_S4_NS_24const_host_device_scalarIT4_EEPKT2_PKS4_PKS6_PS6_lPiSC_PS4_21rocsparse_index_base_20rocsparse_fill_mode_20rocsparse_diag_type_b,comdat
.Lfunc_end64:
	.size	_ZN9rocsparseL5csrsmILj64ELj64ELb1Eli21rocsparse_complex_numIfEEEv20rocsparse_operation_T3_S4_NS_24const_host_device_scalarIT4_EEPKT2_PKS4_PKS6_PS6_lPiSC_PS4_21rocsparse_index_base_20rocsparse_fill_mode_20rocsparse_diag_type_b, .Lfunc_end64-_ZN9rocsparseL5csrsmILj64ELj64ELb1Eli21rocsparse_complex_numIfEEEv20rocsparse_operation_T3_S4_NS_24const_host_device_scalarIT4_EEPKT2_PKS4_PKS6_PS6_lPiSC_PS4_21rocsparse_index_base_20rocsparse_fill_mode_20rocsparse_diag_type_b
                                        ; -- End function
	.section	.AMDGPU.csdata,"",@progbits
; Kernel info:
; codeLenInByte = 2180
; NumSgprs: 30
; NumVgprs: 22
; ScratchSize: 0
; MemoryBound: 0
; FloatMode: 240
; IeeeMode: 1
; LDSByteSize: 768 bytes/workgroup (compile time only)
; SGPRBlocks: 3
; VGPRBlocks: 2
; NumSGPRsForWavesPerEU: 30
; NumVGPRsForWavesPerEU: 22
; Occupancy: 16
; WaveLimiterHint : 1
; COMPUTE_PGM_RSRC2:SCRATCH_EN: 0
; COMPUTE_PGM_RSRC2:USER_SGPR: 15
; COMPUTE_PGM_RSRC2:TRAP_HANDLER: 0
; COMPUTE_PGM_RSRC2:TGID_X_EN: 1
; COMPUTE_PGM_RSRC2:TGID_Y_EN: 0
; COMPUTE_PGM_RSRC2:TGID_Z_EN: 0
; COMPUTE_PGM_RSRC2:TIDIG_COMP_CNT: 0
	.section	.text._ZN9rocsparseL5csrsmILj64ELj64ELb0Eli21rocsparse_complex_numIfEEEv20rocsparse_operation_T3_S4_NS_24const_host_device_scalarIT4_EEPKT2_PKS4_PKS6_PS6_lPiSC_PS4_21rocsparse_index_base_20rocsparse_fill_mode_20rocsparse_diag_type_b,"axG",@progbits,_ZN9rocsparseL5csrsmILj64ELj64ELb0Eli21rocsparse_complex_numIfEEEv20rocsparse_operation_T3_S4_NS_24const_host_device_scalarIT4_EEPKT2_PKS4_PKS6_PS6_lPiSC_PS4_21rocsparse_index_base_20rocsparse_fill_mode_20rocsparse_diag_type_b,comdat
	.globl	_ZN9rocsparseL5csrsmILj64ELj64ELb0Eli21rocsparse_complex_numIfEEEv20rocsparse_operation_T3_S4_NS_24const_host_device_scalarIT4_EEPKT2_PKS4_PKS6_PS6_lPiSC_PS4_21rocsparse_index_base_20rocsparse_fill_mode_20rocsparse_diag_type_b ; -- Begin function _ZN9rocsparseL5csrsmILj64ELj64ELb0Eli21rocsparse_complex_numIfEEEv20rocsparse_operation_T3_S4_NS_24const_host_device_scalarIT4_EEPKT2_PKS4_PKS6_PS6_lPiSC_PS4_21rocsparse_index_base_20rocsparse_fill_mode_20rocsparse_diag_type_b
	.p2align	8
	.type	_ZN9rocsparseL5csrsmILj64ELj64ELb0Eli21rocsparse_complex_numIfEEEv20rocsparse_operation_T3_S4_NS_24const_host_device_scalarIT4_EEPKT2_PKS4_PKS6_PS6_lPiSC_PS4_21rocsparse_index_base_20rocsparse_fill_mode_20rocsparse_diag_type_b,@function
_ZN9rocsparseL5csrsmILj64ELj64ELb0Eli21rocsparse_complex_numIfEEEv20rocsparse_operation_T3_S4_NS_24const_host_device_scalarIT4_EEPKT2_PKS4_PKS6_PS6_lPiSC_PS4_21rocsparse_index_base_20rocsparse_fill_mode_20rocsparse_diag_type_b: ; @_ZN9rocsparseL5csrsmILj64ELj64ELb0Eli21rocsparse_complex_numIfEEEv20rocsparse_operation_T3_S4_NS_24const_host_device_scalarIT4_EEPKT2_PKS4_PKS6_PS6_lPiSC_PS4_21rocsparse_index_base_20rocsparse_fill_mode_20rocsparse_diag_type_b
; %bb.0:
	s_clause 0x2
	s_load_b128 s[4:7], s[0:1], 0x58
	s_load_b128 s[8:11], s[0:1], 0x10
	s_load_b64 s[2:3], s[0:1], 0x48
	s_waitcnt lgkmcnt(0)
	s_bitcmp1_b32 s7, 0
	s_mov_b32 s26, s8
	s_cselect_b32 s12, -1, 0
	s_delay_alu instid0(SALU_CYCLE_1)
	s_xor_b32 s7, s12, -1
	s_and_b32 vcc_lo, exec_lo, s12
	s_cbranch_vccnz .LBB65_2
; %bb.1:
	s_load_b32 s26, s[8:9], 0x0
.LBB65_2:
	s_load_b64 s[24:25], s[0:1], 0x30
	s_and_not1_b32 vcc_lo, exec_lo, s7
	s_cbranch_vccnz .LBB65_4
; %bb.3:
	s_load_b32 s9, s[8:9], 0x4
.LBB65_4:
	s_clause 0x1
	s_load_b128 s[16:19], s[0:1], 0x0
	s_load_b64 s[22:23], s[0:1], 0x38
	s_waitcnt lgkmcnt(0)
	v_cvt_f32_u32_e32 v1, s17
	s_sub_i32 s8, 0, s17
	s_delay_alu instid0(VALU_DEP_1) | instskip(SKIP_2) | instid1(VALU_DEP_1)
	v_rcp_iflag_f32_e32 v1, v1
	s_waitcnt_depctr 0xfff
	v_mul_f32_e32 v1, 0x4f7ffffe, v1
	v_cvt_u32_f32_e32 v1, v1
	s_delay_alu instid0(VALU_DEP_1) | instskip(NEXT) | instid1(VALU_DEP_1)
	v_readfirstlane_b32 s7, v1
	s_mul_i32 s8, s8, s7
	s_delay_alu instid0(SALU_CYCLE_1) | instskip(NEXT) | instid1(SALU_CYCLE_1)
	s_mul_hi_u32 s8, s7, s8
	s_add_i32 s7, s7, s8
	s_delay_alu instid0(SALU_CYCLE_1) | instskip(NEXT) | instid1(SALU_CYCLE_1)
	s_mul_hi_u32 s7, s15, s7
	s_mul_i32 s8, s7, s17
	s_add_i32 s12, s7, 1
	s_sub_i32 s8, s15, s8
	s_delay_alu instid0(SALU_CYCLE_1)
	s_sub_i32 s13, s8, s17
	s_cmp_ge_u32 s8, s17
	s_cselect_b32 s7, s12, s7
	s_cselect_b32 s8, s13, s8
	s_add_i32 s12, s7, 1
	s_cmp_ge_u32 s8, s17
	s_cselect_b32 s8, s12, s7
	s_delay_alu instid0(SALU_CYCLE_1) | instskip(SKIP_2) | instid1(SALU_CYCLE_1)
	s_mul_i32 s7, s8, s17
	v_lshl_or_b32 v1, s8, 6, v0
	s_sub_i32 s12, s15, s7
	s_ashr_i32 s13, s12, 31
	s_delay_alu instid0(VALU_DEP_1) | instskip(SKIP_1) | instid1(SALU_CYCLE_1)
	v_ashrrev_i32_e32 v2, 31, v1
	s_lshl_b64 s[12:13], s[12:13], 2
	s_add_u32 s2, s2, s12
	s_addc_u32 s3, s3, s13
	s_load_b32 s20, s[2:3], 0x0
	s_waitcnt lgkmcnt(0)
	s_ashr_i32 s21, s20, 31
	s_delay_alu instid0(SALU_CYCLE_1) | instskip(NEXT) | instid1(SALU_CYCLE_1)
	s_lshl_b64 s[2:3], s[20:21], 3
	s_add_u32 s2, s10, s2
	s_addc_u32 s3, s11, s3
	s_mul_i32 s10, s20, s22
	s_load_b128 s[12:15], s[2:3], 0x0
	s_mul_i32 s2, s20, s23
	s_mul_hi_u32 s3, s20, s22
	v_add_co_u32 v3, vcc_lo, s10, v1
	s_add_i32 s2, s3, s2
	s_mul_i32 s3, s21, s22
	s_delay_alu instid0(SALU_CYCLE_1)
	s_add_i32 s11, s2, s3
	v_cmp_gt_i32_e64 s2, s18, v1
	v_add_co_ci_u32_e32 v4, vcc_lo, s11, v2, vcc_lo
	s_cmpk_lg_i32 s16, 0x71
	s_cbranch_scc0 .LBB65_8
; %bb.5:
	v_dual_mov_b32 v6, 0 :: v_dual_mov_b32 v7, 0
	s_mov_b32 s3, 0
	s_and_saveexec_b32 s8, s2
	s_cbranch_execz .LBB65_7
; %bb.6:
	v_lshlrev_b64 v[5:6], 3, v[3:4]
	s_delay_alu instid0(VALU_DEP_1) | instskip(NEXT) | instid1(VALU_DEP_2)
	v_add_co_u32 v5, vcc_lo, s24, v5
	v_add_co_ci_u32_e32 v6, vcc_lo, s25, v6, vcc_lo
	global_load_b64 v[5:6], v[5:6], off
	s_waitcnt vmcnt(0)
	v_mul_f32_e64 v7, v6, -s9
	s_delay_alu instid0(VALU_DEP_1) | instskip(NEXT) | instid1(VALU_DEP_1)
	v_dual_mul_f32 v6, s26, v6 :: v_dual_fmac_f32 v7, s26, v5
	v_fmac_f32_e32 v6, s9, v5
.LBB65_7:
	s_or_b32 exec_lo, exec_lo, s8
	s_load_b64 s[16:17], s[0:1], 0x40
	s_and_not1_b32 vcc_lo, exec_lo, s3
	s_cbranch_vccz .LBB65_9
	s_branch .LBB65_12
.LBB65_8:
                                        ; implicit-def: $vgpr6
                                        ; implicit-def: $vgpr7
	s_load_b64 s[16:17], s[0:1], 0x40
.LBB65_9:
	v_dual_mov_b32 v6, 0 :: v_dual_mov_b32 v7, 0
	s_and_saveexec_b32 s3, s2
	s_cbranch_execz .LBB65_11
; %bb.10:
	v_lshlrev_b64 v[3:4], 3, v[3:4]
	s_delay_alu instid0(VALU_DEP_1) | instskip(NEXT) | instid1(VALU_DEP_2)
	v_add_co_u32 v3, vcc_lo, s24, v3
	v_add_co_ci_u32_e32 v4, vcc_lo, s25, v4, vcc_lo
	global_load_b64 v[3:4], v[3:4], off
	s_waitcnt vmcnt(0)
	v_mul_f32_e64 v6, s26, -v4
	s_delay_alu instid0(VALU_DEP_1) | instskip(NEXT) | instid1(VALU_DEP_1)
	v_dual_mul_f32 v7, s9, v4 :: v_dual_fmac_f32 v6, s9, v3
	v_fmac_f32_e32 v7, s26, v3
.LBB65_11:
	s_or_b32 exec_lo, exec_lo, s3
.LBB65_12:
	v_lshlrev_b64 v[1:2], 3, v[1:2]
	s_waitcnt lgkmcnt(0)
	v_cmp_ge_i64_e64 s3, s[12:13], s[14:15]
	s_delay_alu instid0(VALU_DEP_2) | instskip(NEXT) | instid1(VALU_DEP_3)
	v_add_co_u32 v4, vcc_lo, s24, v1
	v_add_co_ci_u32_e32 v5, vcc_lo, s25, v2, vcc_lo
	s_delay_alu instid0(VALU_DEP_3)
	s_and_b32 vcc_lo, exec_lo, s3
	v_cmp_eq_u32_e64 s3, 0, v0
	s_cbranch_vccnz .LBB65_54
; %bb.13:
	s_clause 0x1
	s_load_b128 s[24:27], s[0:1], 0x20
	s_load_b64 s[8:9], s[0:1], 0x50
	v_dual_mov_b32 v1, 0 :: v_dual_lshlrev_b32 v2, 2, v0
	v_lshlrev_b32_e32 v8, 3, v0
	s_sub_u32 s12, s12, s4
	s_subb_u32 s13, s13, 0
	s_delay_alu instid0(VALU_DEP_2)
	v_mov_b32_e32 v15, v1
	s_sub_u32 s14, s14, s4
	v_mov_b32_e32 v14, 1.0
	s_subb_u32 s15, s15, 0
	v_or_b32_e32 v9, 0x200, v2
	s_cmp_eq_u32 s6, 0
	s_mov_b64 s[18:19], s[12:13]
	s_cselect_b32 s21, -1, 0
	s_waitcnt lgkmcnt(0)
	v_add_co_u32 v10, s0, s24, v2
	s_delay_alu instid0(VALU_DEP_1) | instskip(SKIP_1) | instid1(VALU_DEP_1)
	v_add_co_ci_u32_e64 v11, null, s25, 0, s0
	v_add_co_u32 v12, s0, s26, v8
	v_add_co_ci_u32_e64 v13, null, s27, 0, s0
	s_add_i32 s24, s20, s4
	s_branch .LBB65_16
.LBB65_14:                              ;   in Loop: Header=BB65_16 Depth=1
	s_add_u32 s18, s18, 1
	s_addc_u32 s19, s19, 0
	s_delay_alu instid0(SALU_CYCLE_1)
	v_cmp_ge_i64_e64 s0, s[18:19], s[14:15]
.LBB65_15:                              ;   in Loop: Header=BB65_16 Depth=1
	v_dual_mov_b32 v6, v18 :: v_dual_mov_b32 v7, v19
	v_dual_mov_b32 v15, v16 :: v_dual_mov_b32 v14, v17
	s_delay_alu instid0(VALU_DEP_3)
	s_and_not1_b32 vcc_lo, exec_lo, s0
	s_cbranch_vccz .LBB65_55
.LBB65_16:                              ; =>This Loop Header: Depth=1
                                        ;     Child Loop BB65_45 Depth 2
	s_sub_i32 s0, s18, s12
	s_delay_alu instid0(SALU_CYCLE_1) | instskip(NEXT) | instid1(SALU_CYCLE_1)
	s_and_b32 s0, s0, 63
	s_cmp_lg_u32 s0, 0
	s_cbranch_scc1 .LBB65_20
; %bb.17:                               ;   in Loop: Header=BB65_16 Depth=1
	v_dual_mov_b32 v16, -1 :: v_dual_mov_b32 v3, 0
	v_mov_b32_e32 v2, -1.0
	s_sub_u32 s26, s14, s18
	s_subb_u32 s27, s15, s19
	s_mov_b32 s1, exec_lo
	v_cmpx_gt_i64_e64 s[26:27], v[0:1]
	s_cbranch_execz .LBB65_19
; %bb.18:                               ;   in Loop: Header=BB65_16 Depth=1
	s_lshl_b64 s[26:27], s[18:19], 2
	s_delay_alu instid0(SALU_CYCLE_1)
	v_add_co_u32 v2, vcc_lo, v10, s26
	v_add_co_ci_u32_e32 v3, vcc_lo, s27, v11, vcc_lo
	s_lshl_b64 s[26:27], s[18:19], 3
	global_load_b32 v16, v[2:3], off
	v_add_co_u32 v2, vcc_lo, v12, s26
	v_add_co_ci_u32_e32 v3, vcc_lo, s27, v13, vcc_lo
	global_load_b64 v[2:3], v[2:3], off
	s_waitcnt vmcnt(1)
	v_subrev_nc_u32_e32 v16, s4, v16
.LBB65_19:                              ;   in Loop: Header=BB65_16 Depth=1
	s_or_b32 exec_lo, exec_lo, s1
	ds_store_b32 v9, v16
	s_waitcnt vmcnt(0)
	ds_store_b64 v8, v[2:3]
.LBB65_20:                              ;   in Loop: Header=BB65_16 Depth=1
	s_lshl_b32 s1, s0, 3
	s_lshl_b32 s0, s0, 2
	s_delay_alu instid0(SALU_CYCLE_1)
	v_dual_mov_b32 v2, s1 :: v_dual_mov_b32 v3, s0
	s_waitcnt lgkmcnt(0)
	s_waitcnt_vscnt null, 0x0
	s_barrier
	buffer_gl0_inv
	ds_load_b64 v[16:17], v2
	ds_load_b32 v2, v3 offset:512
	s_waitcnt lgkmcnt(1)
	v_cmp_eq_f32_e32 vcc_lo, 0, v16
	v_cmp_eq_f32_e64 s0, 0, v17
	s_waitcnt lgkmcnt(0)
	v_readfirstlane_b32 s13, v2
	v_cmp_ne_u32_e64 s1, s20, v2
	s_delay_alu instid0(VALU_DEP_3) | instskip(NEXT) | instid1(VALU_DEP_2)
	s_and_b32 s0, vcc_lo, s0
	s_cmp_eq_u32 s13, s20
	s_cselect_b32 s26, -1, 0
	s_delay_alu instid0(SALU_CYCLE_1) | instskip(NEXT) | instid1(SALU_CYCLE_1)
	s_and_b32 s0, s0, s26
	s_and_b32 s0, s21, s0
	s_delay_alu instid0(SALU_CYCLE_1) | instskip(SKIP_2) | instid1(SALU_CYCLE_1)
	v_cndmask_b32_e64 v2, v17, 0, s0
	v_cndmask_b32_e64 v3, v16, 1.0, s0
	s_and_b32 s25, s3, s0
	s_and_saveexec_b32 s0, s25
	s_cbranch_execz .LBB65_24
; %bb.21:                               ;   in Loop: Header=BB65_16 Depth=1
	v_mbcnt_lo_u32_b32 v2, exec_lo, 0
	s_mov_b32 s25, exec_lo
	s_delay_alu instid0(VALU_DEP_1)
	v_cmpx_eq_u32_e32 0, v2
	s_cbranch_execz .LBB65_23
; %bb.22:                               ;   in Loop: Header=BB65_16 Depth=1
	v_mov_b32_e32 v2, s24
	global_atomic_min_i32 v1, v2, s[8:9]
.LBB65_23:                              ;   in Loop: Header=BB65_16 Depth=1
	s_or_b32 exec_lo, exec_lo, s25
	v_dual_mov_b32 v2, 0 :: v_dual_mov_b32 v3, 1.0
.LBB65_24:                              ;   in Loop: Header=BB65_16 Depth=1
	s_or_b32 exec_lo, exec_lo, s0
	s_cmp_lt_i32 s5, 1
	s_mov_b32 s0, 0
	s_cbranch_scc1 .LBB65_30
; %bb.25:                               ;   in Loop: Header=BB65_16 Depth=1
	s_cmp_eq_u32 s5, 1
	s_cbranch_scc0 .LBB65_31
; %bb.26:                               ;   in Loop: Header=BB65_16 Depth=1
	v_dual_mov_b32 v16, v15 :: v_dual_mov_b32 v17, v14
	s_cmp_ge_i32 s13, s20
	s_mov_b32 s25, 0
	s_cbranch_scc0 .LBB65_33
; %bb.27:                               ;   in Loop: Header=BB65_16 Depth=1
	s_and_b32 vcc_lo, exec_lo, s26
	s_cbranch_vccz .LBB65_32
; %bb.28:                               ;   in Loop: Header=BB65_16 Depth=1
	v_dual_mov_b32 v16, v15 :: v_dual_mov_b32 v17, v14
	s_and_not1_b32 vcc_lo, exec_lo, s21
	s_cbranch_vccnz .LBB65_33
; %bb.29:                               ;   in Loop: Header=BB65_16 Depth=1
	v_mul_f32_e32 v16, v2, v2
	s_delay_alu instid0(VALU_DEP_1) | instskip(NEXT) | instid1(VALU_DEP_1)
	v_fmac_f32_e32 v16, v3, v3
	v_div_scale_f32 v17, null, v16, v16, 1.0
	v_div_scale_f32 v20, vcc_lo, 1.0, v16, 1.0
	s_delay_alu instid0(VALU_DEP_2) | instskip(SKIP_2) | instid1(VALU_DEP_1)
	v_rcp_f32_e32 v18, v17
	s_waitcnt_depctr 0xfff
	v_fma_f32 v19, -v17, v18, 1.0
	v_fmac_f32_e32 v18, v19, v18
	s_delay_alu instid0(VALU_DEP_1) | instskip(NEXT) | instid1(VALU_DEP_1)
	v_mul_f32_e32 v19, v20, v18
	v_fma_f32 v21, -v17, v19, v20
	s_delay_alu instid0(VALU_DEP_1) | instskip(NEXT) | instid1(VALU_DEP_1)
	v_fmac_f32_e32 v19, v21, v18
	v_fma_f32 v17, -v17, v19, v20
	s_delay_alu instid0(VALU_DEP_1) | instskip(SKIP_2) | instid1(VALU_DEP_3)
	v_div_fmas_f32 v17, v17, v18, v19
	v_fma_f32 v18, 0, v2, v3
	v_fma_f32 v19, v3, 0, -v2
	v_div_fixup_f32 v16, v17, v16, 1.0
	s_delay_alu instid0(VALU_DEP_1) | instskip(NEXT) | instid1(VALU_DEP_3)
	v_mul_f32_e32 v17, v18, v16
	v_mul_f32_e32 v16, v19, v16
	s_branch .LBB65_33
.LBB65_30:                              ;   in Loop: Header=BB65_16 Depth=1
	s_mov_b32 s25, 0
                                        ; implicit-def: $sgpr26
                                        ; implicit-def: $vgpr18
                                        ; implicit-def: $vgpr19
                                        ; implicit-def: $vgpr16
                                        ; implicit-def: $vgpr17
	s_cbranch_execnz .LBB65_34
	s_branch .LBB65_36
.LBB65_31:                              ;   in Loop: Header=BB65_16 Depth=1
	s_mov_b32 s25, -1
                                        ; implicit-def: $sgpr26
                                        ; implicit-def: $vgpr18
                                        ; implicit-def: $vgpr19
                                        ; implicit-def: $vgpr16
                                        ; implicit-def: $vgpr17
	s_branch .LBB65_36
.LBB65_32:                              ;   in Loop: Header=BB65_16 Depth=1
	s_mov_b32 s25, -1
                                        ; implicit-def: $vgpr16
                                        ; implicit-def: $vgpr17
.LBB65_33:                              ;   in Loop: Header=BB65_16 Depth=1
	v_dual_mov_b32 v18, v6 :: v_dual_mov_b32 v19, v7
	s_mov_b32 s26, 4
	s_branch .LBB65_36
.LBB65_34:                              ;   in Loop: Header=BB65_16 Depth=1
	s_cmp_eq_u32 s5, 0
	s_cbranch_scc1 .LBB65_40
; %bb.35:                               ;   in Loop: Header=BB65_16 Depth=1
	s_mov_b32 s25, -1
                                        ; implicit-def: $sgpr26
                                        ; implicit-def: $vgpr18
                                        ; implicit-def: $vgpr19
                                        ; implicit-def: $vgpr16
                                        ; implicit-def: $vgpr17
.LBB65_36:                              ;   in Loop: Header=BB65_16 Depth=1
	s_delay_alu instid0(SALU_CYCLE_1)
	s_and_b32 vcc_lo, exec_lo, s25
	s_cbranch_vccnz .LBB65_43
.LBB65_37:                              ;   in Loop: Header=BB65_16 Depth=1
	s_and_b32 vcc_lo, exec_lo, s0
	s_cbranch_vccnz .LBB65_49
.LBB65_38:                              ;   in Loop: Header=BB65_16 Depth=1
	s_cmp_gt_i32 s26, 3
	s_mov_b32 s0, -1
	s_cbranch_scc1 .LBB65_52
.LBB65_39:                              ;   in Loop: Header=BB65_16 Depth=1
	s_cmp_eq_u32 s26, 0
	s_cselect_b32 s1, -1, 0
	s_delay_alu instid0(SALU_CYCLE_1)
	s_and_not1_b32 vcc_lo, exec_lo, s1
	s_cbranch_vccz .LBB65_14
	s_branch .LBB65_53
.LBB65_40:                              ;   in Loop: Header=BB65_16 Depth=1
	s_cmp_le_i32 s13, s20
	s_mov_b32 s25, 0
	s_cbranch_scc0 .LBB65_42
; %bb.41:                               ;   in Loop: Header=BB65_16 Depth=1
	s_mov_b32 s0, -1
	s_mov_b32 s25, s1
.LBB65_42:                              ;   in Loop: Header=BB65_16 Depth=1
	v_dual_mov_b32 v18, v6 :: v_dual_mov_b32 v19, v7
	v_dual_mov_b32 v16, v15 :: v_dual_mov_b32 v17, v14
	s_mov_b32 s26, 2
	s_and_b32 vcc_lo, exec_lo, s25
	s_cbranch_vccz .LBB65_37
.LBB65_43:                              ;   in Loop: Header=BB65_16 Depth=1
	s_and_saveexec_b32 s25, s3
	s_cbranch_execz .LBB65_46
; %bb.44:                               ;   in Loop: Header=BB65_16 Depth=1
	s_add_i32 s0, s13, s7
	s_delay_alu instid0(SALU_CYCLE_1) | instskip(NEXT) | instid1(SALU_CYCLE_1)
	s_ashr_i32 s1, s0, 31
	s_lshl_b64 s[0:1], s[0:1], 2
	s_delay_alu instid0(SALU_CYCLE_1)
	s_add_u32 s0, s16, s0
	s_addc_u32 s1, s17, s1
	global_load_b32 v16, v1, s[0:1] glc
	s_waitcnt vmcnt(0)
	v_cmp_ne_u32_e32 vcc_lo, 0, v16
	s_cbranch_vccnz .LBB65_46
.LBB65_45:                              ;   Parent Loop BB65_16 Depth=1
                                        ; =>  This Inner Loop Header: Depth=2
	global_load_b32 v16, v1, s[0:1] glc
	s_waitcnt vmcnt(0)
	v_cmp_eq_u32_e32 vcc_lo, 0, v16
	s_cbranch_vccnz .LBB65_45
.LBB65_46:                              ;   in Loop: Header=BB65_16 Depth=1
	s_or_b32 exec_lo, exec_lo, s25
	v_dual_mov_b32 v18, 0 :: v_dual_mov_b32 v19, 0
	s_mov_b32 s0, 0
	s_waitcnt_vscnt null, 0x0
	s_barrier
	buffer_gl0_inv
	buffer_gl1_inv
	buffer_gl0_inv
	s_and_saveexec_b32 s1, s2
	s_cbranch_execz .LBB65_48
; %bb.47:                               ;   in Loop: Header=BB65_16 Depth=1
	s_mul_i32 s25, s13, s23
	s_mul_hi_u32 s26, s13, s22
	s_ashr_i32 s27, s13, 31
	s_add_i32 s25, s26, s25
	s_mul_i32 s27, s27, s22
	s_mul_i32 s26, s13, s22
	s_add_i32 s27, s25, s27
	s_delay_alu instid0(SALU_CYCLE_1) | instskip(NEXT) | instid1(SALU_CYCLE_1)
	s_lshl_b64 s[26:27], s[26:27], 3
	v_add_co_u32 v16, vcc_lo, v4, s26
	v_add_co_ci_u32_e32 v17, vcc_lo, s27, v5, vcc_lo
	global_load_b64 v[16:17], v[16:17], off
	s_waitcnt vmcnt(0)
	v_fma_f32 v19, -v3, v16, v7
	v_fma_f32 v16, -v2, v16, v6
	s_delay_alu instid0(VALU_DEP_2) | instskip(NEXT) | instid1(VALU_DEP_2)
	v_fmac_f32_e32 v19, v2, v17
	v_fma_f32 v18, -v3, v17, v16
.LBB65_48:                              ;   in Loop: Header=BB65_16 Depth=1
	s_or_b32 exec_lo, exec_lo, s1
	v_dual_mov_b32 v16, v15 :: v_dual_mov_b32 v17, v14
	s_mov_b32 s26, 0
	s_and_b32 vcc_lo, exec_lo, s0
	s_cbranch_vccz .LBB65_38
.LBB65_49:                              ;   in Loop: Header=BB65_16 Depth=1
	s_and_not1_b32 vcc_lo, exec_lo, s21
	s_cbranch_vccnz .LBB65_51
; %bb.50:                               ;   in Loop: Header=BB65_16 Depth=1
	v_mul_f32_e32 v14, v2, v2
	s_delay_alu instid0(VALU_DEP_1) | instskip(NEXT) | instid1(VALU_DEP_1)
	v_fmac_f32_e32 v14, v3, v3
	v_div_scale_f32 v15, null, v14, v14, 1.0
	v_div_scale_f32 v18, vcc_lo, 1.0, v14, 1.0
	s_delay_alu instid0(VALU_DEP_2) | instskip(SKIP_2) | instid1(VALU_DEP_1)
	v_rcp_f32_e32 v16, v15
	s_waitcnt_depctr 0xfff
	v_fma_f32 v17, -v15, v16, 1.0
	v_fmac_f32_e32 v16, v17, v16
	s_delay_alu instid0(VALU_DEP_1) | instskip(NEXT) | instid1(VALU_DEP_1)
	v_mul_f32_e32 v17, v18, v16
	v_fma_f32 v19, -v15, v17, v18
	s_delay_alu instid0(VALU_DEP_1) | instskip(NEXT) | instid1(VALU_DEP_1)
	v_fmac_f32_e32 v17, v19, v16
	v_fma_f32 v15, -v15, v17, v18
	s_delay_alu instid0(VALU_DEP_1) | instskip(SKIP_2) | instid1(VALU_DEP_3)
	v_div_fmas_f32 v15, v15, v16, v17
	v_fma_f32 v16, 0, v2, v3
	v_fma_f32 v2, v3, 0, -v2
	v_div_fixup_f32 v15, v15, v14, 1.0
	s_delay_alu instid0(VALU_DEP_1) | instskip(NEXT) | instid1(VALU_DEP_3)
	v_mul_f32_e32 v14, v16, v15
	v_mul_f32_e32 v15, v2, v15
.LBB65_51:                              ;   in Loop: Header=BB65_16 Depth=1
	s_delay_alu instid0(VALU_DEP_1) | instskip(SKIP_2) | instid1(SALU_CYCLE_1)
	v_dual_mov_b32 v17, v14 :: v_dual_mov_b32 v16, v15
	v_dual_mov_b32 v19, v7 :: v_dual_mov_b32 v18, v6
	s_mov_b32 s26, 2
	s_cmp_gt_i32 s26, 3
	s_mov_b32 s0, -1
	s_cbranch_scc0 .LBB65_39
.LBB65_52:                              ;   in Loop: Header=BB65_16 Depth=1
	s_branch .LBB65_14
.LBB65_53:                              ;   in Loop: Header=BB65_16 Depth=1
                                        ; implicit-def: $sgpr18_sgpr19
	s_branch .LBB65_15
.LBB65_54:
	v_dual_mov_b32 v16, 0 :: v_dual_mov_b32 v17, 1.0
	s_and_saveexec_b32 s0, s2
	s_cbranch_execnz .LBB65_56
	s_branch .LBB65_57
.LBB65_55:
	v_dual_mov_b32 v6, v18 :: v_dual_mov_b32 v7, v19
	s_and_saveexec_b32 s0, s2
	s_cbranch_execz .LBB65_57
.LBB65_56:
	s_delay_alu instid0(VALU_DEP_1) | instskip(NEXT) | instid1(VALU_DEP_2)
	v_mul_f32_e64 v8, v16, -v6
	v_mul_f32_e32 v3, v16, v7
	s_lshl_b64 s[2:3], s[10:11], 3
	s_cmp_eq_u32 s6, 0
	v_add_co_u32 v1, vcc_lo, v4, s2
	v_fmac_f32_e32 v8, v7, v17
	v_fmac_f32_e32 v3, v6, v17
	v_add_co_ci_u32_e32 v2, vcc_lo, s3, v5, vcc_lo
	s_cselect_b32 vcc_lo, -1, 0
	s_delay_alu instid0(VALU_DEP_2)
	v_dual_cndmask_b32 v4, v6, v3 :: v_dual_cndmask_b32 v3, v7, v8
	global_store_b64 v[1:2], v[3:4], off
.LBB65_57:
	s_or_b32 exec_lo, exec_lo, s0
	s_waitcnt_vscnt null, 0x0
	buffer_gl1_inv
	buffer_gl0_inv
	s_barrier
	buffer_gl0_inv
	s_mov_b32 s0, exec_lo
	v_cmpx_eq_u32_e32 0, v0
	s_cbranch_execz .LBB65_59
; %bb.58:
	s_add_i32 s0, s20, s7
	v_dual_mov_b32 v0, 0 :: v_dual_mov_b32 v1, 1
	s_ashr_i32 s1, s0, 31
	s_delay_alu instid0(SALU_CYCLE_1) | instskip(NEXT) | instid1(SALU_CYCLE_1)
	s_lshl_b64 s[0:1], s[0:1], 2
	s_add_u32 s0, s16, s0
	s_addc_u32 s1, s17, s1
	global_store_b32 v0, v1, s[0:1]
.LBB65_59:
	s_nop 0
	s_sendmsg sendmsg(MSG_DEALLOC_VGPRS)
	s_endpgm
	.section	.rodata,"a",@progbits
	.p2align	6, 0x0
	.amdhsa_kernel _ZN9rocsparseL5csrsmILj64ELj64ELb0Eli21rocsparse_complex_numIfEEEv20rocsparse_operation_T3_S4_NS_24const_host_device_scalarIT4_EEPKT2_PKS4_PKS6_PS6_lPiSC_PS4_21rocsparse_index_base_20rocsparse_fill_mode_20rocsparse_diag_type_b
		.amdhsa_group_segment_fixed_size 768
		.amdhsa_private_segment_fixed_size 0
		.amdhsa_kernarg_size 104
		.amdhsa_user_sgpr_count 15
		.amdhsa_user_sgpr_dispatch_ptr 0
		.amdhsa_user_sgpr_queue_ptr 0
		.amdhsa_user_sgpr_kernarg_segment_ptr 1
		.amdhsa_user_sgpr_dispatch_id 0
		.amdhsa_user_sgpr_private_segment_size 0
		.amdhsa_wavefront_size32 1
		.amdhsa_uses_dynamic_stack 0
		.amdhsa_enable_private_segment 0
		.amdhsa_system_sgpr_workgroup_id_x 1
		.amdhsa_system_sgpr_workgroup_id_y 0
		.amdhsa_system_sgpr_workgroup_id_z 0
		.amdhsa_system_sgpr_workgroup_info 0
		.amdhsa_system_vgpr_workitem_id 0
		.amdhsa_next_free_vgpr 22
		.amdhsa_next_free_sgpr 28
		.amdhsa_reserve_vcc 1
		.amdhsa_float_round_mode_32 0
		.amdhsa_float_round_mode_16_64 0
		.amdhsa_float_denorm_mode_32 3
		.amdhsa_float_denorm_mode_16_64 3
		.amdhsa_dx10_clamp 1
		.amdhsa_ieee_mode 1
		.amdhsa_fp16_overflow 0
		.amdhsa_workgroup_processor_mode 1
		.amdhsa_memory_ordered 1
		.amdhsa_forward_progress 0
		.amdhsa_shared_vgpr_count 0
		.amdhsa_exception_fp_ieee_invalid_op 0
		.amdhsa_exception_fp_denorm_src 0
		.amdhsa_exception_fp_ieee_div_zero 0
		.amdhsa_exception_fp_ieee_overflow 0
		.amdhsa_exception_fp_ieee_underflow 0
		.amdhsa_exception_fp_ieee_inexact 0
		.amdhsa_exception_int_div_zero 0
	.end_amdhsa_kernel
	.section	.text._ZN9rocsparseL5csrsmILj64ELj64ELb0Eli21rocsparse_complex_numIfEEEv20rocsparse_operation_T3_S4_NS_24const_host_device_scalarIT4_EEPKT2_PKS4_PKS6_PS6_lPiSC_PS4_21rocsparse_index_base_20rocsparse_fill_mode_20rocsparse_diag_type_b,"axG",@progbits,_ZN9rocsparseL5csrsmILj64ELj64ELb0Eli21rocsparse_complex_numIfEEEv20rocsparse_operation_T3_S4_NS_24const_host_device_scalarIT4_EEPKT2_PKS4_PKS6_PS6_lPiSC_PS4_21rocsparse_index_base_20rocsparse_fill_mode_20rocsparse_diag_type_b,comdat
.Lfunc_end65:
	.size	_ZN9rocsparseL5csrsmILj64ELj64ELb0Eli21rocsparse_complex_numIfEEEv20rocsparse_operation_T3_S4_NS_24const_host_device_scalarIT4_EEPKT2_PKS4_PKS6_PS6_lPiSC_PS4_21rocsparse_index_base_20rocsparse_fill_mode_20rocsparse_diag_type_b, .Lfunc_end65-_ZN9rocsparseL5csrsmILj64ELj64ELb0Eli21rocsparse_complex_numIfEEEv20rocsparse_operation_T3_S4_NS_24const_host_device_scalarIT4_EEPKT2_PKS4_PKS6_PS6_lPiSC_PS4_21rocsparse_index_base_20rocsparse_fill_mode_20rocsparse_diag_type_b
                                        ; -- End function
	.section	.AMDGPU.csdata,"",@progbits
; Kernel info:
; codeLenInByte = 2120
; NumSgprs: 30
; NumVgprs: 22
; ScratchSize: 0
; MemoryBound: 0
; FloatMode: 240
; IeeeMode: 1
; LDSByteSize: 768 bytes/workgroup (compile time only)
; SGPRBlocks: 3
; VGPRBlocks: 2
; NumSGPRsForWavesPerEU: 30
; NumVGPRsForWavesPerEU: 22
; Occupancy: 16
; WaveLimiterHint : 1
; COMPUTE_PGM_RSRC2:SCRATCH_EN: 0
; COMPUTE_PGM_RSRC2:USER_SGPR: 15
; COMPUTE_PGM_RSRC2:TRAP_HANDLER: 0
; COMPUTE_PGM_RSRC2:TGID_X_EN: 1
; COMPUTE_PGM_RSRC2:TGID_Y_EN: 0
; COMPUTE_PGM_RSRC2:TGID_Z_EN: 0
; COMPUTE_PGM_RSRC2:TIDIG_COMP_CNT: 0
	.section	.text._ZN9rocsparseL5csrsmILj128ELj64ELb1Eli21rocsparse_complex_numIfEEEv20rocsparse_operation_T3_S4_NS_24const_host_device_scalarIT4_EEPKT2_PKS4_PKS6_PS6_lPiSC_PS4_21rocsparse_index_base_20rocsparse_fill_mode_20rocsparse_diag_type_b,"axG",@progbits,_ZN9rocsparseL5csrsmILj128ELj64ELb1Eli21rocsparse_complex_numIfEEEv20rocsparse_operation_T3_S4_NS_24const_host_device_scalarIT4_EEPKT2_PKS4_PKS6_PS6_lPiSC_PS4_21rocsparse_index_base_20rocsparse_fill_mode_20rocsparse_diag_type_b,comdat
	.globl	_ZN9rocsparseL5csrsmILj128ELj64ELb1Eli21rocsparse_complex_numIfEEEv20rocsparse_operation_T3_S4_NS_24const_host_device_scalarIT4_EEPKT2_PKS4_PKS6_PS6_lPiSC_PS4_21rocsparse_index_base_20rocsparse_fill_mode_20rocsparse_diag_type_b ; -- Begin function _ZN9rocsparseL5csrsmILj128ELj64ELb1Eli21rocsparse_complex_numIfEEEv20rocsparse_operation_T3_S4_NS_24const_host_device_scalarIT4_EEPKT2_PKS4_PKS6_PS6_lPiSC_PS4_21rocsparse_index_base_20rocsparse_fill_mode_20rocsparse_diag_type_b
	.p2align	8
	.type	_ZN9rocsparseL5csrsmILj128ELj64ELb1Eli21rocsparse_complex_numIfEEEv20rocsparse_operation_T3_S4_NS_24const_host_device_scalarIT4_EEPKT2_PKS4_PKS6_PS6_lPiSC_PS4_21rocsparse_index_base_20rocsparse_fill_mode_20rocsparse_diag_type_b,@function
_ZN9rocsparseL5csrsmILj128ELj64ELb1Eli21rocsparse_complex_numIfEEEv20rocsparse_operation_T3_S4_NS_24const_host_device_scalarIT4_EEPKT2_PKS4_PKS6_PS6_lPiSC_PS4_21rocsparse_index_base_20rocsparse_fill_mode_20rocsparse_diag_type_b: ; @_ZN9rocsparseL5csrsmILj128ELj64ELb1Eli21rocsparse_complex_numIfEEEv20rocsparse_operation_T3_S4_NS_24const_host_device_scalarIT4_EEPKT2_PKS4_PKS6_PS6_lPiSC_PS4_21rocsparse_index_base_20rocsparse_fill_mode_20rocsparse_diag_type_b
; %bb.0:
	s_clause 0x2
	s_load_b128 s[4:7], s[0:1], 0x58
	s_load_b128 s[8:11], s[0:1], 0x10
	s_load_b64 s[2:3], s[0:1], 0x48
	s_waitcnt lgkmcnt(0)
	s_bitcmp1_b32 s7, 0
	s_mov_b32 s26, s8
	s_cselect_b32 s12, -1, 0
	s_delay_alu instid0(SALU_CYCLE_1)
	s_xor_b32 s7, s12, -1
	s_and_b32 vcc_lo, exec_lo, s12
	s_cbranch_vccnz .LBB66_2
; %bb.1:
	s_load_b32 s26, s[8:9], 0x0
.LBB66_2:
	s_load_b64 s[24:25], s[0:1], 0x30
	s_and_not1_b32 vcc_lo, exec_lo, s7
	s_cbranch_vccnz .LBB66_4
; %bb.3:
	s_load_b32 s9, s[8:9], 0x4
.LBB66_4:
	s_clause 0x1
	s_load_b128 s[16:19], s[0:1], 0x0
	s_load_b64 s[22:23], s[0:1], 0x38
	s_waitcnt lgkmcnt(0)
	v_cvt_f32_u32_e32 v1, s17
	s_sub_i32 s8, 0, s17
	s_delay_alu instid0(VALU_DEP_1) | instskip(SKIP_2) | instid1(VALU_DEP_1)
	v_rcp_iflag_f32_e32 v1, v1
	s_waitcnt_depctr 0xfff
	v_mul_f32_e32 v1, 0x4f7ffffe, v1
	v_cvt_u32_f32_e32 v1, v1
	s_delay_alu instid0(VALU_DEP_1) | instskip(NEXT) | instid1(VALU_DEP_1)
	v_readfirstlane_b32 s7, v1
	s_mul_i32 s8, s8, s7
	s_delay_alu instid0(SALU_CYCLE_1) | instskip(NEXT) | instid1(SALU_CYCLE_1)
	s_mul_hi_u32 s8, s7, s8
	s_add_i32 s7, s7, s8
	s_delay_alu instid0(SALU_CYCLE_1) | instskip(NEXT) | instid1(SALU_CYCLE_1)
	s_mul_hi_u32 s7, s15, s7
	s_mul_i32 s8, s7, s17
	s_add_i32 s12, s7, 1
	s_sub_i32 s8, s15, s8
	s_delay_alu instid0(SALU_CYCLE_1)
	s_sub_i32 s13, s8, s17
	s_cmp_ge_u32 s8, s17
	s_cselect_b32 s7, s12, s7
	s_cselect_b32 s8, s13, s8
	s_add_i32 s12, s7, 1
	s_cmp_ge_u32 s8, s17
	s_cselect_b32 s8, s12, s7
	s_delay_alu instid0(SALU_CYCLE_1) | instskip(SKIP_2) | instid1(SALU_CYCLE_1)
	s_mul_i32 s7, s8, s17
	v_lshl_or_b32 v1, s8, 7, v0
	s_sub_i32 s12, s15, s7
	s_ashr_i32 s13, s12, 31
	s_delay_alu instid0(VALU_DEP_1) | instskip(SKIP_1) | instid1(SALU_CYCLE_1)
	v_ashrrev_i32_e32 v2, 31, v1
	s_lshl_b64 s[12:13], s[12:13], 2
	s_add_u32 s2, s2, s12
	s_addc_u32 s3, s3, s13
	s_load_b32 s20, s[2:3], 0x0
	s_waitcnt lgkmcnt(0)
	s_ashr_i32 s21, s20, 31
	s_delay_alu instid0(SALU_CYCLE_1) | instskip(NEXT) | instid1(SALU_CYCLE_1)
	s_lshl_b64 s[2:3], s[20:21], 3
	s_add_u32 s2, s10, s2
	s_addc_u32 s3, s11, s3
	s_mul_i32 s10, s20, s22
	s_load_b128 s[12:15], s[2:3], 0x0
	s_mul_i32 s2, s20, s23
	s_mul_hi_u32 s3, s20, s22
	v_add_co_u32 v3, vcc_lo, s10, v1
	s_add_i32 s2, s3, s2
	s_mul_i32 s3, s21, s22
	s_delay_alu instid0(SALU_CYCLE_1)
	s_add_i32 s11, s2, s3
	v_cmp_gt_i32_e64 s2, s18, v1
	v_add_co_ci_u32_e32 v4, vcc_lo, s11, v2, vcc_lo
	s_cmpk_lg_i32 s16, 0x71
	s_cbranch_scc0 .LBB66_8
; %bb.5:
	v_dual_mov_b32 v6, 0 :: v_dual_mov_b32 v7, 0
	s_mov_b32 s3, 0
	s_and_saveexec_b32 s8, s2
	s_cbranch_execz .LBB66_7
; %bb.6:
	v_lshlrev_b64 v[5:6], 3, v[3:4]
	s_delay_alu instid0(VALU_DEP_1) | instskip(NEXT) | instid1(VALU_DEP_2)
	v_add_co_u32 v5, vcc_lo, s24, v5
	v_add_co_ci_u32_e32 v6, vcc_lo, s25, v6, vcc_lo
	global_load_b64 v[5:6], v[5:6], off
	s_waitcnt vmcnt(0)
	v_mul_f32_e64 v7, v6, -s9
	s_delay_alu instid0(VALU_DEP_1) | instskip(NEXT) | instid1(VALU_DEP_1)
	v_dual_mul_f32 v6, s26, v6 :: v_dual_fmac_f32 v7, s26, v5
	v_fmac_f32_e32 v6, s9, v5
.LBB66_7:
	s_or_b32 exec_lo, exec_lo, s8
	s_load_b64 s[16:17], s[0:1], 0x40
	s_and_not1_b32 vcc_lo, exec_lo, s3
	s_cbranch_vccz .LBB66_9
	s_branch .LBB66_12
.LBB66_8:
                                        ; implicit-def: $vgpr6
                                        ; implicit-def: $vgpr7
	s_load_b64 s[16:17], s[0:1], 0x40
.LBB66_9:
	v_dual_mov_b32 v6, 0 :: v_dual_mov_b32 v7, 0
	s_and_saveexec_b32 s3, s2
	s_cbranch_execz .LBB66_11
; %bb.10:
	v_lshlrev_b64 v[3:4], 3, v[3:4]
	s_delay_alu instid0(VALU_DEP_1) | instskip(NEXT) | instid1(VALU_DEP_2)
	v_add_co_u32 v3, vcc_lo, s24, v3
	v_add_co_ci_u32_e32 v4, vcc_lo, s25, v4, vcc_lo
	global_load_b64 v[3:4], v[3:4], off
	s_waitcnt vmcnt(0)
	v_mul_f32_e64 v6, s26, -v4
	s_delay_alu instid0(VALU_DEP_1) | instskip(NEXT) | instid1(VALU_DEP_1)
	v_dual_mul_f32 v7, s9, v4 :: v_dual_fmac_f32 v6, s9, v3
	v_fmac_f32_e32 v7, s26, v3
.LBB66_11:
	s_or_b32 exec_lo, exec_lo, s3
.LBB66_12:
	v_lshlrev_b64 v[1:2], 3, v[1:2]
	s_waitcnt lgkmcnt(0)
	v_cmp_ge_i64_e64 s3, s[12:13], s[14:15]
	s_delay_alu instid0(VALU_DEP_2) | instskip(NEXT) | instid1(VALU_DEP_3)
	v_add_co_u32 v4, vcc_lo, s24, v1
	v_add_co_ci_u32_e32 v5, vcc_lo, s25, v2, vcc_lo
	s_delay_alu instid0(VALU_DEP_3)
	s_and_b32 vcc_lo, exec_lo, s3
	v_cmp_eq_u32_e64 s3, 0, v0
	s_cbranch_vccnz .LBB66_57
; %bb.13:
	s_clause 0x1
	s_load_b128 s[24:27], s[0:1], 0x20
	s_load_b64 s[8:9], s[0:1], 0x50
	v_dual_mov_b32 v1, 0 :: v_dual_lshlrev_b32 v2, 2, v0
	v_lshlrev_b32_e32 v8, 3, v0
	s_sub_u32 s12, s12, s4
	s_subb_u32 s13, s13, 0
	s_delay_alu instid0(VALU_DEP_2)
	v_mov_b32_e32 v15, v1
	s_sub_u32 s14, s14, s4
	v_mov_b32_e32 v14, 1.0
	s_subb_u32 s15, s15, 0
	v_or_b32_e32 v9, 0x400, v2
	s_cmp_eq_u32 s6, 0
	s_mov_b64 s[18:19], s[12:13]
	s_cselect_b32 s21, -1, 0
	s_waitcnt lgkmcnt(0)
	v_add_co_u32 v10, s0, s24, v2
	s_delay_alu instid0(VALU_DEP_1) | instskip(SKIP_1) | instid1(VALU_DEP_1)
	v_add_co_ci_u32_e64 v11, null, s25, 0, s0
	v_add_co_u32 v12, s0, s26, v8
	v_add_co_ci_u32_e64 v13, null, s27, 0, s0
	s_add_i32 s24, s20, s4
	s_branch .LBB66_16
.LBB66_14:                              ;   in Loop: Header=BB66_16 Depth=1
	s_add_u32 s18, s18, 1
	s_addc_u32 s19, s19, 0
	s_delay_alu instid0(SALU_CYCLE_1)
	v_cmp_ge_i64_e64 s0, s[18:19], s[14:15]
.LBB66_15:                              ;   in Loop: Header=BB66_16 Depth=1
	v_dual_mov_b32 v6, v18 :: v_dual_mov_b32 v7, v19
	v_dual_mov_b32 v15, v16 :: v_dual_mov_b32 v14, v17
	s_delay_alu instid0(VALU_DEP_3)
	s_and_not1_b32 vcc_lo, exec_lo, s0
	s_cbranch_vccz .LBB66_58
.LBB66_16:                              ; =>This Loop Header: Depth=1
                                        ;     Child Loop BB66_55 Depth 2
                                        ;       Child Loop BB66_56 Depth 3
	s_sub_i32 s0, s18, s12
	s_delay_alu instid0(SALU_CYCLE_1) | instskip(NEXT) | instid1(SALU_CYCLE_1)
	s_and_b32 s0, s0, 0x7f
	s_cmp_lg_u32 s0, 0
	s_cbranch_scc1 .LBB66_20
; %bb.17:                               ;   in Loop: Header=BB66_16 Depth=1
	v_dual_mov_b32 v16, -1 :: v_dual_mov_b32 v3, 0
	v_mov_b32_e32 v2, -1.0
	s_sub_u32 s26, s14, s18
	s_subb_u32 s27, s15, s19
	s_mov_b32 s1, exec_lo
	v_cmpx_gt_i64_e64 s[26:27], v[0:1]
	s_cbranch_execz .LBB66_19
; %bb.18:                               ;   in Loop: Header=BB66_16 Depth=1
	s_lshl_b64 s[26:27], s[18:19], 2
	s_delay_alu instid0(SALU_CYCLE_1)
	v_add_co_u32 v2, vcc_lo, v10, s26
	v_add_co_ci_u32_e32 v3, vcc_lo, s27, v11, vcc_lo
	s_lshl_b64 s[26:27], s[18:19], 3
	global_load_b32 v16, v[2:3], off
	v_add_co_u32 v2, vcc_lo, v12, s26
	v_add_co_ci_u32_e32 v3, vcc_lo, s27, v13, vcc_lo
	global_load_b64 v[2:3], v[2:3], off
	s_waitcnt vmcnt(1)
	v_subrev_nc_u32_e32 v16, s4, v16
.LBB66_19:                              ;   in Loop: Header=BB66_16 Depth=1
	s_or_b32 exec_lo, exec_lo, s1
	ds_store_b32 v9, v16
	s_waitcnt vmcnt(0)
	ds_store_b64 v8, v[2:3]
.LBB66_20:                              ;   in Loop: Header=BB66_16 Depth=1
	s_lshl_b32 s1, s0, 3
	s_lshl_b32 s0, s0, 2
	s_delay_alu instid0(SALU_CYCLE_1)
	v_dual_mov_b32 v2, s1 :: v_dual_mov_b32 v3, s0
	s_waitcnt lgkmcnt(0)
	s_waitcnt_vscnt null, 0x0
	s_barrier
	buffer_gl0_inv
	ds_load_b64 v[16:17], v2
	ds_load_b32 v2, v3 offset:1024
	s_waitcnt lgkmcnt(1)
	v_cmp_eq_f32_e32 vcc_lo, 0, v16
	v_cmp_eq_f32_e64 s0, 0, v17
	s_waitcnt lgkmcnt(0)
	v_readfirstlane_b32 s13, v2
	v_cmp_ne_u32_e64 s1, s20, v2
	s_delay_alu instid0(VALU_DEP_3) | instskip(NEXT) | instid1(VALU_DEP_2)
	s_and_b32 s0, vcc_lo, s0
	s_cmp_eq_u32 s13, s20
	s_cselect_b32 s26, -1, 0
	s_delay_alu instid0(SALU_CYCLE_1) | instskip(NEXT) | instid1(SALU_CYCLE_1)
	s_and_b32 s0, s0, s26
	s_and_b32 s0, s21, s0
	s_delay_alu instid0(SALU_CYCLE_1) | instskip(SKIP_2) | instid1(SALU_CYCLE_1)
	v_cndmask_b32_e64 v2, v17, 0, s0
	v_cndmask_b32_e64 v3, v16, 1.0, s0
	s_and_b32 s25, s3, s0
	s_and_saveexec_b32 s0, s25
	s_cbranch_execz .LBB66_24
; %bb.21:                               ;   in Loop: Header=BB66_16 Depth=1
	v_mbcnt_lo_u32_b32 v2, exec_lo, 0
	s_mov_b32 s25, exec_lo
	s_delay_alu instid0(VALU_DEP_1)
	v_cmpx_eq_u32_e32 0, v2
	s_cbranch_execz .LBB66_23
; %bb.22:                               ;   in Loop: Header=BB66_16 Depth=1
	v_mov_b32_e32 v2, s24
	global_atomic_min_i32 v1, v2, s[8:9]
.LBB66_23:                              ;   in Loop: Header=BB66_16 Depth=1
	s_or_b32 exec_lo, exec_lo, s25
	v_dual_mov_b32 v2, 0 :: v_dual_mov_b32 v3, 1.0
.LBB66_24:                              ;   in Loop: Header=BB66_16 Depth=1
	s_or_b32 exec_lo, exec_lo, s0
	s_cmp_lt_i32 s5, 1
	s_mov_b32 s0, 0
	s_cbranch_scc1 .LBB66_30
; %bb.25:                               ;   in Loop: Header=BB66_16 Depth=1
	s_cmp_eq_u32 s5, 1
	s_cbranch_scc0 .LBB66_31
; %bb.26:                               ;   in Loop: Header=BB66_16 Depth=1
	v_dual_mov_b32 v16, v15 :: v_dual_mov_b32 v17, v14
	s_cmp_ge_i32 s13, s20
	s_mov_b32 s25, 0
	s_cbranch_scc0 .LBB66_33
; %bb.27:                               ;   in Loop: Header=BB66_16 Depth=1
	s_and_b32 vcc_lo, exec_lo, s26
	s_cbranch_vccz .LBB66_32
; %bb.28:                               ;   in Loop: Header=BB66_16 Depth=1
	v_dual_mov_b32 v16, v15 :: v_dual_mov_b32 v17, v14
	s_and_not1_b32 vcc_lo, exec_lo, s21
	s_cbranch_vccnz .LBB66_33
; %bb.29:                               ;   in Loop: Header=BB66_16 Depth=1
	v_mul_f32_e32 v16, v2, v2
	s_delay_alu instid0(VALU_DEP_1) | instskip(NEXT) | instid1(VALU_DEP_1)
	v_fmac_f32_e32 v16, v3, v3
	v_div_scale_f32 v17, null, v16, v16, 1.0
	v_div_scale_f32 v20, vcc_lo, 1.0, v16, 1.0
	s_delay_alu instid0(VALU_DEP_2) | instskip(SKIP_2) | instid1(VALU_DEP_1)
	v_rcp_f32_e32 v18, v17
	s_waitcnt_depctr 0xfff
	v_fma_f32 v19, -v17, v18, 1.0
	v_fmac_f32_e32 v18, v19, v18
	s_delay_alu instid0(VALU_DEP_1) | instskip(NEXT) | instid1(VALU_DEP_1)
	v_mul_f32_e32 v19, v20, v18
	v_fma_f32 v21, -v17, v19, v20
	s_delay_alu instid0(VALU_DEP_1) | instskip(NEXT) | instid1(VALU_DEP_1)
	v_fmac_f32_e32 v19, v21, v18
	v_fma_f32 v17, -v17, v19, v20
	s_delay_alu instid0(VALU_DEP_1) | instskip(SKIP_2) | instid1(VALU_DEP_3)
	v_div_fmas_f32 v17, v17, v18, v19
	v_fma_f32 v18, 0, v2, v3
	v_fma_f32 v19, v3, 0, -v2
	v_div_fixup_f32 v16, v17, v16, 1.0
	s_delay_alu instid0(VALU_DEP_1) | instskip(NEXT) | instid1(VALU_DEP_3)
	v_mul_f32_e32 v17, v18, v16
	v_mul_f32_e32 v16, v19, v16
	s_branch .LBB66_33
.LBB66_30:                              ;   in Loop: Header=BB66_16 Depth=1
	s_mov_b32 s25, 0
                                        ; implicit-def: $sgpr26
                                        ; implicit-def: $vgpr18
                                        ; implicit-def: $vgpr19
                                        ; implicit-def: $vgpr16
                                        ; implicit-def: $vgpr17
	s_cbranch_execnz .LBB66_34
	s_branch .LBB66_36
.LBB66_31:                              ;   in Loop: Header=BB66_16 Depth=1
	s_mov_b32 s25, -1
                                        ; implicit-def: $sgpr26
                                        ; implicit-def: $vgpr18
                                        ; implicit-def: $vgpr19
                                        ; implicit-def: $vgpr16
                                        ; implicit-def: $vgpr17
	s_branch .LBB66_36
.LBB66_32:                              ;   in Loop: Header=BB66_16 Depth=1
	s_mov_b32 s25, -1
                                        ; implicit-def: $vgpr16
                                        ; implicit-def: $vgpr17
.LBB66_33:                              ;   in Loop: Header=BB66_16 Depth=1
	v_dual_mov_b32 v18, v6 :: v_dual_mov_b32 v19, v7
	s_mov_b32 s26, 4
	s_branch .LBB66_36
.LBB66_34:                              ;   in Loop: Header=BB66_16 Depth=1
	s_cmp_eq_u32 s5, 0
	s_cbranch_scc1 .LBB66_40
; %bb.35:                               ;   in Loop: Header=BB66_16 Depth=1
	s_mov_b32 s25, -1
                                        ; implicit-def: $sgpr26
                                        ; implicit-def: $vgpr18
                                        ; implicit-def: $vgpr19
                                        ; implicit-def: $vgpr16
                                        ; implicit-def: $vgpr17
.LBB66_36:                              ;   in Loop: Header=BB66_16 Depth=1
	s_delay_alu instid0(SALU_CYCLE_1)
	s_and_b32 vcc_lo, exec_lo, s25
	s_cbranch_vccnz .LBB66_43
.LBB66_37:                              ;   in Loop: Header=BB66_16 Depth=1
	s_and_b32 vcc_lo, exec_lo, s0
	s_cbranch_vccnz .LBB66_48
.LBB66_38:                              ;   in Loop: Header=BB66_16 Depth=1
	s_cmp_gt_i32 s26, 3
	s_mov_b32 s0, -1
	s_cbranch_scc1 .LBB66_51
.LBB66_39:                              ;   in Loop: Header=BB66_16 Depth=1
	s_cmp_eq_u32 s26, 0
	s_cselect_b32 s1, -1, 0
	s_delay_alu instid0(SALU_CYCLE_1)
	s_and_not1_b32 vcc_lo, exec_lo, s1
	s_cbranch_vccz .LBB66_14
	s_branch .LBB66_52
.LBB66_40:                              ;   in Loop: Header=BB66_16 Depth=1
	s_cmp_le_i32 s13, s20
	s_mov_b32 s25, 0
	s_cbranch_scc0 .LBB66_42
; %bb.41:                               ;   in Loop: Header=BB66_16 Depth=1
	s_mov_b32 s0, -1
	s_mov_b32 s25, s1
.LBB66_42:                              ;   in Loop: Header=BB66_16 Depth=1
	v_dual_mov_b32 v18, v6 :: v_dual_mov_b32 v19, v7
	v_dual_mov_b32 v16, v15 :: v_dual_mov_b32 v17, v14
	s_mov_b32 s26, 2
	s_and_b32 vcc_lo, exec_lo, s25
	s_cbranch_vccz .LBB66_37
.LBB66_43:                              ;   in Loop: Header=BB66_16 Depth=1
	s_and_saveexec_b32 s25, s3
	s_cbranch_execz .LBB66_45
; %bb.44:                               ;   in Loop: Header=BB66_16 Depth=1
	s_add_i32 s0, s13, s7
	s_delay_alu instid0(SALU_CYCLE_1) | instskip(NEXT) | instid1(SALU_CYCLE_1)
	s_ashr_i32 s1, s0, 31
	s_lshl_b64 s[0:1], s[0:1], 2
	s_delay_alu instid0(SALU_CYCLE_1)
	s_add_u32 s0, s16, s0
	s_addc_u32 s1, s17, s1
	global_load_b32 v16, v1, s[0:1] glc
	s_waitcnt vmcnt(0)
	v_cmp_ne_u32_e32 vcc_lo, 0, v16
	s_cbranch_vccz .LBB66_53
.LBB66_45:                              ;   in Loop: Header=BB66_16 Depth=1
	s_or_b32 exec_lo, exec_lo, s25
	v_dual_mov_b32 v18, 0 :: v_dual_mov_b32 v19, 0
	s_mov_b32 s0, 0
	s_waitcnt_vscnt null, 0x0
	s_barrier
	buffer_gl0_inv
	buffer_gl1_inv
	buffer_gl0_inv
	s_and_saveexec_b32 s1, s2
	s_cbranch_execz .LBB66_47
; %bb.46:                               ;   in Loop: Header=BB66_16 Depth=1
	s_mul_i32 s25, s13, s23
	s_mul_hi_u32 s26, s13, s22
	s_ashr_i32 s27, s13, 31
	s_add_i32 s25, s26, s25
	s_mul_i32 s27, s27, s22
	s_mul_i32 s26, s13, s22
	s_add_i32 s27, s25, s27
	s_delay_alu instid0(SALU_CYCLE_1) | instskip(NEXT) | instid1(SALU_CYCLE_1)
	s_lshl_b64 s[26:27], s[26:27], 3
	v_add_co_u32 v16, vcc_lo, v4, s26
	v_add_co_ci_u32_e32 v17, vcc_lo, s27, v5, vcc_lo
	global_load_b64 v[16:17], v[16:17], off
	s_waitcnt vmcnt(0)
	v_fma_f32 v19, -v3, v16, v7
	v_fma_f32 v16, -v2, v16, v6
	s_delay_alu instid0(VALU_DEP_2) | instskip(NEXT) | instid1(VALU_DEP_2)
	v_fmac_f32_e32 v19, v2, v17
	v_fma_f32 v18, -v3, v17, v16
.LBB66_47:                              ;   in Loop: Header=BB66_16 Depth=1
	s_or_b32 exec_lo, exec_lo, s1
	v_dual_mov_b32 v16, v15 :: v_dual_mov_b32 v17, v14
	s_mov_b32 s26, 0
	s_and_b32 vcc_lo, exec_lo, s0
	s_cbranch_vccz .LBB66_38
.LBB66_48:                              ;   in Loop: Header=BB66_16 Depth=1
	s_and_not1_b32 vcc_lo, exec_lo, s21
	s_cbranch_vccnz .LBB66_50
; %bb.49:                               ;   in Loop: Header=BB66_16 Depth=1
	v_mul_f32_e32 v14, v2, v2
	s_delay_alu instid0(VALU_DEP_1) | instskip(NEXT) | instid1(VALU_DEP_1)
	v_fmac_f32_e32 v14, v3, v3
	v_div_scale_f32 v15, null, v14, v14, 1.0
	v_div_scale_f32 v18, vcc_lo, 1.0, v14, 1.0
	s_delay_alu instid0(VALU_DEP_2) | instskip(SKIP_2) | instid1(VALU_DEP_1)
	v_rcp_f32_e32 v16, v15
	s_waitcnt_depctr 0xfff
	v_fma_f32 v17, -v15, v16, 1.0
	v_fmac_f32_e32 v16, v17, v16
	s_delay_alu instid0(VALU_DEP_1) | instskip(NEXT) | instid1(VALU_DEP_1)
	v_mul_f32_e32 v17, v18, v16
	v_fma_f32 v19, -v15, v17, v18
	s_delay_alu instid0(VALU_DEP_1) | instskip(NEXT) | instid1(VALU_DEP_1)
	v_fmac_f32_e32 v17, v19, v16
	v_fma_f32 v15, -v15, v17, v18
	s_delay_alu instid0(VALU_DEP_1) | instskip(SKIP_2) | instid1(VALU_DEP_3)
	v_div_fmas_f32 v15, v15, v16, v17
	v_fma_f32 v16, 0, v2, v3
	v_fma_f32 v2, v3, 0, -v2
	v_div_fixup_f32 v15, v15, v14, 1.0
	s_delay_alu instid0(VALU_DEP_1) | instskip(NEXT) | instid1(VALU_DEP_3)
	v_mul_f32_e32 v14, v16, v15
	v_mul_f32_e32 v15, v2, v15
.LBB66_50:                              ;   in Loop: Header=BB66_16 Depth=1
	s_delay_alu instid0(VALU_DEP_1) | instskip(SKIP_2) | instid1(SALU_CYCLE_1)
	v_dual_mov_b32 v17, v14 :: v_dual_mov_b32 v16, v15
	v_dual_mov_b32 v19, v7 :: v_dual_mov_b32 v18, v6
	s_mov_b32 s26, 2
	s_cmp_gt_i32 s26, 3
	s_mov_b32 s0, -1
	s_cbranch_scc0 .LBB66_39
.LBB66_51:                              ;   in Loop: Header=BB66_16 Depth=1
	s_branch .LBB66_14
.LBB66_52:                              ;   in Loop: Header=BB66_16 Depth=1
                                        ; implicit-def: $sgpr18_sgpr19
	s_branch .LBB66_15
.LBB66_53:                              ;   in Loop: Header=BB66_16 Depth=1
	s_mov_b32 s26, 0
	s_branch .LBB66_55
	.p2align	6
.LBB66_54:                              ;   in Loop: Header=BB66_55 Depth=2
	global_load_b32 v16, v1, s[0:1] glc
	s_cmpk_lt_u32 s26, 0xf43
	s_cselect_b32 s27, -1, 0
	s_delay_alu instid0(SALU_CYCLE_1)
	s_cmp_lg_u32 s27, 0
	s_addc_u32 s26, s26, 0
	s_waitcnt vmcnt(0)
	v_cmp_ne_u32_e32 vcc_lo, 0, v16
	s_cbranch_vccnz .LBB66_45
.LBB66_55:                              ;   Parent Loop BB66_16 Depth=1
                                        ; =>  This Loop Header: Depth=2
                                        ;       Child Loop BB66_56 Depth 3
	s_cmp_eq_u32 s26, 0
	s_mov_b32 s27, s26
	s_cbranch_scc1 .LBB66_54
.LBB66_56:                              ;   Parent Loop BB66_16 Depth=1
                                        ;     Parent Loop BB66_55 Depth=2
                                        ; =>    This Inner Loop Header: Depth=3
	s_add_i32 s27, s27, -1
	s_sleep 1
	s_cmp_eq_u32 s27, 0
	s_cbranch_scc0 .LBB66_56
	s_branch .LBB66_54
.LBB66_57:
	v_dual_mov_b32 v16, 0 :: v_dual_mov_b32 v17, 1.0
	s_and_saveexec_b32 s0, s2
	s_cbranch_execnz .LBB66_59
	s_branch .LBB66_60
.LBB66_58:
	v_dual_mov_b32 v6, v18 :: v_dual_mov_b32 v7, v19
	s_and_saveexec_b32 s0, s2
	s_cbranch_execz .LBB66_60
.LBB66_59:
	s_delay_alu instid0(VALU_DEP_1) | instskip(NEXT) | instid1(VALU_DEP_2)
	v_mul_f32_e64 v8, v16, -v6
	v_mul_f32_e32 v3, v16, v7
	s_lshl_b64 s[2:3], s[10:11], 3
	s_cmp_eq_u32 s6, 0
	v_add_co_u32 v1, vcc_lo, v4, s2
	v_fmac_f32_e32 v8, v7, v17
	v_fmac_f32_e32 v3, v6, v17
	v_add_co_ci_u32_e32 v2, vcc_lo, s3, v5, vcc_lo
	s_cselect_b32 vcc_lo, -1, 0
	s_delay_alu instid0(VALU_DEP_2)
	v_dual_cndmask_b32 v4, v6, v3 :: v_dual_cndmask_b32 v3, v7, v8
	global_store_b64 v[1:2], v[3:4], off
.LBB66_60:
	s_or_b32 exec_lo, exec_lo, s0
	s_waitcnt_vscnt null, 0x0
	buffer_gl1_inv
	buffer_gl0_inv
	s_barrier
	buffer_gl0_inv
	s_mov_b32 s0, exec_lo
	v_cmpx_eq_u32_e32 0, v0
	s_cbranch_execz .LBB66_62
; %bb.61:
	s_add_i32 s0, s20, s7
	v_dual_mov_b32 v0, 0 :: v_dual_mov_b32 v1, 1
	s_ashr_i32 s1, s0, 31
	s_delay_alu instid0(SALU_CYCLE_1) | instskip(NEXT) | instid1(SALU_CYCLE_1)
	s_lshl_b64 s[0:1], s[0:1], 2
	s_add_u32 s0, s16, s0
	s_addc_u32 s1, s17, s1
	global_store_b32 v0, v1, s[0:1]
.LBB66_62:
	s_nop 0
	s_sendmsg sendmsg(MSG_DEALLOC_VGPRS)
	s_endpgm
	.section	.rodata,"a",@progbits
	.p2align	6, 0x0
	.amdhsa_kernel _ZN9rocsparseL5csrsmILj128ELj64ELb1Eli21rocsparse_complex_numIfEEEv20rocsparse_operation_T3_S4_NS_24const_host_device_scalarIT4_EEPKT2_PKS4_PKS6_PS6_lPiSC_PS4_21rocsparse_index_base_20rocsparse_fill_mode_20rocsparse_diag_type_b
		.amdhsa_group_segment_fixed_size 1536
		.amdhsa_private_segment_fixed_size 0
		.amdhsa_kernarg_size 104
		.amdhsa_user_sgpr_count 15
		.amdhsa_user_sgpr_dispatch_ptr 0
		.amdhsa_user_sgpr_queue_ptr 0
		.amdhsa_user_sgpr_kernarg_segment_ptr 1
		.amdhsa_user_sgpr_dispatch_id 0
		.amdhsa_user_sgpr_private_segment_size 0
		.amdhsa_wavefront_size32 1
		.amdhsa_uses_dynamic_stack 0
		.amdhsa_enable_private_segment 0
		.amdhsa_system_sgpr_workgroup_id_x 1
		.amdhsa_system_sgpr_workgroup_id_y 0
		.amdhsa_system_sgpr_workgroup_id_z 0
		.amdhsa_system_sgpr_workgroup_info 0
		.amdhsa_system_vgpr_workitem_id 0
		.amdhsa_next_free_vgpr 22
		.amdhsa_next_free_sgpr 28
		.amdhsa_reserve_vcc 1
		.amdhsa_float_round_mode_32 0
		.amdhsa_float_round_mode_16_64 0
		.amdhsa_float_denorm_mode_32 3
		.amdhsa_float_denorm_mode_16_64 3
		.amdhsa_dx10_clamp 1
		.amdhsa_ieee_mode 1
		.amdhsa_fp16_overflow 0
		.amdhsa_workgroup_processor_mode 1
		.amdhsa_memory_ordered 1
		.amdhsa_forward_progress 0
		.amdhsa_shared_vgpr_count 0
		.amdhsa_exception_fp_ieee_invalid_op 0
		.amdhsa_exception_fp_denorm_src 0
		.amdhsa_exception_fp_ieee_div_zero 0
		.amdhsa_exception_fp_ieee_overflow 0
		.amdhsa_exception_fp_ieee_underflow 0
		.amdhsa_exception_fp_ieee_inexact 0
		.amdhsa_exception_int_div_zero 0
	.end_amdhsa_kernel
	.section	.text._ZN9rocsparseL5csrsmILj128ELj64ELb1Eli21rocsparse_complex_numIfEEEv20rocsparse_operation_T3_S4_NS_24const_host_device_scalarIT4_EEPKT2_PKS4_PKS6_PS6_lPiSC_PS4_21rocsparse_index_base_20rocsparse_fill_mode_20rocsparse_diag_type_b,"axG",@progbits,_ZN9rocsparseL5csrsmILj128ELj64ELb1Eli21rocsparse_complex_numIfEEEv20rocsparse_operation_T3_S4_NS_24const_host_device_scalarIT4_EEPKT2_PKS4_PKS6_PS6_lPiSC_PS4_21rocsparse_index_base_20rocsparse_fill_mode_20rocsparse_diag_type_b,comdat
.Lfunc_end66:
	.size	_ZN9rocsparseL5csrsmILj128ELj64ELb1Eli21rocsparse_complex_numIfEEEv20rocsparse_operation_T3_S4_NS_24const_host_device_scalarIT4_EEPKT2_PKS4_PKS6_PS6_lPiSC_PS4_21rocsparse_index_base_20rocsparse_fill_mode_20rocsparse_diag_type_b, .Lfunc_end66-_ZN9rocsparseL5csrsmILj128ELj64ELb1Eli21rocsparse_complex_numIfEEEv20rocsparse_operation_T3_S4_NS_24const_host_device_scalarIT4_EEPKT2_PKS4_PKS6_PS6_lPiSC_PS4_21rocsparse_index_base_20rocsparse_fill_mode_20rocsparse_diag_type_b
                                        ; -- End function
	.section	.AMDGPU.csdata,"",@progbits
; Kernel info:
; codeLenInByte = 2184
; NumSgprs: 30
; NumVgprs: 22
; ScratchSize: 0
; MemoryBound: 0
; FloatMode: 240
; IeeeMode: 1
; LDSByteSize: 1536 bytes/workgroup (compile time only)
; SGPRBlocks: 3
; VGPRBlocks: 2
; NumSGPRsForWavesPerEU: 30
; NumVGPRsForWavesPerEU: 22
; Occupancy: 16
; WaveLimiterHint : 1
; COMPUTE_PGM_RSRC2:SCRATCH_EN: 0
; COMPUTE_PGM_RSRC2:USER_SGPR: 15
; COMPUTE_PGM_RSRC2:TRAP_HANDLER: 0
; COMPUTE_PGM_RSRC2:TGID_X_EN: 1
; COMPUTE_PGM_RSRC2:TGID_Y_EN: 0
; COMPUTE_PGM_RSRC2:TGID_Z_EN: 0
; COMPUTE_PGM_RSRC2:TIDIG_COMP_CNT: 0
	.section	.text._ZN9rocsparseL5csrsmILj128ELj64ELb0Eli21rocsparse_complex_numIfEEEv20rocsparse_operation_T3_S4_NS_24const_host_device_scalarIT4_EEPKT2_PKS4_PKS6_PS6_lPiSC_PS4_21rocsparse_index_base_20rocsparse_fill_mode_20rocsparse_diag_type_b,"axG",@progbits,_ZN9rocsparseL5csrsmILj128ELj64ELb0Eli21rocsparse_complex_numIfEEEv20rocsparse_operation_T3_S4_NS_24const_host_device_scalarIT4_EEPKT2_PKS4_PKS6_PS6_lPiSC_PS4_21rocsparse_index_base_20rocsparse_fill_mode_20rocsparse_diag_type_b,comdat
	.globl	_ZN9rocsparseL5csrsmILj128ELj64ELb0Eli21rocsparse_complex_numIfEEEv20rocsparse_operation_T3_S4_NS_24const_host_device_scalarIT4_EEPKT2_PKS4_PKS6_PS6_lPiSC_PS4_21rocsparse_index_base_20rocsparse_fill_mode_20rocsparse_diag_type_b ; -- Begin function _ZN9rocsparseL5csrsmILj128ELj64ELb0Eli21rocsparse_complex_numIfEEEv20rocsparse_operation_T3_S4_NS_24const_host_device_scalarIT4_EEPKT2_PKS4_PKS6_PS6_lPiSC_PS4_21rocsparse_index_base_20rocsparse_fill_mode_20rocsparse_diag_type_b
	.p2align	8
	.type	_ZN9rocsparseL5csrsmILj128ELj64ELb0Eli21rocsparse_complex_numIfEEEv20rocsparse_operation_T3_S4_NS_24const_host_device_scalarIT4_EEPKT2_PKS4_PKS6_PS6_lPiSC_PS4_21rocsparse_index_base_20rocsparse_fill_mode_20rocsparse_diag_type_b,@function
_ZN9rocsparseL5csrsmILj128ELj64ELb0Eli21rocsparse_complex_numIfEEEv20rocsparse_operation_T3_S4_NS_24const_host_device_scalarIT4_EEPKT2_PKS4_PKS6_PS6_lPiSC_PS4_21rocsparse_index_base_20rocsparse_fill_mode_20rocsparse_diag_type_b: ; @_ZN9rocsparseL5csrsmILj128ELj64ELb0Eli21rocsparse_complex_numIfEEEv20rocsparse_operation_T3_S4_NS_24const_host_device_scalarIT4_EEPKT2_PKS4_PKS6_PS6_lPiSC_PS4_21rocsparse_index_base_20rocsparse_fill_mode_20rocsparse_diag_type_b
; %bb.0:
	s_clause 0x2
	s_load_b128 s[4:7], s[0:1], 0x58
	s_load_b128 s[8:11], s[0:1], 0x10
	s_load_b64 s[2:3], s[0:1], 0x48
	s_waitcnt lgkmcnt(0)
	s_bitcmp1_b32 s7, 0
	s_mov_b32 s26, s8
	s_cselect_b32 s12, -1, 0
	s_delay_alu instid0(SALU_CYCLE_1)
	s_xor_b32 s7, s12, -1
	s_and_b32 vcc_lo, exec_lo, s12
	s_cbranch_vccnz .LBB67_2
; %bb.1:
	s_load_b32 s26, s[8:9], 0x0
.LBB67_2:
	s_load_b64 s[24:25], s[0:1], 0x30
	s_and_not1_b32 vcc_lo, exec_lo, s7
	s_cbranch_vccnz .LBB67_4
; %bb.3:
	s_load_b32 s9, s[8:9], 0x4
.LBB67_4:
	s_clause 0x1
	s_load_b128 s[16:19], s[0:1], 0x0
	s_load_b64 s[22:23], s[0:1], 0x38
	s_waitcnt lgkmcnt(0)
	v_cvt_f32_u32_e32 v1, s17
	s_sub_i32 s8, 0, s17
	s_delay_alu instid0(VALU_DEP_1) | instskip(SKIP_2) | instid1(VALU_DEP_1)
	v_rcp_iflag_f32_e32 v1, v1
	s_waitcnt_depctr 0xfff
	v_mul_f32_e32 v1, 0x4f7ffffe, v1
	v_cvt_u32_f32_e32 v1, v1
	s_delay_alu instid0(VALU_DEP_1) | instskip(NEXT) | instid1(VALU_DEP_1)
	v_readfirstlane_b32 s7, v1
	s_mul_i32 s8, s8, s7
	s_delay_alu instid0(SALU_CYCLE_1) | instskip(NEXT) | instid1(SALU_CYCLE_1)
	s_mul_hi_u32 s8, s7, s8
	s_add_i32 s7, s7, s8
	s_delay_alu instid0(SALU_CYCLE_1) | instskip(NEXT) | instid1(SALU_CYCLE_1)
	s_mul_hi_u32 s7, s15, s7
	s_mul_i32 s8, s7, s17
	s_add_i32 s12, s7, 1
	s_sub_i32 s8, s15, s8
	s_delay_alu instid0(SALU_CYCLE_1)
	s_sub_i32 s13, s8, s17
	s_cmp_ge_u32 s8, s17
	s_cselect_b32 s7, s12, s7
	s_cselect_b32 s8, s13, s8
	s_add_i32 s12, s7, 1
	s_cmp_ge_u32 s8, s17
	s_cselect_b32 s8, s12, s7
	s_delay_alu instid0(SALU_CYCLE_1) | instskip(SKIP_2) | instid1(SALU_CYCLE_1)
	s_mul_i32 s7, s8, s17
	v_lshl_or_b32 v1, s8, 7, v0
	s_sub_i32 s12, s15, s7
	s_ashr_i32 s13, s12, 31
	s_delay_alu instid0(VALU_DEP_1) | instskip(SKIP_1) | instid1(SALU_CYCLE_1)
	v_ashrrev_i32_e32 v2, 31, v1
	s_lshl_b64 s[12:13], s[12:13], 2
	s_add_u32 s2, s2, s12
	s_addc_u32 s3, s3, s13
	s_load_b32 s20, s[2:3], 0x0
	s_waitcnt lgkmcnt(0)
	s_ashr_i32 s21, s20, 31
	s_delay_alu instid0(SALU_CYCLE_1) | instskip(NEXT) | instid1(SALU_CYCLE_1)
	s_lshl_b64 s[2:3], s[20:21], 3
	s_add_u32 s2, s10, s2
	s_addc_u32 s3, s11, s3
	s_mul_i32 s10, s20, s22
	s_load_b128 s[12:15], s[2:3], 0x0
	s_mul_i32 s2, s20, s23
	s_mul_hi_u32 s3, s20, s22
	v_add_co_u32 v3, vcc_lo, s10, v1
	s_add_i32 s2, s3, s2
	s_mul_i32 s3, s21, s22
	s_delay_alu instid0(SALU_CYCLE_1)
	s_add_i32 s11, s2, s3
	v_cmp_gt_i32_e64 s2, s18, v1
	v_add_co_ci_u32_e32 v4, vcc_lo, s11, v2, vcc_lo
	s_cmpk_lg_i32 s16, 0x71
	s_cbranch_scc0 .LBB67_8
; %bb.5:
	v_dual_mov_b32 v6, 0 :: v_dual_mov_b32 v7, 0
	s_mov_b32 s3, 0
	s_and_saveexec_b32 s8, s2
	s_cbranch_execz .LBB67_7
; %bb.6:
	v_lshlrev_b64 v[5:6], 3, v[3:4]
	s_delay_alu instid0(VALU_DEP_1) | instskip(NEXT) | instid1(VALU_DEP_2)
	v_add_co_u32 v5, vcc_lo, s24, v5
	v_add_co_ci_u32_e32 v6, vcc_lo, s25, v6, vcc_lo
	global_load_b64 v[5:6], v[5:6], off
	s_waitcnt vmcnt(0)
	v_mul_f32_e64 v7, v6, -s9
	s_delay_alu instid0(VALU_DEP_1) | instskip(NEXT) | instid1(VALU_DEP_1)
	v_dual_mul_f32 v6, s26, v6 :: v_dual_fmac_f32 v7, s26, v5
	v_fmac_f32_e32 v6, s9, v5
.LBB67_7:
	s_or_b32 exec_lo, exec_lo, s8
	s_load_b64 s[16:17], s[0:1], 0x40
	s_and_not1_b32 vcc_lo, exec_lo, s3
	s_cbranch_vccz .LBB67_9
	s_branch .LBB67_12
.LBB67_8:
                                        ; implicit-def: $vgpr6
                                        ; implicit-def: $vgpr7
	s_load_b64 s[16:17], s[0:1], 0x40
.LBB67_9:
	v_dual_mov_b32 v6, 0 :: v_dual_mov_b32 v7, 0
	s_and_saveexec_b32 s3, s2
	s_cbranch_execz .LBB67_11
; %bb.10:
	v_lshlrev_b64 v[3:4], 3, v[3:4]
	s_delay_alu instid0(VALU_DEP_1) | instskip(NEXT) | instid1(VALU_DEP_2)
	v_add_co_u32 v3, vcc_lo, s24, v3
	v_add_co_ci_u32_e32 v4, vcc_lo, s25, v4, vcc_lo
	global_load_b64 v[3:4], v[3:4], off
	s_waitcnt vmcnt(0)
	v_mul_f32_e64 v6, s26, -v4
	s_delay_alu instid0(VALU_DEP_1) | instskip(NEXT) | instid1(VALU_DEP_1)
	v_dual_mul_f32 v7, s9, v4 :: v_dual_fmac_f32 v6, s9, v3
	v_fmac_f32_e32 v7, s26, v3
.LBB67_11:
	s_or_b32 exec_lo, exec_lo, s3
.LBB67_12:
	v_lshlrev_b64 v[1:2], 3, v[1:2]
	s_waitcnt lgkmcnt(0)
	v_cmp_ge_i64_e64 s3, s[12:13], s[14:15]
	s_delay_alu instid0(VALU_DEP_2) | instskip(NEXT) | instid1(VALU_DEP_3)
	v_add_co_u32 v4, vcc_lo, s24, v1
	v_add_co_ci_u32_e32 v5, vcc_lo, s25, v2, vcc_lo
	s_delay_alu instid0(VALU_DEP_3)
	s_and_b32 vcc_lo, exec_lo, s3
	v_cmp_eq_u32_e64 s3, 0, v0
	s_cbranch_vccnz .LBB67_54
; %bb.13:
	s_clause 0x1
	s_load_b128 s[24:27], s[0:1], 0x20
	s_load_b64 s[8:9], s[0:1], 0x50
	v_dual_mov_b32 v1, 0 :: v_dual_lshlrev_b32 v2, 2, v0
	v_lshlrev_b32_e32 v8, 3, v0
	s_sub_u32 s12, s12, s4
	s_subb_u32 s13, s13, 0
	s_delay_alu instid0(VALU_DEP_2)
	v_mov_b32_e32 v15, v1
	s_sub_u32 s14, s14, s4
	v_mov_b32_e32 v14, 1.0
	s_subb_u32 s15, s15, 0
	v_or_b32_e32 v9, 0x400, v2
	s_cmp_eq_u32 s6, 0
	s_mov_b64 s[18:19], s[12:13]
	s_cselect_b32 s21, -1, 0
	s_waitcnt lgkmcnt(0)
	v_add_co_u32 v10, s0, s24, v2
	s_delay_alu instid0(VALU_DEP_1) | instskip(SKIP_1) | instid1(VALU_DEP_1)
	v_add_co_ci_u32_e64 v11, null, s25, 0, s0
	v_add_co_u32 v12, s0, s26, v8
	v_add_co_ci_u32_e64 v13, null, s27, 0, s0
	s_add_i32 s24, s20, s4
	s_branch .LBB67_16
.LBB67_14:                              ;   in Loop: Header=BB67_16 Depth=1
	s_add_u32 s18, s18, 1
	s_addc_u32 s19, s19, 0
	s_delay_alu instid0(SALU_CYCLE_1)
	v_cmp_ge_i64_e64 s0, s[18:19], s[14:15]
.LBB67_15:                              ;   in Loop: Header=BB67_16 Depth=1
	v_dual_mov_b32 v6, v18 :: v_dual_mov_b32 v7, v19
	v_dual_mov_b32 v15, v16 :: v_dual_mov_b32 v14, v17
	s_delay_alu instid0(VALU_DEP_3)
	s_and_not1_b32 vcc_lo, exec_lo, s0
	s_cbranch_vccz .LBB67_55
.LBB67_16:                              ; =>This Loop Header: Depth=1
                                        ;     Child Loop BB67_45 Depth 2
	s_sub_i32 s0, s18, s12
	s_delay_alu instid0(SALU_CYCLE_1) | instskip(NEXT) | instid1(SALU_CYCLE_1)
	s_and_b32 s0, s0, 0x7f
	s_cmp_lg_u32 s0, 0
	s_cbranch_scc1 .LBB67_20
; %bb.17:                               ;   in Loop: Header=BB67_16 Depth=1
	v_dual_mov_b32 v16, -1 :: v_dual_mov_b32 v3, 0
	v_mov_b32_e32 v2, -1.0
	s_sub_u32 s26, s14, s18
	s_subb_u32 s27, s15, s19
	s_mov_b32 s1, exec_lo
	v_cmpx_gt_i64_e64 s[26:27], v[0:1]
	s_cbranch_execz .LBB67_19
; %bb.18:                               ;   in Loop: Header=BB67_16 Depth=1
	s_lshl_b64 s[26:27], s[18:19], 2
	s_delay_alu instid0(SALU_CYCLE_1)
	v_add_co_u32 v2, vcc_lo, v10, s26
	v_add_co_ci_u32_e32 v3, vcc_lo, s27, v11, vcc_lo
	s_lshl_b64 s[26:27], s[18:19], 3
	global_load_b32 v16, v[2:3], off
	v_add_co_u32 v2, vcc_lo, v12, s26
	v_add_co_ci_u32_e32 v3, vcc_lo, s27, v13, vcc_lo
	global_load_b64 v[2:3], v[2:3], off
	s_waitcnt vmcnt(1)
	v_subrev_nc_u32_e32 v16, s4, v16
.LBB67_19:                              ;   in Loop: Header=BB67_16 Depth=1
	s_or_b32 exec_lo, exec_lo, s1
	ds_store_b32 v9, v16
	s_waitcnt vmcnt(0)
	ds_store_b64 v8, v[2:3]
.LBB67_20:                              ;   in Loop: Header=BB67_16 Depth=1
	s_lshl_b32 s1, s0, 3
	s_lshl_b32 s0, s0, 2
	s_delay_alu instid0(SALU_CYCLE_1)
	v_dual_mov_b32 v2, s1 :: v_dual_mov_b32 v3, s0
	s_waitcnt lgkmcnt(0)
	s_waitcnt_vscnt null, 0x0
	s_barrier
	buffer_gl0_inv
	ds_load_b64 v[16:17], v2
	ds_load_b32 v2, v3 offset:1024
	s_waitcnt lgkmcnt(1)
	v_cmp_eq_f32_e32 vcc_lo, 0, v16
	v_cmp_eq_f32_e64 s0, 0, v17
	s_waitcnt lgkmcnt(0)
	v_readfirstlane_b32 s13, v2
	v_cmp_ne_u32_e64 s1, s20, v2
	s_delay_alu instid0(VALU_DEP_3) | instskip(NEXT) | instid1(VALU_DEP_2)
	s_and_b32 s0, vcc_lo, s0
	s_cmp_eq_u32 s13, s20
	s_cselect_b32 s26, -1, 0
	s_delay_alu instid0(SALU_CYCLE_1) | instskip(NEXT) | instid1(SALU_CYCLE_1)
	s_and_b32 s0, s0, s26
	s_and_b32 s0, s21, s0
	s_delay_alu instid0(SALU_CYCLE_1) | instskip(SKIP_2) | instid1(SALU_CYCLE_1)
	v_cndmask_b32_e64 v2, v17, 0, s0
	v_cndmask_b32_e64 v3, v16, 1.0, s0
	s_and_b32 s25, s3, s0
	s_and_saveexec_b32 s0, s25
	s_cbranch_execz .LBB67_24
; %bb.21:                               ;   in Loop: Header=BB67_16 Depth=1
	v_mbcnt_lo_u32_b32 v2, exec_lo, 0
	s_mov_b32 s25, exec_lo
	s_delay_alu instid0(VALU_DEP_1)
	v_cmpx_eq_u32_e32 0, v2
	s_cbranch_execz .LBB67_23
; %bb.22:                               ;   in Loop: Header=BB67_16 Depth=1
	v_mov_b32_e32 v2, s24
	global_atomic_min_i32 v1, v2, s[8:9]
.LBB67_23:                              ;   in Loop: Header=BB67_16 Depth=1
	s_or_b32 exec_lo, exec_lo, s25
	v_dual_mov_b32 v2, 0 :: v_dual_mov_b32 v3, 1.0
.LBB67_24:                              ;   in Loop: Header=BB67_16 Depth=1
	s_or_b32 exec_lo, exec_lo, s0
	s_cmp_lt_i32 s5, 1
	s_mov_b32 s0, 0
	s_cbranch_scc1 .LBB67_30
; %bb.25:                               ;   in Loop: Header=BB67_16 Depth=1
	s_cmp_eq_u32 s5, 1
	s_cbranch_scc0 .LBB67_31
; %bb.26:                               ;   in Loop: Header=BB67_16 Depth=1
	v_dual_mov_b32 v16, v15 :: v_dual_mov_b32 v17, v14
	s_cmp_ge_i32 s13, s20
	s_mov_b32 s25, 0
	s_cbranch_scc0 .LBB67_33
; %bb.27:                               ;   in Loop: Header=BB67_16 Depth=1
	s_and_b32 vcc_lo, exec_lo, s26
	s_cbranch_vccz .LBB67_32
; %bb.28:                               ;   in Loop: Header=BB67_16 Depth=1
	v_dual_mov_b32 v16, v15 :: v_dual_mov_b32 v17, v14
	s_and_not1_b32 vcc_lo, exec_lo, s21
	s_cbranch_vccnz .LBB67_33
; %bb.29:                               ;   in Loop: Header=BB67_16 Depth=1
	v_mul_f32_e32 v16, v2, v2
	s_delay_alu instid0(VALU_DEP_1) | instskip(NEXT) | instid1(VALU_DEP_1)
	v_fmac_f32_e32 v16, v3, v3
	v_div_scale_f32 v17, null, v16, v16, 1.0
	v_div_scale_f32 v20, vcc_lo, 1.0, v16, 1.0
	s_delay_alu instid0(VALU_DEP_2) | instskip(SKIP_2) | instid1(VALU_DEP_1)
	v_rcp_f32_e32 v18, v17
	s_waitcnt_depctr 0xfff
	v_fma_f32 v19, -v17, v18, 1.0
	v_fmac_f32_e32 v18, v19, v18
	s_delay_alu instid0(VALU_DEP_1) | instskip(NEXT) | instid1(VALU_DEP_1)
	v_mul_f32_e32 v19, v20, v18
	v_fma_f32 v21, -v17, v19, v20
	s_delay_alu instid0(VALU_DEP_1) | instskip(NEXT) | instid1(VALU_DEP_1)
	v_fmac_f32_e32 v19, v21, v18
	v_fma_f32 v17, -v17, v19, v20
	s_delay_alu instid0(VALU_DEP_1) | instskip(SKIP_2) | instid1(VALU_DEP_3)
	v_div_fmas_f32 v17, v17, v18, v19
	v_fma_f32 v18, 0, v2, v3
	v_fma_f32 v19, v3, 0, -v2
	v_div_fixup_f32 v16, v17, v16, 1.0
	s_delay_alu instid0(VALU_DEP_1) | instskip(NEXT) | instid1(VALU_DEP_3)
	v_mul_f32_e32 v17, v18, v16
	v_mul_f32_e32 v16, v19, v16
	s_branch .LBB67_33
.LBB67_30:                              ;   in Loop: Header=BB67_16 Depth=1
	s_mov_b32 s25, 0
                                        ; implicit-def: $sgpr26
                                        ; implicit-def: $vgpr18
                                        ; implicit-def: $vgpr19
                                        ; implicit-def: $vgpr16
                                        ; implicit-def: $vgpr17
	s_cbranch_execnz .LBB67_34
	s_branch .LBB67_36
.LBB67_31:                              ;   in Loop: Header=BB67_16 Depth=1
	s_mov_b32 s25, -1
                                        ; implicit-def: $sgpr26
                                        ; implicit-def: $vgpr18
                                        ; implicit-def: $vgpr19
                                        ; implicit-def: $vgpr16
                                        ; implicit-def: $vgpr17
	s_branch .LBB67_36
.LBB67_32:                              ;   in Loop: Header=BB67_16 Depth=1
	s_mov_b32 s25, -1
                                        ; implicit-def: $vgpr16
                                        ; implicit-def: $vgpr17
.LBB67_33:                              ;   in Loop: Header=BB67_16 Depth=1
	v_dual_mov_b32 v18, v6 :: v_dual_mov_b32 v19, v7
	s_mov_b32 s26, 4
	s_branch .LBB67_36
.LBB67_34:                              ;   in Loop: Header=BB67_16 Depth=1
	s_cmp_eq_u32 s5, 0
	s_cbranch_scc1 .LBB67_40
; %bb.35:                               ;   in Loop: Header=BB67_16 Depth=1
	s_mov_b32 s25, -1
                                        ; implicit-def: $sgpr26
                                        ; implicit-def: $vgpr18
                                        ; implicit-def: $vgpr19
                                        ; implicit-def: $vgpr16
                                        ; implicit-def: $vgpr17
.LBB67_36:                              ;   in Loop: Header=BB67_16 Depth=1
	s_delay_alu instid0(SALU_CYCLE_1)
	s_and_b32 vcc_lo, exec_lo, s25
	s_cbranch_vccnz .LBB67_43
.LBB67_37:                              ;   in Loop: Header=BB67_16 Depth=1
	s_and_b32 vcc_lo, exec_lo, s0
	s_cbranch_vccnz .LBB67_49
.LBB67_38:                              ;   in Loop: Header=BB67_16 Depth=1
	s_cmp_gt_i32 s26, 3
	s_mov_b32 s0, -1
	s_cbranch_scc1 .LBB67_52
.LBB67_39:                              ;   in Loop: Header=BB67_16 Depth=1
	s_cmp_eq_u32 s26, 0
	s_cselect_b32 s1, -1, 0
	s_delay_alu instid0(SALU_CYCLE_1)
	s_and_not1_b32 vcc_lo, exec_lo, s1
	s_cbranch_vccz .LBB67_14
	s_branch .LBB67_53
.LBB67_40:                              ;   in Loop: Header=BB67_16 Depth=1
	s_cmp_le_i32 s13, s20
	s_mov_b32 s25, 0
	s_cbranch_scc0 .LBB67_42
; %bb.41:                               ;   in Loop: Header=BB67_16 Depth=1
	s_mov_b32 s0, -1
	s_mov_b32 s25, s1
.LBB67_42:                              ;   in Loop: Header=BB67_16 Depth=1
	v_dual_mov_b32 v18, v6 :: v_dual_mov_b32 v19, v7
	v_dual_mov_b32 v16, v15 :: v_dual_mov_b32 v17, v14
	s_mov_b32 s26, 2
	s_and_b32 vcc_lo, exec_lo, s25
	s_cbranch_vccz .LBB67_37
.LBB67_43:                              ;   in Loop: Header=BB67_16 Depth=1
	s_and_saveexec_b32 s25, s3
	s_cbranch_execz .LBB67_46
; %bb.44:                               ;   in Loop: Header=BB67_16 Depth=1
	s_add_i32 s0, s13, s7
	s_delay_alu instid0(SALU_CYCLE_1) | instskip(NEXT) | instid1(SALU_CYCLE_1)
	s_ashr_i32 s1, s0, 31
	s_lshl_b64 s[0:1], s[0:1], 2
	s_delay_alu instid0(SALU_CYCLE_1)
	s_add_u32 s0, s16, s0
	s_addc_u32 s1, s17, s1
	global_load_b32 v16, v1, s[0:1] glc
	s_waitcnt vmcnt(0)
	v_cmp_ne_u32_e32 vcc_lo, 0, v16
	s_cbranch_vccnz .LBB67_46
.LBB67_45:                              ;   Parent Loop BB67_16 Depth=1
                                        ; =>  This Inner Loop Header: Depth=2
	global_load_b32 v16, v1, s[0:1] glc
	s_waitcnt vmcnt(0)
	v_cmp_eq_u32_e32 vcc_lo, 0, v16
	s_cbranch_vccnz .LBB67_45
.LBB67_46:                              ;   in Loop: Header=BB67_16 Depth=1
	s_or_b32 exec_lo, exec_lo, s25
	v_dual_mov_b32 v18, 0 :: v_dual_mov_b32 v19, 0
	s_mov_b32 s0, 0
	s_waitcnt_vscnt null, 0x0
	s_barrier
	buffer_gl0_inv
	buffer_gl1_inv
	buffer_gl0_inv
	s_and_saveexec_b32 s1, s2
	s_cbranch_execz .LBB67_48
; %bb.47:                               ;   in Loop: Header=BB67_16 Depth=1
	s_mul_i32 s25, s13, s23
	s_mul_hi_u32 s26, s13, s22
	s_ashr_i32 s27, s13, 31
	s_add_i32 s25, s26, s25
	s_mul_i32 s27, s27, s22
	s_mul_i32 s26, s13, s22
	s_add_i32 s27, s25, s27
	s_delay_alu instid0(SALU_CYCLE_1) | instskip(NEXT) | instid1(SALU_CYCLE_1)
	s_lshl_b64 s[26:27], s[26:27], 3
	v_add_co_u32 v16, vcc_lo, v4, s26
	v_add_co_ci_u32_e32 v17, vcc_lo, s27, v5, vcc_lo
	global_load_b64 v[16:17], v[16:17], off
	s_waitcnt vmcnt(0)
	v_fma_f32 v19, -v3, v16, v7
	v_fma_f32 v16, -v2, v16, v6
	s_delay_alu instid0(VALU_DEP_2) | instskip(NEXT) | instid1(VALU_DEP_2)
	v_fmac_f32_e32 v19, v2, v17
	v_fma_f32 v18, -v3, v17, v16
.LBB67_48:                              ;   in Loop: Header=BB67_16 Depth=1
	s_or_b32 exec_lo, exec_lo, s1
	v_dual_mov_b32 v16, v15 :: v_dual_mov_b32 v17, v14
	s_mov_b32 s26, 0
	s_and_b32 vcc_lo, exec_lo, s0
	s_cbranch_vccz .LBB67_38
.LBB67_49:                              ;   in Loop: Header=BB67_16 Depth=1
	s_and_not1_b32 vcc_lo, exec_lo, s21
	s_cbranch_vccnz .LBB67_51
; %bb.50:                               ;   in Loop: Header=BB67_16 Depth=1
	v_mul_f32_e32 v14, v2, v2
	s_delay_alu instid0(VALU_DEP_1) | instskip(NEXT) | instid1(VALU_DEP_1)
	v_fmac_f32_e32 v14, v3, v3
	v_div_scale_f32 v15, null, v14, v14, 1.0
	v_div_scale_f32 v18, vcc_lo, 1.0, v14, 1.0
	s_delay_alu instid0(VALU_DEP_2) | instskip(SKIP_2) | instid1(VALU_DEP_1)
	v_rcp_f32_e32 v16, v15
	s_waitcnt_depctr 0xfff
	v_fma_f32 v17, -v15, v16, 1.0
	v_fmac_f32_e32 v16, v17, v16
	s_delay_alu instid0(VALU_DEP_1) | instskip(NEXT) | instid1(VALU_DEP_1)
	v_mul_f32_e32 v17, v18, v16
	v_fma_f32 v19, -v15, v17, v18
	s_delay_alu instid0(VALU_DEP_1) | instskip(NEXT) | instid1(VALU_DEP_1)
	v_fmac_f32_e32 v17, v19, v16
	v_fma_f32 v15, -v15, v17, v18
	s_delay_alu instid0(VALU_DEP_1) | instskip(SKIP_2) | instid1(VALU_DEP_3)
	v_div_fmas_f32 v15, v15, v16, v17
	v_fma_f32 v16, 0, v2, v3
	v_fma_f32 v2, v3, 0, -v2
	v_div_fixup_f32 v15, v15, v14, 1.0
	s_delay_alu instid0(VALU_DEP_1) | instskip(NEXT) | instid1(VALU_DEP_3)
	v_mul_f32_e32 v14, v16, v15
	v_mul_f32_e32 v15, v2, v15
.LBB67_51:                              ;   in Loop: Header=BB67_16 Depth=1
	s_delay_alu instid0(VALU_DEP_1) | instskip(SKIP_2) | instid1(SALU_CYCLE_1)
	v_dual_mov_b32 v17, v14 :: v_dual_mov_b32 v16, v15
	v_dual_mov_b32 v19, v7 :: v_dual_mov_b32 v18, v6
	s_mov_b32 s26, 2
	s_cmp_gt_i32 s26, 3
	s_mov_b32 s0, -1
	s_cbranch_scc0 .LBB67_39
.LBB67_52:                              ;   in Loop: Header=BB67_16 Depth=1
	s_branch .LBB67_14
.LBB67_53:                              ;   in Loop: Header=BB67_16 Depth=1
                                        ; implicit-def: $sgpr18_sgpr19
	s_branch .LBB67_15
.LBB67_54:
	v_dual_mov_b32 v16, 0 :: v_dual_mov_b32 v17, 1.0
	s_and_saveexec_b32 s0, s2
	s_cbranch_execnz .LBB67_56
	s_branch .LBB67_57
.LBB67_55:
	v_dual_mov_b32 v6, v18 :: v_dual_mov_b32 v7, v19
	s_and_saveexec_b32 s0, s2
	s_cbranch_execz .LBB67_57
.LBB67_56:
	s_delay_alu instid0(VALU_DEP_1) | instskip(NEXT) | instid1(VALU_DEP_2)
	v_mul_f32_e64 v8, v16, -v6
	v_mul_f32_e32 v3, v16, v7
	s_lshl_b64 s[2:3], s[10:11], 3
	s_cmp_eq_u32 s6, 0
	v_add_co_u32 v1, vcc_lo, v4, s2
	v_fmac_f32_e32 v8, v7, v17
	v_fmac_f32_e32 v3, v6, v17
	v_add_co_ci_u32_e32 v2, vcc_lo, s3, v5, vcc_lo
	s_cselect_b32 vcc_lo, -1, 0
	s_delay_alu instid0(VALU_DEP_2)
	v_dual_cndmask_b32 v4, v6, v3 :: v_dual_cndmask_b32 v3, v7, v8
	global_store_b64 v[1:2], v[3:4], off
.LBB67_57:
	s_or_b32 exec_lo, exec_lo, s0
	s_waitcnt_vscnt null, 0x0
	buffer_gl1_inv
	buffer_gl0_inv
	s_barrier
	buffer_gl0_inv
	s_mov_b32 s0, exec_lo
	v_cmpx_eq_u32_e32 0, v0
	s_cbranch_execz .LBB67_59
; %bb.58:
	s_add_i32 s0, s20, s7
	v_dual_mov_b32 v0, 0 :: v_dual_mov_b32 v1, 1
	s_ashr_i32 s1, s0, 31
	s_delay_alu instid0(SALU_CYCLE_1) | instskip(NEXT) | instid1(SALU_CYCLE_1)
	s_lshl_b64 s[0:1], s[0:1], 2
	s_add_u32 s0, s16, s0
	s_addc_u32 s1, s17, s1
	global_store_b32 v0, v1, s[0:1]
.LBB67_59:
	s_nop 0
	s_sendmsg sendmsg(MSG_DEALLOC_VGPRS)
	s_endpgm
	.section	.rodata,"a",@progbits
	.p2align	6, 0x0
	.amdhsa_kernel _ZN9rocsparseL5csrsmILj128ELj64ELb0Eli21rocsparse_complex_numIfEEEv20rocsparse_operation_T3_S4_NS_24const_host_device_scalarIT4_EEPKT2_PKS4_PKS6_PS6_lPiSC_PS4_21rocsparse_index_base_20rocsparse_fill_mode_20rocsparse_diag_type_b
		.amdhsa_group_segment_fixed_size 1536
		.amdhsa_private_segment_fixed_size 0
		.amdhsa_kernarg_size 104
		.amdhsa_user_sgpr_count 15
		.amdhsa_user_sgpr_dispatch_ptr 0
		.amdhsa_user_sgpr_queue_ptr 0
		.amdhsa_user_sgpr_kernarg_segment_ptr 1
		.amdhsa_user_sgpr_dispatch_id 0
		.amdhsa_user_sgpr_private_segment_size 0
		.amdhsa_wavefront_size32 1
		.amdhsa_uses_dynamic_stack 0
		.amdhsa_enable_private_segment 0
		.amdhsa_system_sgpr_workgroup_id_x 1
		.amdhsa_system_sgpr_workgroup_id_y 0
		.amdhsa_system_sgpr_workgroup_id_z 0
		.amdhsa_system_sgpr_workgroup_info 0
		.amdhsa_system_vgpr_workitem_id 0
		.amdhsa_next_free_vgpr 22
		.amdhsa_next_free_sgpr 28
		.amdhsa_reserve_vcc 1
		.amdhsa_float_round_mode_32 0
		.amdhsa_float_round_mode_16_64 0
		.amdhsa_float_denorm_mode_32 3
		.amdhsa_float_denorm_mode_16_64 3
		.amdhsa_dx10_clamp 1
		.amdhsa_ieee_mode 1
		.amdhsa_fp16_overflow 0
		.amdhsa_workgroup_processor_mode 1
		.amdhsa_memory_ordered 1
		.amdhsa_forward_progress 0
		.amdhsa_shared_vgpr_count 0
		.amdhsa_exception_fp_ieee_invalid_op 0
		.amdhsa_exception_fp_denorm_src 0
		.amdhsa_exception_fp_ieee_div_zero 0
		.amdhsa_exception_fp_ieee_overflow 0
		.amdhsa_exception_fp_ieee_underflow 0
		.amdhsa_exception_fp_ieee_inexact 0
		.amdhsa_exception_int_div_zero 0
	.end_amdhsa_kernel
	.section	.text._ZN9rocsparseL5csrsmILj128ELj64ELb0Eli21rocsparse_complex_numIfEEEv20rocsparse_operation_T3_S4_NS_24const_host_device_scalarIT4_EEPKT2_PKS4_PKS6_PS6_lPiSC_PS4_21rocsparse_index_base_20rocsparse_fill_mode_20rocsparse_diag_type_b,"axG",@progbits,_ZN9rocsparseL5csrsmILj128ELj64ELb0Eli21rocsparse_complex_numIfEEEv20rocsparse_operation_T3_S4_NS_24const_host_device_scalarIT4_EEPKT2_PKS4_PKS6_PS6_lPiSC_PS4_21rocsparse_index_base_20rocsparse_fill_mode_20rocsparse_diag_type_b,comdat
.Lfunc_end67:
	.size	_ZN9rocsparseL5csrsmILj128ELj64ELb0Eli21rocsparse_complex_numIfEEEv20rocsparse_operation_T3_S4_NS_24const_host_device_scalarIT4_EEPKT2_PKS4_PKS6_PS6_lPiSC_PS4_21rocsparse_index_base_20rocsparse_fill_mode_20rocsparse_diag_type_b, .Lfunc_end67-_ZN9rocsparseL5csrsmILj128ELj64ELb0Eli21rocsparse_complex_numIfEEEv20rocsparse_operation_T3_S4_NS_24const_host_device_scalarIT4_EEPKT2_PKS4_PKS6_PS6_lPiSC_PS4_21rocsparse_index_base_20rocsparse_fill_mode_20rocsparse_diag_type_b
                                        ; -- End function
	.section	.AMDGPU.csdata,"",@progbits
; Kernel info:
; codeLenInByte = 2124
; NumSgprs: 30
; NumVgprs: 22
; ScratchSize: 0
; MemoryBound: 0
; FloatMode: 240
; IeeeMode: 1
; LDSByteSize: 1536 bytes/workgroup (compile time only)
; SGPRBlocks: 3
; VGPRBlocks: 2
; NumSGPRsForWavesPerEU: 30
; NumVGPRsForWavesPerEU: 22
; Occupancy: 16
; WaveLimiterHint : 1
; COMPUTE_PGM_RSRC2:SCRATCH_EN: 0
; COMPUTE_PGM_RSRC2:USER_SGPR: 15
; COMPUTE_PGM_RSRC2:TRAP_HANDLER: 0
; COMPUTE_PGM_RSRC2:TGID_X_EN: 1
; COMPUTE_PGM_RSRC2:TGID_Y_EN: 0
; COMPUTE_PGM_RSRC2:TGID_Z_EN: 0
; COMPUTE_PGM_RSRC2:TIDIG_COMP_CNT: 0
	.section	.text._ZN9rocsparseL5csrsmILj256ELj64ELb1Eli21rocsparse_complex_numIfEEEv20rocsparse_operation_T3_S4_NS_24const_host_device_scalarIT4_EEPKT2_PKS4_PKS6_PS6_lPiSC_PS4_21rocsparse_index_base_20rocsparse_fill_mode_20rocsparse_diag_type_b,"axG",@progbits,_ZN9rocsparseL5csrsmILj256ELj64ELb1Eli21rocsparse_complex_numIfEEEv20rocsparse_operation_T3_S4_NS_24const_host_device_scalarIT4_EEPKT2_PKS4_PKS6_PS6_lPiSC_PS4_21rocsparse_index_base_20rocsparse_fill_mode_20rocsparse_diag_type_b,comdat
	.globl	_ZN9rocsparseL5csrsmILj256ELj64ELb1Eli21rocsparse_complex_numIfEEEv20rocsparse_operation_T3_S4_NS_24const_host_device_scalarIT4_EEPKT2_PKS4_PKS6_PS6_lPiSC_PS4_21rocsparse_index_base_20rocsparse_fill_mode_20rocsparse_diag_type_b ; -- Begin function _ZN9rocsparseL5csrsmILj256ELj64ELb1Eli21rocsparse_complex_numIfEEEv20rocsparse_operation_T3_S4_NS_24const_host_device_scalarIT4_EEPKT2_PKS4_PKS6_PS6_lPiSC_PS4_21rocsparse_index_base_20rocsparse_fill_mode_20rocsparse_diag_type_b
	.p2align	8
	.type	_ZN9rocsparseL5csrsmILj256ELj64ELb1Eli21rocsparse_complex_numIfEEEv20rocsparse_operation_T3_S4_NS_24const_host_device_scalarIT4_EEPKT2_PKS4_PKS6_PS6_lPiSC_PS4_21rocsparse_index_base_20rocsparse_fill_mode_20rocsparse_diag_type_b,@function
_ZN9rocsparseL5csrsmILj256ELj64ELb1Eli21rocsparse_complex_numIfEEEv20rocsparse_operation_T3_S4_NS_24const_host_device_scalarIT4_EEPKT2_PKS4_PKS6_PS6_lPiSC_PS4_21rocsparse_index_base_20rocsparse_fill_mode_20rocsparse_diag_type_b: ; @_ZN9rocsparseL5csrsmILj256ELj64ELb1Eli21rocsparse_complex_numIfEEEv20rocsparse_operation_T3_S4_NS_24const_host_device_scalarIT4_EEPKT2_PKS4_PKS6_PS6_lPiSC_PS4_21rocsparse_index_base_20rocsparse_fill_mode_20rocsparse_diag_type_b
; %bb.0:
	s_clause 0x2
	s_load_b128 s[4:7], s[0:1], 0x58
	s_load_b128 s[8:11], s[0:1], 0x10
	s_load_b64 s[2:3], s[0:1], 0x48
	s_waitcnt lgkmcnt(0)
	s_bitcmp1_b32 s7, 0
	s_mov_b32 s26, s8
	s_cselect_b32 s12, -1, 0
	s_delay_alu instid0(SALU_CYCLE_1)
	s_xor_b32 s7, s12, -1
	s_and_b32 vcc_lo, exec_lo, s12
	s_cbranch_vccnz .LBB68_2
; %bb.1:
	s_load_b32 s26, s[8:9], 0x0
.LBB68_2:
	s_load_b64 s[24:25], s[0:1], 0x30
	s_and_not1_b32 vcc_lo, exec_lo, s7
	s_cbranch_vccnz .LBB68_4
; %bb.3:
	s_load_b32 s9, s[8:9], 0x4
.LBB68_4:
	s_clause 0x1
	s_load_b128 s[16:19], s[0:1], 0x0
	s_load_b64 s[22:23], s[0:1], 0x38
	s_waitcnt lgkmcnt(0)
	v_cvt_f32_u32_e32 v1, s17
	s_sub_i32 s8, 0, s17
	s_delay_alu instid0(VALU_DEP_1) | instskip(SKIP_2) | instid1(VALU_DEP_1)
	v_rcp_iflag_f32_e32 v1, v1
	s_waitcnt_depctr 0xfff
	v_mul_f32_e32 v1, 0x4f7ffffe, v1
	v_cvt_u32_f32_e32 v1, v1
	s_delay_alu instid0(VALU_DEP_1) | instskip(NEXT) | instid1(VALU_DEP_1)
	v_readfirstlane_b32 s7, v1
	s_mul_i32 s8, s8, s7
	s_delay_alu instid0(SALU_CYCLE_1) | instskip(NEXT) | instid1(SALU_CYCLE_1)
	s_mul_hi_u32 s8, s7, s8
	s_add_i32 s7, s7, s8
	s_delay_alu instid0(SALU_CYCLE_1) | instskip(NEXT) | instid1(SALU_CYCLE_1)
	s_mul_hi_u32 s7, s15, s7
	s_mul_i32 s8, s7, s17
	s_add_i32 s12, s7, 1
	s_sub_i32 s8, s15, s8
	s_delay_alu instid0(SALU_CYCLE_1)
	s_sub_i32 s13, s8, s17
	s_cmp_ge_u32 s8, s17
	s_cselect_b32 s7, s12, s7
	s_cselect_b32 s8, s13, s8
	s_add_i32 s12, s7, 1
	s_cmp_ge_u32 s8, s17
	s_cselect_b32 s8, s12, s7
	s_delay_alu instid0(SALU_CYCLE_1) | instskip(SKIP_2) | instid1(SALU_CYCLE_1)
	s_mul_i32 s7, s8, s17
	v_lshl_or_b32 v1, s8, 8, v0
	s_sub_i32 s12, s15, s7
	s_ashr_i32 s13, s12, 31
	s_delay_alu instid0(VALU_DEP_1) | instskip(SKIP_1) | instid1(SALU_CYCLE_1)
	v_ashrrev_i32_e32 v2, 31, v1
	s_lshl_b64 s[12:13], s[12:13], 2
	s_add_u32 s2, s2, s12
	s_addc_u32 s3, s3, s13
	s_load_b32 s20, s[2:3], 0x0
	s_waitcnt lgkmcnt(0)
	s_ashr_i32 s21, s20, 31
	s_delay_alu instid0(SALU_CYCLE_1) | instskip(NEXT) | instid1(SALU_CYCLE_1)
	s_lshl_b64 s[2:3], s[20:21], 3
	s_add_u32 s2, s10, s2
	s_addc_u32 s3, s11, s3
	s_mul_i32 s10, s20, s22
	s_load_b128 s[12:15], s[2:3], 0x0
	s_mul_i32 s2, s20, s23
	s_mul_hi_u32 s3, s20, s22
	v_add_co_u32 v3, vcc_lo, s10, v1
	s_add_i32 s2, s3, s2
	s_mul_i32 s3, s21, s22
	s_delay_alu instid0(SALU_CYCLE_1)
	s_add_i32 s11, s2, s3
	v_cmp_gt_i32_e64 s2, s18, v1
	v_add_co_ci_u32_e32 v4, vcc_lo, s11, v2, vcc_lo
	s_cmpk_lg_i32 s16, 0x71
	s_cbranch_scc0 .LBB68_8
; %bb.5:
	v_dual_mov_b32 v6, 0 :: v_dual_mov_b32 v7, 0
	s_mov_b32 s3, 0
	s_and_saveexec_b32 s8, s2
	s_cbranch_execz .LBB68_7
; %bb.6:
	v_lshlrev_b64 v[5:6], 3, v[3:4]
	s_delay_alu instid0(VALU_DEP_1) | instskip(NEXT) | instid1(VALU_DEP_2)
	v_add_co_u32 v5, vcc_lo, s24, v5
	v_add_co_ci_u32_e32 v6, vcc_lo, s25, v6, vcc_lo
	global_load_b64 v[5:6], v[5:6], off
	s_waitcnt vmcnt(0)
	v_mul_f32_e64 v7, v6, -s9
	s_delay_alu instid0(VALU_DEP_1) | instskip(NEXT) | instid1(VALU_DEP_1)
	v_dual_mul_f32 v6, s26, v6 :: v_dual_fmac_f32 v7, s26, v5
	v_fmac_f32_e32 v6, s9, v5
.LBB68_7:
	s_or_b32 exec_lo, exec_lo, s8
	s_load_b64 s[16:17], s[0:1], 0x40
	s_and_not1_b32 vcc_lo, exec_lo, s3
	s_cbranch_vccz .LBB68_9
	s_branch .LBB68_12
.LBB68_8:
                                        ; implicit-def: $vgpr6
                                        ; implicit-def: $vgpr7
	s_load_b64 s[16:17], s[0:1], 0x40
.LBB68_9:
	v_dual_mov_b32 v6, 0 :: v_dual_mov_b32 v7, 0
	s_and_saveexec_b32 s3, s2
	s_cbranch_execz .LBB68_11
; %bb.10:
	v_lshlrev_b64 v[3:4], 3, v[3:4]
	s_delay_alu instid0(VALU_DEP_1) | instskip(NEXT) | instid1(VALU_DEP_2)
	v_add_co_u32 v3, vcc_lo, s24, v3
	v_add_co_ci_u32_e32 v4, vcc_lo, s25, v4, vcc_lo
	global_load_b64 v[3:4], v[3:4], off
	s_waitcnt vmcnt(0)
	v_mul_f32_e64 v6, s26, -v4
	s_delay_alu instid0(VALU_DEP_1) | instskip(NEXT) | instid1(VALU_DEP_1)
	v_dual_mul_f32 v7, s9, v4 :: v_dual_fmac_f32 v6, s9, v3
	v_fmac_f32_e32 v7, s26, v3
.LBB68_11:
	s_or_b32 exec_lo, exec_lo, s3
.LBB68_12:
	v_lshlrev_b64 v[1:2], 3, v[1:2]
	s_waitcnt lgkmcnt(0)
	v_cmp_ge_i64_e64 s3, s[12:13], s[14:15]
	s_delay_alu instid0(VALU_DEP_2) | instskip(NEXT) | instid1(VALU_DEP_3)
	v_add_co_u32 v4, vcc_lo, s24, v1
	v_add_co_ci_u32_e32 v5, vcc_lo, s25, v2, vcc_lo
	s_delay_alu instid0(VALU_DEP_3)
	s_and_b32 vcc_lo, exec_lo, s3
	v_cmp_eq_u32_e64 s3, 0, v0
	s_cbranch_vccnz .LBB68_57
; %bb.13:
	s_clause 0x1
	s_load_b128 s[24:27], s[0:1], 0x20
	s_load_b64 s[8:9], s[0:1], 0x50
	v_dual_mov_b32 v1, 0 :: v_dual_lshlrev_b32 v2, 2, v0
	v_lshlrev_b32_e32 v8, 3, v0
	s_sub_u32 s12, s12, s4
	s_subb_u32 s13, s13, 0
	s_delay_alu instid0(VALU_DEP_2)
	v_mov_b32_e32 v15, v1
	s_sub_u32 s14, s14, s4
	v_mov_b32_e32 v14, 1.0
	s_subb_u32 s15, s15, 0
	v_or_b32_e32 v9, 0x800, v2
	s_cmp_eq_u32 s6, 0
	s_mov_b64 s[18:19], s[12:13]
	s_cselect_b32 s21, -1, 0
	s_waitcnt lgkmcnt(0)
	v_add_co_u32 v10, s0, s24, v2
	s_delay_alu instid0(VALU_DEP_1) | instskip(SKIP_1) | instid1(VALU_DEP_1)
	v_add_co_ci_u32_e64 v11, null, s25, 0, s0
	v_add_co_u32 v12, s0, s26, v8
	v_add_co_ci_u32_e64 v13, null, s27, 0, s0
	s_add_i32 s24, s20, s4
	s_branch .LBB68_16
.LBB68_14:                              ;   in Loop: Header=BB68_16 Depth=1
	s_add_u32 s18, s18, 1
	s_addc_u32 s19, s19, 0
	s_delay_alu instid0(SALU_CYCLE_1)
	v_cmp_ge_i64_e64 s0, s[18:19], s[14:15]
.LBB68_15:                              ;   in Loop: Header=BB68_16 Depth=1
	v_dual_mov_b32 v6, v18 :: v_dual_mov_b32 v7, v19
	v_dual_mov_b32 v15, v16 :: v_dual_mov_b32 v14, v17
	s_delay_alu instid0(VALU_DEP_3)
	s_and_not1_b32 vcc_lo, exec_lo, s0
	s_cbranch_vccz .LBB68_58
.LBB68_16:                              ; =>This Loop Header: Depth=1
                                        ;     Child Loop BB68_55 Depth 2
                                        ;       Child Loop BB68_56 Depth 3
	s_sub_i32 s0, s18, s12
	s_delay_alu instid0(SALU_CYCLE_1) | instskip(NEXT) | instid1(SALU_CYCLE_1)
	s_and_b32 s0, s0, 0xff
	s_cmp_lg_u32 s0, 0
	s_cbranch_scc1 .LBB68_20
; %bb.17:                               ;   in Loop: Header=BB68_16 Depth=1
	v_dual_mov_b32 v16, -1 :: v_dual_mov_b32 v3, 0
	v_mov_b32_e32 v2, -1.0
	s_sub_u32 s26, s14, s18
	s_subb_u32 s27, s15, s19
	s_mov_b32 s1, exec_lo
	v_cmpx_gt_i64_e64 s[26:27], v[0:1]
	s_cbranch_execz .LBB68_19
; %bb.18:                               ;   in Loop: Header=BB68_16 Depth=1
	s_lshl_b64 s[26:27], s[18:19], 2
	s_delay_alu instid0(SALU_CYCLE_1)
	v_add_co_u32 v2, vcc_lo, v10, s26
	v_add_co_ci_u32_e32 v3, vcc_lo, s27, v11, vcc_lo
	s_lshl_b64 s[26:27], s[18:19], 3
	global_load_b32 v16, v[2:3], off
	v_add_co_u32 v2, vcc_lo, v12, s26
	v_add_co_ci_u32_e32 v3, vcc_lo, s27, v13, vcc_lo
	global_load_b64 v[2:3], v[2:3], off
	s_waitcnt vmcnt(1)
	v_subrev_nc_u32_e32 v16, s4, v16
.LBB68_19:                              ;   in Loop: Header=BB68_16 Depth=1
	s_or_b32 exec_lo, exec_lo, s1
	ds_store_b32 v9, v16
	s_waitcnt vmcnt(0)
	ds_store_b64 v8, v[2:3]
.LBB68_20:                              ;   in Loop: Header=BB68_16 Depth=1
	s_lshl_b32 s1, s0, 3
	s_lshl_b32 s0, s0, 2
	s_delay_alu instid0(SALU_CYCLE_1)
	v_dual_mov_b32 v2, s1 :: v_dual_mov_b32 v3, s0
	s_waitcnt lgkmcnt(0)
	s_waitcnt_vscnt null, 0x0
	s_barrier
	buffer_gl0_inv
	ds_load_b64 v[16:17], v2
	ds_load_b32 v2, v3 offset:2048
	s_waitcnt lgkmcnt(1)
	v_cmp_eq_f32_e32 vcc_lo, 0, v16
	v_cmp_eq_f32_e64 s0, 0, v17
	s_waitcnt lgkmcnt(0)
	v_readfirstlane_b32 s13, v2
	v_cmp_ne_u32_e64 s1, s20, v2
	s_delay_alu instid0(VALU_DEP_3) | instskip(NEXT) | instid1(VALU_DEP_2)
	s_and_b32 s0, vcc_lo, s0
	s_cmp_eq_u32 s13, s20
	s_cselect_b32 s26, -1, 0
	s_delay_alu instid0(SALU_CYCLE_1) | instskip(NEXT) | instid1(SALU_CYCLE_1)
	s_and_b32 s0, s0, s26
	s_and_b32 s0, s21, s0
	s_delay_alu instid0(SALU_CYCLE_1) | instskip(SKIP_2) | instid1(SALU_CYCLE_1)
	v_cndmask_b32_e64 v2, v17, 0, s0
	v_cndmask_b32_e64 v3, v16, 1.0, s0
	s_and_b32 s25, s3, s0
	s_and_saveexec_b32 s0, s25
	s_cbranch_execz .LBB68_24
; %bb.21:                               ;   in Loop: Header=BB68_16 Depth=1
	v_mbcnt_lo_u32_b32 v2, exec_lo, 0
	s_mov_b32 s25, exec_lo
	s_delay_alu instid0(VALU_DEP_1)
	v_cmpx_eq_u32_e32 0, v2
	s_cbranch_execz .LBB68_23
; %bb.22:                               ;   in Loop: Header=BB68_16 Depth=1
	v_mov_b32_e32 v2, s24
	global_atomic_min_i32 v1, v2, s[8:9]
.LBB68_23:                              ;   in Loop: Header=BB68_16 Depth=1
	s_or_b32 exec_lo, exec_lo, s25
	v_dual_mov_b32 v2, 0 :: v_dual_mov_b32 v3, 1.0
.LBB68_24:                              ;   in Loop: Header=BB68_16 Depth=1
	s_or_b32 exec_lo, exec_lo, s0
	s_cmp_lt_i32 s5, 1
	s_mov_b32 s0, 0
	s_cbranch_scc1 .LBB68_30
; %bb.25:                               ;   in Loop: Header=BB68_16 Depth=1
	s_cmp_eq_u32 s5, 1
	s_cbranch_scc0 .LBB68_31
; %bb.26:                               ;   in Loop: Header=BB68_16 Depth=1
	v_dual_mov_b32 v16, v15 :: v_dual_mov_b32 v17, v14
	s_cmp_ge_i32 s13, s20
	s_mov_b32 s25, 0
	s_cbranch_scc0 .LBB68_33
; %bb.27:                               ;   in Loop: Header=BB68_16 Depth=1
	s_and_b32 vcc_lo, exec_lo, s26
	s_cbranch_vccz .LBB68_32
; %bb.28:                               ;   in Loop: Header=BB68_16 Depth=1
	v_dual_mov_b32 v16, v15 :: v_dual_mov_b32 v17, v14
	s_and_not1_b32 vcc_lo, exec_lo, s21
	s_cbranch_vccnz .LBB68_33
; %bb.29:                               ;   in Loop: Header=BB68_16 Depth=1
	v_mul_f32_e32 v16, v2, v2
	s_delay_alu instid0(VALU_DEP_1) | instskip(NEXT) | instid1(VALU_DEP_1)
	v_fmac_f32_e32 v16, v3, v3
	v_div_scale_f32 v17, null, v16, v16, 1.0
	v_div_scale_f32 v20, vcc_lo, 1.0, v16, 1.0
	s_delay_alu instid0(VALU_DEP_2) | instskip(SKIP_2) | instid1(VALU_DEP_1)
	v_rcp_f32_e32 v18, v17
	s_waitcnt_depctr 0xfff
	v_fma_f32 v19, -v17, v18, 1.0
	v_fmac_f32_e32 v18, v19, v18
	s_delay_alu instid0(VALU_DEP_1) | instskip(NEXT) | instid1(VALU_DEP_1)
	v_mul_f32_e32 v19, v20, v18
	v_fma_f32 v21, -v17, v19, v20
	s_delay_alu instid0(VALU_DEP_1) | instskip(NEXT) | instid1(VALU_DEP_1)
	v_fmac_f32_e32 v19, v21, v18
	v_fma_f32 v17, -v17, v19, v20
	s_delay_alu instid0(VALU_DEP_1) | instskip(SKIP_2) | instid1(VALU_DEP_3)
	v_div_fmas_f32 v17, v17, v18, v19
	v_fma_f32 v18, 0, v2, v3
	v_fma_f32 v19, v3, 0, -v2
	v_div_fixup_f32 v16, v17, v16, 1.0
	s_delay_alu instid0(VALU_DEP_1) | instskip(NEXT) | instid1(VALU_DEP_3)
	v_mul_f32_e32 v17, v18, v16
	v_mul_f32_e32 v16, v19, v16
	s_branch .LBB68_33
.LBB68_30:                              ;   in Loop: Header=BB68_16 Depth=1
	s_mov_b32 s25, 0
                                        ; implicit-def: $sgpr26
                                        ; implicit-def: $vgpr18
                                        ; implicit-def: $vgpr19
                                        ; implicit-def: $vgpr16
                                        ; implicit-def: $vgpr17
	s_cbranch_execnz .LBB68_34
	s_branch .LBB68_36
.LBB68_31:                              ;   in Loop: Header=BB68_16 Depth=1
	s_mov_b32 s25, -1
                                        ; implicit-def: $sgpr26
                                        ; implicit-def: $vgpr18
                                        ; implicit-def: $vgpr19
                                        ; implicit-def: $vgpr16
                                        ; implicit-def: $vgpr17
	s_branch .LBB68_36
.LBB68_32:                              ;   in Loop: Header=BB68_16 Depth=1
	s_mov_b32 s25, -1
                                        ; implicit-def: $vgpr16
                                        ; implicit-def: $vgpr17
.LBB68_33:                              ;   in Loop: Header=BB68_16 Depth=1
	v_dual_mov_b32 v18, v6 :: v_dual_mov_b32 v19, v7
	s_mov_b32 s26, 4
	s_branch .LBB68_36
.LBB68_34:                              ;   in Loop: Header=BB68_16 Depth=1
	s_cmp_eq_u32 s5, 0
	s_cbranch_scc1 .LBB68_40
; %bb.35:                               ;   in Loop: Header=BB68_16 Depth=1
	s_mov_b32 s25, -1
                                        ; implicit-def: $sgpr26
                                        ; implicit-def: $vgpr18
                                        ; implicit-def: $vgpr19
                                        ; implicit-def: $vgpr16
                                        ; implicit-def: $vgpr17
.LBB68_36:                              ;   in Loop: Header=BB68_16 Depth=1
	s_delay_alu instid0(SALU_CYCLE_1)
	s_and_b32 vcc_lo, exec_lo, s25
	s_cbranch_vccnz .LBB68_43
.LBB68_37:                              ;   in Loop: Header=BB68_16 Depth=1
	s_and_b32 vcc_lo, exec_lo, s0
	s_cbranch_vccnz .LBB68_48
.LBB68_38:                              ;   in Loop: Header=BB68_16 Depth=1
	s_cmp_gt_i32 s26, 3
	s_mov_b32 s0, -1
	s_cbranch_scc1 .LBB68_51
.LBB68_39:                              ;   in Loop: Header=BB68_16 Depth=1
	s_cmp_eq_u32 s26, 0
	s_cselect_b32 s1, -1, 0
	s_delay_alu instid0(SALU_CYCLE_1)
	s_and_not1_b32 vcc_lo, exec_lo, s1
	s_cbranch_vccz .LBB68_14
	s_branch .LBB68_52
.LBB68_40:                              ;   in Loop: Header=BB68_16 Depth=1
	s_cmp_le_i32 s13, s20
	s_mov_b32 s25, 0
	s_cbranch_scc0 .LBB68_42
; %bb.41:                               ;   in Loop: Header=BB68_16 Depth=1
	s_mov_b32 s0, -1
	s_mov_b32 s25, s1
.LBB68_42:                              ;   in Loop: Header=BB68_16 Depth=1
	v_dual_mov_b32 v18, v6 :: v_dual_mov_b32 v19, v7
	v_dual_mov_b32 v16, v15 :: v_dual_mov_b32 v17, v14
	s_mov_b32 s26, 2
	s_and_b32 vcc_lo, exec_lo, s25
	s_cbranch_vccz .LBB68_37
.LBB68_43:                              ;   in Loop: Header=BB68_16 Depth=1
	s_and_saveexec_b32 s25, s3
	s_cbranch_execz .LBB68_45
; %bb.44:                               ;   in Loop: Header=BB68_16 Depth=1
	s_add_i32 s0, s13, s7
	s_delay_alu instid0(SALU_CYCLE_1) | instskip(NEXT) | instid1(SALU_CYCLE_1)
	s_ashr_i32 s1, s0, 31
	s_lshl_b64 s[0:1], s[0:1], 2
	s_delay_alu instid0(SALU_CYCLE_1)
	s_add_u32 s0, s16, s0
	s_addc_u32 s1, s17, s1
	global_load_b32 v16, v1, s[0:1] glc
	s_waitcnt vmcnt(0)
	v_cmp_ne_u32_e32 vcc_lo, 0, v16
	s_cbranch_vccz .LBB68_53
.LBB68_45:                              ;   in Loop: Header=BB68_16 Depth=1
	s_or_b32 exec_lo, exec_lo, s25
	v_dual_mov_b32 v18, 0 :: v_dual_mov_b32 v19, 0
	s_mov_b32 s0, 0
	s_waitcnt_vscnt null, 0x0
	s_barrier
	buffer_gl0_inv
	buffer_gl1_inv
	buffer_gl0_inv
	s_and_saveexec_b32 s1, s2
	s_cbranch_execz .LBB68_47
; %bb.46:                               ;   in Loop: Header=BB68_16 Depth=1
	s_mul_i32 s25, s13, s23
	s_mul_hi_u32 s26, s13, s22
	s_ashr_i32 s27, s13, 31
	s_add_i32 s25, s26, s25
	s_mul_i32 s27, s27, s22
	s_mul_i32 s26, s13, s22
	s_add_i32 s27, s25, s27
	s_delay_alu instid0(SALU_CYCLE_1) | instskip(NEXT) | instid1(SALU_CYCLE_1)
	s_lshl_b64 s[26:27], s[26:27], 3
	v_add_co_u32 v16, vcc_lo, v4, s26
	v_add_co_ci_u32_e32 v17, vcc_lo, s27, v5, vcc_lo
	global_load_b64 v[16:17], v[16:17], off
	s_waitcnt vmcnt(0)
	v_fma_f32 v19, -v3, v16, v7
	v_fma_f32 v16, -v2, v16, v6
	s_delay_alu instid0(VALU_DEP_2) | instskip(NEXT) | instid1(VALU_DEP_2)
	v_fmac_f32_e32 v19, v2, v17
	v_fma_f32 v18, -v3, v17, v16
.LBB68_47:                              ;   in Loop: Header=BB68_16 Depth=1
	s_or_b32 exec_lo, exec_lo, s1
	v_dual_mov_b32 v16, v15 :: v_dual_mov_b32 v17, v14
	s_mov_b32 s26, 0
	s_and_b32 vcc_lo, exec_lo, s0
	s_cbranch_vccz .LBB68_38
.LBB68_48:                              ;   in Loop: Header=BB68_16 Depth=1
	s_and_not1_b32 vcc_lo, exec_lo, s21
	s_cbranch_vccnz .LBB68_50
; %bb.49:                               ;   in Loop: Header=BB68_16 Depth=1
	v_mul_f32_e32 v14, v2, v2
	s_delay_alu instid0(VALU_DEP_1) | instskip(NEXT) | instid1(VALU_DEP_1)
	v_fmac_f32_e32 v14, v3, v3
	v_div_scale_f32 v15, null, v14, v14, 1.0
	v_div_scale_f32 v18, vcc_lo, 1.0, v14, 1.0
	s_delay_alu instid0(VALU_DEP_2) | instskip(SKIP_2) | instid1(VALU_DEP_1)
	v_rcp_f32_e32 v16, v15
	s_waitcnt_depctr 0xfff
	v_fma_f32 v17, -v15, v16, 1.0
	v_fmac_f32_e32 v16, v17, v16
	s_delay_alu instid0(VALU_DEP_1) | instskip(NEXT) | instid1(VALU_DEP_1)
	v_mul_f32_e32 v17, v18, v16
	v_fma_f32 v19, -v15, v17, v18
	s_delay_alu instid0(VALU_DEP_1) | instskip(NEXT) | instid1(VALU_DEP_1)
	v_fmac_f32_e32 v17, v19, v16
	v_fma_f32 v15, -v15, v17, v18
	s_delay_alu instid0(VALU_DEP_1) | instskip(SKIP_2) | instid1(VALU_DEP_3)
	v_div_fmas_f32 v15, v15, v16, v17
	v_fma_f32 v16, 0, v2, v3
	v_fma_f32 v2, v3, 0, -v2
	v_div_fixup_f32 v15, v15, v14, 1.0
	s_delay_alu instid0(VALU_DEP_1) | instskip(NEXT) | instid1(VALU_DEP_3)
	v_mul_f32_e32 v14, v16, v15
	v_mul_f32_e32 v15, v2, v15
.LBB68_50:                              ;   in Loop: Header=BB68_16 Depth=1
	s_delay_alu instid0(VALU_DEP_1) | instskip(SKIP_2) | instid1(SALU_CYCLE_1)
	v_dual_mov_b32 v17, v14 :: v_dual_mov_b32 v16, v15
	v_dual_mov_b32 v19, v7 :: v_dual_mov_b32 v18, v6
	s_mov_b32 s26, 2
	s_cmp_gt_i32 s26, 3
	s_mov_b32 s0, -1
	s_cbranch_scc0 .LBB68_39
.LBB68_51:                              ;   in Loop: Header=BB68_16 Depth=1
	s_branch .LBB68_14
.LBB68_52:                              ;   in Loop: Header=BB68_16 Depth=1
                                        ; implicit-def: $sgpr18_sgpr19
	s_branch .LBB68_15
.LBB68_53:                              ;   in Loop: Header=BB68_16 Depth=1
	s_mov_b32 s26, 0
	s_branch .LBB68_55
	.p2align	6
.LBB68_54:                              ;   in Loop: Header=BB68_55 Depth=2
	global_load_b32 v16, v1, s[0:1] glc
	s_cmpk_lt_u32 s26, 0xf43
	s_cselect_b32 s27, -1, 0
	s_delay_alu instid0(SALU_CYCLE_1)
	s_cmp_lg_u32 s27, 0
	s_addc_u32 s26, s26, 0
	s_waitcnt vmcnt(0)
	v_cmp_ne_u32_e32 vcc_lo, 0, v16
	s_cbranch_vccnz .LBB68_45
.LBB68_55:                              ;   Parent Loop BB68_16 Depth=1
                                        ; =>  This Loop Header: Depth=2
                                        ;       Child Loop BB68_56 Depth 3
	s_cmp_eq_u32 s26, 0
	s_mov_b32 s27, s26
	s_cbranch_scc1 .LBB68_54
.LBB68_56:                              ;   Parent Loop BB68_16 Depth=1
                                        ;     Parent Loop BB68_55 Depth=2
                                        ; =>    This Inner Loop Header: Depth=3
	s_add_i32 s27, s27, -1
	s_sleep 1
	s_cmp_eq_u32 s27, 0
	s_cbranch_scc0 .LBB68_56
	s_branch .LBB68_54
.LBB68_57:
	v_dual_mov_b32 v16, 0 :: v_dual_mov_b32 v17, 1.0
	s_and_saveexec_b32 s0, s2
	s_cbranch_execnz .LBB68_59
	s_branch .LBB68_60
.LBB68_58:
	v_dual_mov_b32 v6, v18 :: v_dual_mov_b32 v7, v19
	s_and_saveexec_b32 s0, s2
	s_cbranch_execz .LBB68_60
.LBB68_59:
	s_delay_alu instid0(VALU_DEP_1) | instskip(NEXT) | instid1(VALU_DEP_2)
	v_mul_f32_e64 v8, v16, -v6
	v_mul_f32_e32 v3, v16, v7
	s_lshl_b64 s[2:3], s[10:11], 3
	s_cmp_eq_u32 s6, 0
	v_add_co_u32 v1, vcc_lo, v4, s2
	v_fmac_f32_e32 v8, v7, v17
	v_fmac_f32_e32 v3, v6, v17
	v_add_co_ci_u32_e32 v2, vcc_lo, s3, v5, vcc_lo
	s_cselect_b32 vcc_lo, -1, 0
	s_delay_alu instid0(VALU_DEP_2)
	v_dual_cndmask_b32 v4, v6, v3 :: v_dual_cndmask_b32 v3, v7, v8
	global_store_b64 v[1:2], v[3:4], off
.LBB68_60:
	s_or_b32 exec_lo, exec_lo, s0
	s_waitcnt_vscnt null, 0x0
	buffer_gl1_inv
	buffer_gl0_inv
	s_barrier
	buffer_gl0_inv
	s_mov_b32 s0, exec_lo
	v_cmpx_eq_u32_e32 0, v0
	s_cbranch_execz .LBB68_62
; %bb.61:
	s_add_i32 s0, s20, s7
	v_dual_mov_b32 v0, 0 :: v_dual_mov_b32 v1, 1
	s_ashr_i32 s1, s0, 31
	s_delay_alu instid0(SALU_CYCLE_1) | instskip(NEXT) | instid1(SALU_CYCLE_1)
	s_lshl_b64 s[0:1], s[0:1], 2
	s_add_u32 s0, s16, s0
	s_addc_u32 s1, s17, s1
	global_store_b32 v0, v1, s[0:1]
.LBB68_62:
	s_nop 0
	s_sendmsg sendmsg(MSG_DEALLOC_VGPRS)
	s_endpgm
	.section	.rodata,"a",@progbits
	.p2align	6, 0x0
	.amdhsa_kernel _ZN9rocsparseL5csrsmILj256ELj64ELb1Eli21rocsparse_complex_numIfEEEv20rocsparse_operation_T3_S4_NS_24const_host_device_scalarIT4_EEPKT2_PKS4_PKS6_PS6_lPiSC_PS4_21rocsparse_index_base_20rocsparse_fill_mode_20rocsparse_diag_type_b
		.amdhsa_group_segment_fixed_size 3072
		.amdhsa_private_segment_fixed_size 0
		.amdhsa_kernarg_size 104
		.amdhsa_user_sgpr_count 15
		.amdhsa_user_sgpr_dispatch_ptr 0
		.amdhsa_user_sgpr_queue_ptr 0
		.amdhsa_user_sgpr_kernarg_segment_ptr 1
		.amdhsa_user_sgpr_dispatch_id 0
		.amdhsa_user_sgpr_private_segment_size 0
		.amdhsa_wavefront_size32 1
		.amdhsa_uses_dynamic_stack 0
		.amdhsa_enable_private_segment 0
		.amdhsa_system_sgpr_workgroup_id_x 1
		.amdhsa_system_sgpr_workgroup_id_y 0
		.amdhsa_system_sgpr_workgroup_id_z 0
		.amdhsa_system_sgpr_workgroup_info 0
		.amdhsa_system_vgpr_workitem_id 0
		.amdhsa_next_free_vgpr 22
		.amdhsa_next_free_sgpr 28
		.amdhsa_reserve_vcc 1
		.amdhsa_float_round_mode_32 0
		.amdhsa_float_round_mode_16_64 0
		.amdhsa_float_denorm_mode_32 3
		.amdhsa_float_denorm_mode_16_64 3
		.amdhsa_dx10_clamp 1
		.amdhsa_ieee_mode 1
		.amdhsa_fp16_overflow 0
		.amdhsa_workgroup_processor_mode 1
		.amdhsa_memory_ordered 1
		.amdhsa_forward_progress 0
		.amdhsa_shared_vgpr_count 0
		.amdhsa_exception_fp_ieee_invalid_op 0
		.amdhsa_exception_fp_denorm_src 0
		.amdhsa_exception_fp_ieee_div_zero 0
		.amdhsa_exception_fp_ieee_overflow 0
		.amdhsa_exception_fp_ieee_underflow 0
		.amdhsa_exception_fp_ieee_inexact 0
		.amdhsa_exception_int_div_zero 0
	.end_amdhsa_kernel
	.section	.text._ZN9rocsparseL5csrsmILj256ELj64ELb1Eli21rocsparse_complex_numIfEEEv20rocsparse_operation_T3_S4_NS_24const_host_device_scalarIT4_EEPKT2_PKS4_PKS6_PS6_lPiSC_PS4_21rocsparse_index_base_20rocsparse_fill_mode_20rocsparse_diag_type_b,"axG",@progbits,_ZN9rocsparseL5csrsmILj256ELj64ELb1Eli21rocsparse_complex_numIfEEEv20rocsparse_operation_T3_S4_NS_24const_host_device_scalarIT4_EEPKT2_PKS4_PKS6_PS6_lPiSC_PS4_21rocsparse_index_base_20rocsparse_fill_mode_20rocsparse_diag_type_b,comdat
.Lfunc_end68:
	.size	_ZN9rocsparseL5csrsmILj256ELj64ELb1Eli21rocsparse_complex_numIfEEEv20rocsparse_operation_T3_S4_NS_24const_host_device_scalarIT4_EEPKT2_PKS4_PKS6_PS6_lPiSC_PS4_21rocsparse_index_base_20rocsparse_fill_mode_20rocsparse_diag_type_b, .Lfunc_end68-_ZN9rocsparseL5csrsmILj256ELj64ELb1Eli21rocsparse_complex_numIfEEEv20rocsparse_operation_T3_S4_NS_24const_host_device_scalarIT4_EEPKT2_PKS4_PKS6_PS6_lPiSC_PS4_21rocsparse_index_base_20rocsparse_fill_mode_20rocsparse_diag_type_b
                                        ; -- End function
	.section	.AMDGPU.csdata,"",@progbits
; Kernel info:
; codeLenInByte = 2184
; NumSgprs: 30
; NumVgprs: 22
; ScratchSize: 0
; MemoryBound: 0
; FloatMode: 240
; IeeeMode: 1
; LDSByteSize: 3072 bytes/workgroup (compile time only)
; SGPRBlocks: 3
; VGPRBlocks: 2
; NumSGPRsForWavesPerEU: 30
; NumVGPRsForWavesPerEU: 22
; Occupancy: 16
; WaveLimiterHint : 1
; COMPUTE_PGM_RSRC2:SCRATCH_EN: 0
; COMPUTE_PGM_RSRC2:USER_SGPR: 15
; COMPUTE_PGM_RSRC2:TRAP_HANDLER: 0
; COMPUTE_PGM_RSRC2:TGID_X_EN: 1
; COMPUTE_PGM_RSRC2:TGID_Y_EN: 0
; COMPUTE_PGM_RSRC2:TGID_Z_EN: 0
; COMPUTE_PGM_RSRC2:TIDIG_COMP_CNT: 0
	.section	.text._ZN9rocsparseL5csrsmILj256ELj64ELb0Eli21rocsparse_complex_numIfEEEv20rocsparse_operation_T3_S4_NS_24const_host_device_scalarIT4_EEPKT2_PKS4_PKS6_PS6_lPiSC_PS4_21rocsparse_index_base_20rocsparse_fill_mode_20rocsparse_diag_type_b,"axG",@progbits,_ZN9rocsparseL5csrsmILj256ELj64ELb0Eli21rocsparse_complex_numIfEEEv20rocsparse_operation_T3_S4_NS_24const_host_device_scalarIT4_EEPKT2_PKS4_PKS6_PS6_lPiSC_PS4_21rocsparse_index_base_20rocsparse_fill_mode_20rocsparse_diag_type_b,comdat
	.globl	_ZN9rocsparseL5csrsmILj256ELj64ELb0Eli21rocsparse_complex_numIfEEEv20rocsparse_operation_T3_S4_NS_24const_host_device_scalarIT4_EEPKT2_PKS4_PKS6_PS6_lPiSC_PS4_21rocsparse_index_base_20rocsparse_fill_mode_20rocsparse_diag_type_b ; -- Begin function _ZN9rocsparseL5csrsmILj256ELj64ELb0Eli21rocsparse_complex_numIfEEEv20rocsparse_operation_T3_S4_NS_24const_host_device_scalarIT4_EEPKT2_PKS4_PKS6_PS6_lPiSC_PS4_21rocsparse_index_base_20rocsparse_fill_mode_20rocsparse_diag_type_b
	.p2align	8
	.type	_ZN9rocsparseL5csrsmILj256ELj64ELb0Eli21rocsparse_complex_numIfEEEv20rocsparse_operation_T3_S4_NS_24const_host_device_scalarIT4_EEPKT2_PKS4_PKS6_PS6_lPiSC_PS4_21rocsparse_index_base_20rocsparse_fill_mode_20rocsparse_diag_type_b,@function
_ZN9rocsparseL5csrsmILj256ELj64ELb0Eli21rocsparse_complex_numIfEEEv20rocsparse_operation_T3_S4_NS_24const_host_device_scalarIT4_EEPKT2_PKS4_PKS6_PS6_lPiSC_PS4_21rocsparse_index_base_20rocsparse_fill_mode_20rocsparse_diag_type_b: ; @_ZN9rocsparseL5csrsmILj256ELj64ELb0Eli21rocsparse_complex_numIfEEEv20rocsparse_operation_T3_S4_NS_24const_host_device_scalarIT4_EEPKT2_PKS4_PKS6_PS6_lPiSC_PS4_21rocsparse_index_base_20rocsparse_fill_mode_20rocsparse_diag_type_b
; %bb.0:
	s_clause 0x2
	s_load_b128 s[4:7], s[0:1], 0x58
	s_load_b128 s[8:11], s[0:1], 0x10
	s_load_b64 s[2:3], s[0:1], 0x48
	s_waitcnt lgkmcnt(0)
	s_bitcmp1_b32 s7, 0
	s_mov_b32 s26, s8
	s_cselect_b32 s12, -1, 0
	s_delay_alu instid0(SALU_CYCLE_1)
	s_xor_b32 s7, s12, -1
	s_and_b32 vcc_lo, exec_lo, s12
	s_cbranch_vccnz .LBB69_2
; %bb.1:
	s_load_b32 s26, s[8:9], 0x0
.LBB69_2:
	s_load_b64 s[24:25], s[0:1], 0x30
	s_and_not1_b32 vcc_lo, exec_lo, s7
	s_cbranch_vccnz .LBB69_4
; %bb.3:
	s_load_b32 s9, s[8:9], 0x4
.LBB69_4:
	s_clause 0x1
	s_load_b128 s[16:19], s[0:1], 0x0
	s_load_b64 s[22:23], s[0:1], 0x38
	s_waitcnt lgkmcnt(0)
	v_cvt_f32_u32_e32 v1, s17
	s_sub_i32 s8, 0, s17
	s_delay_alu instid0(VALU_DEP_1) | instskip(SKIP_2) | instid1(VALU_DEP_1)
	v_rcp_iflag_f32_e32 v1, v1
	s_waitcnt_depctr 0xfff
	v_mul_f32_e32 v1, 0x4f7ffffe, v1
	v_cvt_u32_f32_e32 v1, v1
	s_delay_alu instid0(VALU_DEP_1) | instskip(NEXT) | instid1(VALU_DEP_1)
	v_readfirstlane_b32 s7, v1
	s_mul_i32 s8, s8, s7
	s_delay_alu instid0(SALU_CYCLE_1) | instskip(NEXT) | instid1(SALU_CYCLE_1)
	s_mul_hi_u32 s8, s7, s8
	s_add_i32 s7, s7, s8
	s_delay_alu instid0(SALU_CYCLE_1) | instskip(NEXT) | instid1(SALU_CYCLE_1)
	s_mul_hi_u32 s7, s15, s7
	s_mul_i32 s8, s7, s17
	s_add_i32 s12, s7, 1
	s_sub_i32 s8, s15, s8
	s_delay_alu instid0(SALU_CYCLE_1)
	s_sub_i32 s13, s8, s17
	s_cmp_ge_u32 s8, s17
	s_cselect_b32 s7, s12, s7
	s_cselect_b32 s8, s13, s8
	s_add_i32 s12, s7, 1
	s_cmp_ge_u32 s8, s17
	s_cselect_b32 s8, s12, s7
	s_delay_alu instid0(SALU_CYCLE_1) | instskip(SKIP_2) | instid1(SALU_CYCLE_1)
	s_mul_i32 s7, s8, s17
	v_lshl_or_b32 v1, s8, 8, v0
	s_sub_i32 s12, s15, s7
	s_ashr_i32 s13, s12, 31
	s_delay_alu instid0(VALU_DEP_1) | instskip(SKIP_1) | instid1(SALU_CYCLE_1)
	v_ashrrev_i32_e32 v2, 31, v1
	s_lshl_b64 s[12:13], s[12:13], 2
	s_add_u32 s2, s2, s12
	s_addc_u32 s3, s3, s13
	s_load_b32 s20, s[2:3], 0x0
	s_waitcnt lgkmcnt(0)
	s_ashr_i32 s21, s20, 31
	s_delay_alu instid0(SALU_CYCLE_1) | instskip(NEXT) | instid1(SALU_CYCLE_1)
	s_lshl_b64 s[2:3], s[20:21], 3
	s_add_u32 s2, s10, s2
	s_addc_u32 s3, s11, s3
	s_mul_i32 s10, s20, s22
	s_load_b128 s[12:15], s[2:3], 0x0
	s_mul_i32 s2, s20, s23
	s_mul_hi_u32 s3, s20, s22
	v_add_co_u32 v3, vcc_lo, s10, v1
	s_add_i32 s2, s3, s2
	s_mul_i32 s3, s21, s22
	s_delay_alu instid0(SALU_CYCLE_1)
	s_add_i32 s11, s2, s3
	v_cmp_gt_i32_e64 s2, s18, v1
	v_add_co_ci_u32_e32 v4, vcc_lo, s11, v2, vcc_lo
	s_cmpk_lg_i32 s16, 0x71
	s_cbranch_scc0 .LBB69_8
; %bb.5:
	v_dual_mov_b32 v6, 0 :: v_dual_mov_b32 v7, 0
	s_mov_b32 s3, 0
	s_and_saveexec_b32 s8, s2
	s_cbranch_execz .LBB69_7
; %bb.6:
	v_lshlrev_b64 v[5:6], 3, v[3:4]
	s_delay_alu instid0(VALU_DEP_1) | instskip(NEXT) | instid1(VALU_DEP_2)
	v_add_co_u32 v5, vcc_lo, s24, v5
	v_add_co_ci_u32_e32 v6, vcc_lo, s25, v6, vcc_lo
	global_load_b64 v[5:6], v[5:6], off
	s_waitcnt vmcnt(0)
	v_mul_f32_e64 v7, v6, -s9
	s_delay_alu instid0(VALU_DEP_1) | instskip(NEXT) | instid1(VALU_DEP_1)
	v_dual_mul_f32 v6, s26, v6 :: v_dual_fmac_f32 v7, s26, v5
	v_fmac_f32_e32 v6, s9, v5
.LBB69_7:
	s_or_b32 exec_lo, exec_lo, s8
	s_load_b64 s[16:17], s[0:1], 0x40
	s_and_not1_b32 vcc_lo, exec_lo, s3
	s_cbranch_vccz .LBB69_9
	s_branch .LBB69_12
.LBB69_8:
                                        ; implicit-def: $vgpr6
                                        ; implicit-def: $vgpr7
	s_load_b64 s[16:17], s[0:1], 0x40
.LBB69_9:
	v_dual_mov_b32 v6, 0 :: v_dual_mov_b32 v7, 0
	s_and_saveexec_b32 s3, s2
	s_cbranch_execz .LBB69_11
; %bb.10:
	v_lshlrev_b64 v[3:4], 3, v[3:4]
	s_delay_alu instid0(VALU_DEP_1) | instskip(NEXT) | instid1(VALU_DEP_2)
	v_add_co_u32 v3, vcc_lo, s24, v3
	v_add_co_ci_u32_e32 v4, vcc_lo, s25, v4, vcc_lo
	global_load_b64 v[3:4], v[3:4], off
	s_waitcnt vmcnt(0)
	v_mul_f32_e64 v6, s26, -v4
	s_delay_alu instid0(VALU_DEP_1) | instskip(NEXT) | instid1(VALU_DEP_1)
	v_dual_mul_f32 v7, s9, v4 :: v_dual_fmac_f32 v6, s9, v3
	v_fmac_f32_e32 v7, s26, v3
.LBB69_11:
	s_or_b32 exec_lo, exec_lo, s3
.LBB69_12:
	v_lshlrev_b64 v[1:2], 3, v[1:2]
	s_waitcnt lgkmcnt(0)
	v_cmp_ge_i64_e64 s3, s[12:13], s[14:15]
	s_delay_alu instid0(VALU_DEP_2) | instskip(NEXT) | instid1(VALU_DEP_3)
	v_add_co_u32 v4, vcc_lo, s24, v1
	v_add_co_ci_u32_e32 v5, vcc_lo, s25, v2, vcc_lo
	s_delay_alu instid0(VALU_DEP_3)
	s_and_b32 vcc_lo, exec_lo, s3
	v_cmp_eq_u32_e64 s3, 0, v0
	s_cbranch_vccnz .LBB69_54
; %bb.13:
	s_clause 0x1
	s_load_b128 s[24:27], s[0:1], 0x20
	s_load_b64 s[8:9], s[0:1], 0x50
	v_dual_mov_b32 v1, 0 :: v_dual_lshlrev_b32 v2, 2, v0
	v_lshlrev_b32_e32 v8, 3, v0
	s_sub_u32 s12, s12, s4
	s_subb_u32 s13, s13, 0
	s_delay_alu instid0(VALU_DEP_2)
	v_mov_b32_e32 v15, v1
	s_sub_u32 s14, s14, s4
	v_mov_b32_e32 v14, 1.0
	s_subb_u32 s15, s15, 0
	v_or_b32_e32 v9, 0x800, v2
	s_cmp_eq_u32 s6, 0
	s_mov_b64 s[18:19], s[12:13]
	s_cselect_b32 s21, -1, 0
	s_waitcnt lgkmcnt(0)
	v_add_co_u32 v10, s0, s24, v2
	s_delay_alu instid0(VALU_DEP_1) | instskip(SKIP_1) | instid1(VALU_DEP_1)
	v_add_co_ci_u32_e64 v11, null, s25, 0, s0
	v_add_co_u32 v12, s0, s26, v8
	v_add_co_ci_u32_e64 v13, null, s27, 0, s0
	s_add_i32 s24, s20, s4
	s_branch .LBB69_16
.LBB69_14:                              ;   in Loop: Header=BB69_16 Depth=1
	s_add_u32 s18, s18, 1
	s_addc_u32 s19, s19, 0
	s_delay_alu instid0(SALU_CYCLE_1)
	v_cmp_ge_i64_e64 s0, s[18:19], s[14:15]
.LBB69_15:                              ;   in Loop: Header=BB69_16 Depth=1
	v_dual_mov_b32 v6, v18 :: v_dual_mov_b32 v7, v19
	v_dual_mov_b32 v15, v16 :: v_dual_mov_b32 v14, v17
	s_delay_alu instid0(VALU_DEP_3)
	s_and_not1_b32 vcc_lo, exec_lo, s0
	s_cbranch_vccz .LBB69_55
.LBB69_16:                              ; =>This Loop Header: Depth=1
                                        ;     Child Loop BB69_45 Depth 2
	s_sub_i32 s0, s18, s12
	s_delay_alu instid0(SALU_CYCLE_1) | instskip(NEXT) | instid1(SALU_CYCLE_1)
	s_and_b32 s0, s0, 0xff
	s_cmp_lg_u32 s0, 0
	s_cbranch_scc1 .LBB69_20
; %bb.17:                               ;   in Loop: Header=BB69_16 Depth=1
	v_dual_mov_b32 v16, -1 :: v_dual_mov_b32 v3, 0
	v_mov_b32_e32 v2, -1.0
	s_sub_u32 s26, s14, s18
	s_subb_u32 s27, s15, s19
	s_mov_b32 s1, exec_lo
	v_cmpx_gt_i64_e64 s[26:27], v[0:1]
	s_cbranch_execz .LBB69_19
; %bb.18:                               ;   in Loop: Header=BB69_16 Depth=1
	s_lshl_b64 s[26:27], s[18:19], 2
	s_delay_alu instid0(SALU_CYCLE_1)
	v_add_co_u32 v2, vcc_lo, v10, s26
	v_add_co_ci_u32_e32 v3, vcc_lo, s27, v11, vcc_lo
	s_lshl_b64 s[26:27], s[18:19], 3
	global_load_b32 v16, v[2:3], off
	v_add_co_u32 v2, vcc_lo, v12, s26
	v_add_co_ci_u32_e32 v3, vcc_lo, s27, v13, vcc_lo
	global_load_b64 v[2:3], v[2:3], off
	s_waitcnt vmcnt(1)
	v_subrev_nc_u32_e32 v16, s4, v16
.LBB69_19:                              ;   in Loop: Header=BB69_16 Depth=1
	s_or_b32 exec_lo, exec_lo, s1
	ds_store_b32 v9, v16
	s_waitcnt vmcnt(0)
	ds_store_b64 v8, v[2:3]
.LBB69_20:                              ;   in Loop: Header=BB69_16 Depth=1
	s_lshl_b32 s1, s0, 3
	s_lshl_b32 s0, s0, 2
	s_delay_alu instid0(SALU_CYCLE_1)
	v_dual_mov_b32 v2, s1 :: v_dual_mov_b32 v3, s0
	s_waitcnt lgkmcnt(0)
	s_waitcnt_vscnt null, 0x0
	s_barrier
	buffer_gl0_inv
	ds_load_b64 v[16:17], v2
	ds_load_b32 v2, v3 offset:2048
	s_waitcnt lgkmcnt(1)
	v_cmp_eq_f32_e32 vcc_lo, 0, v16
	v_cmp_eq_f32_e64 s0, 0, v17
	s_waitcnt lgkmcnt(0)
	v_readfirstlane_b32 s13, v2
	v_cmp_ne_u32_e64 s1, s20, v2
	s_delay_alu instid0(VALU_DEP_3) | instskip(NEXT) | instid1(VALU_DEP_2)
	s_and_b32 s0, vcc_lo, s0
	s_cmp_eq_u32 s13, s20
	s_cselect_b32 s26, -1, 0
	s_delay_alu instid0(SALU_CYCLE_1) | instskip(NEXT) | instid1(SALU_CYCLE_1)
	s_and_b32 s0, s0, s26
	s_and_b32 s0, s21, s0
	s_delay_alu instid0(SALU_CYCLE_1) | instskip(SKIP_2) | instid1(SALU_CYCLE_1)
	v_cndmask_b32_e64 v2, v17, 0, s0
	v_cndmask_b32_e64 v3, v16, 1.0, s0
	s_and_b32 s25, s3, s0
	s_and_saveexec_b32 s0, s25
	s_cbranch_execz .LBB69_24
; %bb.21:                               ;   in Loop: Header=BB69_16 Depth=1
	v_mbcnt_lo_u32_b32 v2, exec_lo, 0
	s_mov_b32 s25, exec_lo
	s_delay_alu instid0(VALU_DEP_1)
	v_cmpx_eq_u32_e32 0, v2
	s_cbranch_execz .LBB69_23
; %bb.22:                               ;   in Loop: Header=BB69_16 Depth=1
	v_mov_b32_e32 v2, s24
	global_atomic_min_i32 v1, v2, s[8:9]
.LBB69_23:                              ;   in Loop: Header=BB69_16 Depth=1
	s_or_b32 exec_lo, exec_lo, s25
	v_dual_mov_b32 v2, 0 :: v_dual_mov_b32 v3, 1.0
.LBB69_24:                              ;   in Loop: Header=BB69_16 Depth=1
	s_or_b32 exec_lo, exec_lo, s0
	s_cmp_lt_i32 s5, 1
	s_mov_b32 s0, 0
	s_cbranch_scc1 .LBB69_30
; %bb.25:                               ;   in Loop: Header=BB69_16 Depth=1
	s_cmp_eq_u32 s5, 1
	s_cbranch_scc0 .LBB69_31
; %bb.26:                               ;   in Loop: Header=BB69_16 Depth=1
	v_dual_mov_b32 v16, v15 :: v_dual_mov_b32 v17, v14
	s_cmp_ge_i32 s13, s20
	s_mov_b32 s25, 0
	s_cbranch_scc0 .LBB69_33
; %bb.27:                               ;   in Loop: Header=BB69_16 Depth=1
	s_and_b32 vcc_lo, exec_lo, s26
	s_cbranch_vccz .LBB69_32
; %bb.28:                               ;   in Loop: Header=BB69_16 Depth=1
	v_dual_mov_b32 v16, v15 :: v_dual_mov_b32 v17, v14
	s_and_not1_b32 vcc_lo, exec_lo, s21
	s_cbranch_vccnz .LBB69_33
; %bb.29:                               ;   in Loop: Header=BB69_16 Depth=1
	v_mul_f32_e32 v16, v2, v2
	s_delay_alu instid0(VALU_DEP_1) | instskip(NEXT) | instid1(VALU_DEP_1)
	v_fmac_f32_e32 v16, v3, v3
	v_div_scale_f32 v17, null, v16, v16, 1.0
	v_div_scale_f32 v20, vcc_lo, 1.0, v16, 1.0
	s_delay_alu instid0(VALU_DEP_2) | instskip(SKIP_2) | instid1(VALU_DEP_1)
	v_rcp_f32_e32 v18, v17
	s_waitcnt_depctr 0xfff
	v_fma_f32 v19, -v17, v18, 1.0
	v_fmac_f32_e32 v18, v19, v18
	s_delay_alu instid0(VALU_DEP_1) | instskip(NEXT) | instid1(VALU_DEP_1)
	v_mul_f32_e32 v19, v20, v18
	v_fma_f32 v21, -v17, v19, v20
	s_delay_alu instid0(VALU_DEP_1) | instskip(NEXT) | instid1(VALU_DEP_1)
	v_fmac_f32_e32 v19, v21, v18
	v_fma_f32 v17, -v17, v19, v20
	s_delay_alu instid0(VALU_DEP_1) | instskip(SKIP_2) | instid1(VALU_DEP_3)
	v_div_fmas_f32 v17, v17, v18, v19
	v_fma_f32 v18, 0, v2, v3
	v_fma_f32 v19, v3, 0, -v2
	v_div_fixup_f32 v16, v17, v16, 1.0
	s_delay_alu instid0(VALU_DEP_1) | instskip(NEXT) | instid1(VALU_DEP_3)
	v_mul_f32_e32 v17, v18, v16
	v_mul_f32_e32 v16, v19, v16
	s_branch .LBB69_33
.LBB69_30:                              ;   in Loop: Header=BB69_16 Depth=1
	s_mov_b32 s25, 0
                                        ; implicit-def: $sgpr26
                                        ; implicit-def: $vgpr18
                                        ; implicit-def: $vgpr19
                                        ; implicit-def: $vgpr16
                                        ; implicit-def: $vgpr17
	s_cbranch_execnz .LBB69_34
	s_branch .LBB69_36
.LBB69_31:                              ;   in Loop: Header=BB69_16 Depth=1
	s_mov_b32 s25, -1
                                        ; implicit-def: $sgpr26
                                        ; implicit-def: $vgpr18
                                        ; implicit-def: $vgpr19
                                        ; implicit-def: $vgpr16
                                        ; implicit-def: $vgpr17
	s_branch .LBB69_36
.LBB69_32:                              ;   in Loop: Header=BB69_16 Depth=1
	s_mov_b32 s25, -1
                                        ; implicit-def: $vgpr16
                                        ; implicit-def: $vgpr17
.LBB69_33:                              ;   in Loop: Header=BB69_16 Depth=1
	v_dual_mov_b32 v18, v6 :: v_dual_mov_b32 v19, v7
	s_mov_b32 s26, 4
	s_branch .LBB69_36
.LBB69_34:                              ;   in Loop: Header=BB69_16 Depth=1
	s_cmp_eq_u32 s5, 0
	s_cbranch_scc1 .LBB69_40
; %bb.35:                               ;   in Loop: Header=BB69_16 Depth=1
	s_mov_b32 s25, -1
                                        ; implicit-def: $sgpr26
                                        ; implicit-def: $vgpr18
                                        ; implicit-def: $vgpr19
                                        ; implicit-def: $vgpr16
                                        ; implicit-def: $vgpr17
.LBB69_36:                              ;   in Loop: Header=BB69_16 Depth=1
	s_delay_alu instid0(SALU_CYCLE_1)
	s_and_b32 vcc_lo, exec_lo, s25
	s_cbranch_vccnz .LBB69_43
.LBB69_37:                              ;   in Loop: Header=BB69_16 Depth=1
	s_and_b32 vcc_lo, exec_lo, s0
	s_cbranch_vccnz .LBB69_49
.LBB69_38:                              ;   in Loop: Header=BB69_16 Depth=1
	s_cmp_gt_i32 s26, 3
	s_mov_b32 s0, -1
	s_cbranch_scc1 .LBB69_52
.LBB69_39:                              ;   in Loop: Header=BB69_16 Depth=1
	s_cmp_eq_u32 s26, 0
	s_cselect_b32 s1, -1, 0
	s_delay_alu instid0(SALU_CYCLE_1)
	s_and_not1_b32 vcc_lo, exec_lo, s1
	s_cbranch_vccz .LBB69_14
	s_branch .LBB69_53
.LBB69_40:                              ;   in Loop: Header=BB69_16 Depth=1
	s_cmp_le_i32 s13, s20
	s_mov_b32 s25, 0
	s_cbranch_scc0 .LBB69_42
; %bb.41:                               ;   in Loop: Header=BB69_16 Depth=1
	s_mov_b32 s0, -1
	s_mov_b32 s25, s1
.LBB69_42:                              ;   in Loop: Header=BB69_16 Depth=1
	v_dual_mov_b32 v18, v6 :: v_dual_mov_b32 v19, v7
	v_dual_mov_b32 v16, v15 :: v_dual_mov_b32 v17, v14
	s_mov_b32 s26, 2
	s_and_b32 vcc_lo, exec_lo, s25
	s_cbranch_vccz .LBB69_37
.LBB69_43:                              ;   in Loop: Header=BB69_16 Depth=1
	s_and_saveexec_b32 s25, s3
	s_cbranch_execz .LBB69_46
; %bb.44:                               ;   in Loop: Header=BB69_16 Depth=1
	s_add_i32 s0, s13, s7
	s_delay_alu instid0(SALU_CYCLE_1) | instskip(NEXT) | instid1(SALU_CYCLE_1)
	s_ashr_i32 s1, s0, 31
	s_lshl_b64 s[0:1], s[0:1], 2
	s_delay_alu instid0(SALU_CYCLE_1)
	s_add_u32 s0, s16, s0
	s_addc_u32 s1, s17, s1
	global_load_b32 v16, v1, s[0:1] glc
	s_waitcnt vmcnt(0)
	v_cmp_ne_u32_e32 vcc_lo, 0, v16
	s_cbranch_vccnz .LBB69_46
.LBB69_45:                              ;   Parent Loop BB69_16 Depth=1
                                        ; =>  This Inner Loop Header: Depth=2
	global_load_b32 v16, v1, s[0:1] glc
	s_waitcnt vmcnt(0)
	v_cmp_eq_u32_e32 vcc_lo, 0, v16
	s_cbranch_vccnz .LBB69_45
.LBB69_46:                              ;   in Loop: Header=BB69_16 Depth=1
	s_or_b32 exec_lo, exec_lo, s25
	v_dual_mov_b32 v18, 0 :: v_dual_mov_b32 v19, 0
	s_mov_b32 s0, 0
	s_waitcnt_vscnt null, 0x0
	s_barrier
	buffer_gl0_inv
	buffer_gl1_inv
	buffer_gl0_inv
	s_and_saveexec_b32 s1, s2
	s_cbranch_execz .LBB69_48
; %bb.47:                               ;   in Loop: Header=BB69_16 Depth=1
	s_mul_i32 s25, s13, s23
	s_mul_hi_u32 s26, s13, s22
	s_ashr_i32 s27, s13, 31
	s_add_i32 s25, s26, s25
	s_mul_i32 s27, s27, s22
	s_mul_i32 s26, s13, s22
	s_add_i32 s27, s25, s27
	s_delay_alu instid0(SALU_CYCLE_1) | instskip(NEXT) | instid1(SALU_CYCLE_1)
	s_lshl_b64 s[26:27], s[26:27], 3
	v_add_co_u32 v16, vcc_lo, v4, s26
	v_add_co_ci_u32_e32 v17, vcc_lo, s27, v5, vcc_lo
	global_load_b64 v[16:17], v[16:17], off
	s_waitcnt vmcnt(0)
	v_fma_f32 v19, -v3, v16, v7
	v_fma_f32 v16, -v2, v16, v6
	s_delay_alu instid0(VALU_DEP_2) | instskip(NEXT) | instid1(VALU_DEP_2)
	v_fmac_f32_e32 v19, v2, v17
	v_fma_f32 v18, -v3, v17, v16
.LBB69_48:                              ;   in Loop: Header=BB69_16 Depth=1
	s_or_b32 exec_lo, exec_lo, s1
	v_dual_mov_b32 v16, v15 :: v_dual_mov_b32 v17, v14
	s_mov_b32 s26, 0
	s_and_b32 vcc_lo, exec_lo, s0
	s_cbranch_vccz .LBB69_38
.LBB69_49:                              ;   in Loop: Header=BB69_16 Depth=1
	s_and_not1_b32 vcc_lo, exec_lo, s21
	s_cbranch_vccnz .LBB69_51
; %bb.50:                               ;   in Loop: Header=BB69_16 Depth=1
	v_mul_f32_e32 v14, v2, v2
	s_delay_alu instid0(VALU_DEP_1) | instskip(NEXT) | instid1(VALU_DEP_1)
	v_fmac_f32_e32 v14, v3, v3
	v_div_scale_f32 v15, null, v14, v14, 1.0
	v_div_scale_f32 v18, vcc_lo, 1.0, v14, 1.0
	s_delay_alu instid0(VALU_DEP_2) | instskip(SKIP_2) | instid1(VALU_DEP_1)
	v_rcp_f32_e32 v16, v15
	s_waitcnt_depctr 0xfff
	v_fma_f32 v17, -v15, v16, 1.0
	v_fmac_f32_e32 v16, v17, v16
	s_delay_alu instid0(VALU_DEP_1) | instskip(NEXT) | instid1(VALU_DEP_1)
	v_mul_f32_e32 v17, v18, v16
	v_fma_f32 v19, -v15, v17, v18
	s_delay_alu instid0(VALU_DEP_1) | instskip(NEXT) | instid1(VALU_DEP_1)
	v_fmac_f32_e32 v17, v19, v16
	v_fma_f32 v15, -v15, v17, v18
	s_delay_alu instid0(VALU_DEP_1) | instskip(SKIP_2) | instid1(VALU_DEP_3)
	v_div_fmas_f32 v15, v15, v16, v17
	v_fma_f32 v16, 0, v2, v3
	v_fma_f32 v2, v3, 0, -v2
	v_div_fixup_f32 v15, v15, v14, 1.0
	s_delay_alu instid0(VALU_DEP_1) | instskip(NEXT) | instid1(VALU_DEP_3)
	v_mul_f32_e32 v14, v16, v15
	v_mul_f32_e32 v15, v2, v15
.LBB69_51:                              ;   in Loop: Header=BB69_16 Depth=1
	s_delay_alu instid0(VALU_DEP_1) | instskip(SKIP_2) | instid1(SALU_CYCLE_1)
	v_dual_mov_b32 v17, v14 :: v_dual_mov_b32 v16, v15
	v_dual_mov_b32 v19, v7 :: v_dual_mov_b32 v18, v6
	s_mov_b32 s26, 2
	s_cmp_gt_i32 s26, 3
	s_mov_b32 s0, -1
	s_cbranch_scc0 .LBB69_39
.LBB69_52:                              ;   in Loop: Header=BB69_16 Depth=1
	s_branch .LBB69_14
.LBB69_53:                              ;   in Loop: Header=BB69_16 Depth=1
                                        ; implicit-def: $sgpr18_sgpr19
	s_branch .LBB69_15
.LBB69_54:
	v_dual_mov_b32 v16, 0 :: v_dual_mov_b32 v17, 1.0
	s_and_saveexec_b32 s0, s2
	s_cbranch_execnz .LBB69_56
	s_branch .LBB69_57
.LBB69_55:
	v_dual_mov_b32 v6, v18 :: v_dual_mov_b32 v7, v19
	s_and_saveexec_b32 s0, s2
	s_cbranch_execz .LBB69_57
.LBB69_56:
	s_delay_alu instid0(VALU_DEP_1) | instskip(NEXT) | instid1(VALU_DEP_2)
	v_mul_f32_e64 v8, v16, -v6
	v_mul_f32_e32 v3, v16, v7
	s_lshl_b64 s[2:3], s[10:11], 3
	s_cmp_eq_u32 s6, 0
	v_add_co_u32 v1, vcc_lo, v4, s2
	v_fmac_f32_e32 v8, v7, v17
	v_fmac_f32_e32 v3, v6, v17
	v_add_co_ci_u32_e32 v2, vcc_lo, s3, v5, vcc_lo
	s_cselect_b32 vcc_lo, -1, 0
	s_delay_alu instid0(VALU_DEP_2)
	v_dual_cndmask_b32 v4, v6, v3 :: v_dual_cndmask_b32 v3, v7, v8
	global_store_b64 v[1:2], v[3:4], off
.LBB69_57:
	s_or_b32 exec_lo, exec_lo, s0
	s_waitcnt_vscnt null, 0x0
	buffer_gl1_inv
	buffer_gl0_inv
	s_barrier
	buffer_gl0_inv
	s_mov_b32 s0, exec_lo
	v_cmpx_eq_u32_e32 0, v0
	s_cbranch_execz .LBB69_59
; %bb.58:
	s_add_i32 s0, s20, s7
	v_dual_mov_b32 v0, 0 :: v_dual_mov_b32 v1, 1
	s_ashr_i32 s1, s0, 31
	s_delay_alu instid0(SALU_CYCLE_1) | instskip(NEXT) | instid1(SALU_CYCLE_1)
	s_lshl_b64 s[0:1], s[0:1], 2
	s_add_u32 s0, s16, s0
	s_addc_u32 s1, s17, s1
	global_store_b32 v0, v1, s[0:1]
.LBB69_59:
	s_nop 0
	s_sendmsg sendmsg(MSG_DEALLOC_VGPRS)
	s_endpgm
	.section	.rodata,"a",@progbits
	.p2align	6, 0x0
	.amdhsa_kernel _ZN9rocsparseL5csrsmILj256ELj64ELb0Eli21rocsparse_complex_numIfEEEv20rocsparse_operation_T3_S4_NS_24const_host_device_scalarIT4_EEPKT2_PKS4_PKS6_PS6_lPiSC_PS4_21rocsparse_index_base_20rocsparse_fill_mode_20rocsparse_diag_type_b
		.amdhsa_group_segment_fixed_size 3072
		.amdhsa_private_segment_fixed_size 0
		.amdhsa_kernarg_size 104
		.amdhsa_user_sgpr_count 15
		.amdhsa_user_sgpr_dispatch_ptr 0
		.amdhsa_user_sgpr_queue_ptr 0
		.amdhsa_user_sgpr_kernarg_segment_ptr 1
		.amdhsa_user_sgpr_dispatch_id 0
		.amdhsa_user_sgpr_private_segment_size 0
		.amdhsa_wavefront_size32 1
		.amdhsa_uses_dynamic_stack 0
		.amdhsa_enable_private_segment 0
		.amdhsa_system_sgpr_workgroup_id_x 1
		.amdhsa_system_sgpr_workgroup_id_y 0
		.amdhsa_system_sgpr_workgroup_id_z 0
		.amdhsa_system_sgpr_workgroup_info 0
		.amdhsa_system_vgpr_workitem_id 0
		.amdhsa_next_free_vgpr 22
		.amdhsa_next_free_sgpr 28
		.amdhsa_reserve_vcc 1
		.amdhsa_float_round_mode_32 0
		.amdhsa_float_round_mode_16_64 0
		.amdhsa_float_denorm_mode_32 3
		.amdhsa_float_denorm_mode_16_64 3
		.amdhsa_dx10_clamp 1
		.amdhsa_ieee_mode 1
		.amdhsa_fp16_overflow 0
		.amdhsa_workgroup_processor_mode 1
		.amdhsa_memory_ordered 1
		.amdhsa_forward_progress 0
		.amdhsa_shared_vgpr_count 0
		.amdhsa_exception_fp_ieee_invalid_op 0
		.amdhsa_exception_fp_denorm_src 0
		.amdhsa_exception_fp_ieee_div_zero 0
		.amdhsa_exception_fp_ieee_overflow 0
		.amdhsa_exception_fp_ieee_underflow 0
		.amdhsa_exception_fp_ieee_inexact 0
		.amdhsa_exception_int_div_zero 0
	.end_amdhsa_kernel
	.section	.text._ZN9rocsparseL5csrsmILj256ELj64ELb0Eli21rocsparse_complex_numIfEEEv20rocsparse_operation_T3_S4_NS_24const_host_device_scalarIT4_EEPKT2_PKS4_PKS6_PS6_lPiSC_PS4_21rocsparse_index_base_20rocsparse_fill_mode_20rocsparse_diag_type_b,"axG",@progbits,_ZN9rocsparseL5csrsmILj256ELj64ELb0Eli21rocsparse_complex_numIfEEEv20rocsparse_operation_T3_S4_NS_24const_host_device_scalarIT4_EEPKT2_PKS4_PKS6_PS6_lPiSC_PS4_21rocsparse_index_base_20rocsparse_fill_mode_20rocsparse_diag_type_b,comdat
.Lfunc_end69:
	.size	_ZN9rocsparseL5csrsmILj256ELj64ELb0Eli21rocsparse_complex_numIfEEEv20rocsparse_operation_T3_S4_NS_24const_host_device_scalarIT4_EEPKT2_PKS4_PKS6_PS6_lPiSC_PS4_21rocsparse_index_base_20rocsparse_fill_mode_20rocsparse_diag_type_b, .Lfunc_end69-_ZN9rocsparseL5csrsmILj256ELj64ELb0Eli21rocsparse_complex_numIfEEEv20rocsparse_operation_T3_S4_NS_24const_host_device_scalarIT4_EEPKT2_PKS4_PKS6_PS6_lPiSC_PS4_21rocsparse_index_base_20rocsparse_fill_mode_20rocsparse_diag_type_b
                                        ; -- End function
	.section	.AMDGPU.csdata,"",@progbits
; Kernel info:
; codeLenInByte = 2124
; NumSgprs: 30
; NumVgprs: 22
; ScratchSize: 0
; MemoryBound: 0
; FloatMode: 240
; IeeeMode: 1
; LDSByteSize: 3072 bytes/workgroup (compile time only)
; SGPRBlocks: 3
; VGPRBlocks: 2
; NumSGPRsForWavesPerEU: 30
; NumVGPRsForWavesPerEU: 22
; Occupancy: 16
; WaveLimiterHint : 1
; COMPUTE_PGM_RSRC2:SCRATCH_EN: 0
; COMPUTE_PGM_RSRC2:USER_SGPR: 15
; COMPUTE_PGM_RSRC2:TRAP_HANDLER: 0
; COMPUTE_PGM_RSRC2:TGID_X_EN: 1
; COMPUTE_PGM_RSRC2:TGID_Y_EN: 0
; COMPUTE_PGM_RSRC2:TGID_Z_EN: 0
; COMPUTE_PGM_RSRC2:TIDIG_COMP_CNT: 0
	.section	.text._ZN9rocsparseL5csrsmILj512ELj64ELb1Eli21rocsparse_complex_numIfEEEv20rocsparse_operation_T3_S4_NS_24const_host_device_scalarIT4_EEPKT2_PKS4_PKS6_PS6_lPiSC_PS4_21rocsparse_index_base_20rocsparse_fill_mode_20rocsparse_diag_type_b,"axG",@progbits,_ZN9rocsparseL5csrsmILj512ELj64ELb1Eli21rocsparse_complex_numIfEEEv20rocsparse_operation_T3_S4_NS_24const_host_device_scalarIT4_EEPKT2_PKS4_PKS6_PS6_lPiSC_PS4_21rocsparse_index_base_20rocsparse_fill_mode_20rocsparse_diag_type_b,comdat
	.globl	_ZN9rocsparseL5csrsmILj512ELj64ELb1Eli21rocsparse_complex_numIfEEEv20rocsparse_operation_T3_S4_NS_24const_host_device_scalarIT4_EEPKT2_PKS4_PKS6_PS6_lPiSC_PS4_21rocsparse_index_base_20rocsparse_fill_mode_20rocsparse_diag_type_b ; -- Begin function _ZN9rocsparseL5csrsmILj512ELj64ELb1Eli21rocsparse_complex_numIfEEEv20rocsparse_operation_T3_S4_NS_24const_host_device_scalarIT4_EEPKT2_PKS4_PKS6_PS6_lPiSC_PS4_21rocsparse_index_base_20rocsparse_fill_mode_20rocsparse_diag_type_b
	.p2align	8
	.type	_ZN9rocsparseL5csrsmILj512ELj64ELb1Eli21rocsparse_complex_numIfEEEv20rocsparse_operation_T3_S4_NS_24const_host_device_scalarIT4_EEPKT2_PKS4_PKS6_PS6_lPiSC_PS4_21rocsparse_index_base_20rocsparse_fill_mode_20rocsparse_diag_type_b,@function
_ZN9rocsparseL5csrsmILj512ELj64ELb1Eli21rocsparse_complex_numIfEEEv20rocsparse_operation_T3_S4_NS_24const_host_device_scalarIT4_EEPKT2_PKS4_PKS6_PS6_lPiSC_PS4_21rocsparse_index_base_20rocsparse_fill_mode_20rocsparse_diag_type_b: ; @_ZN9rocsparseL5csrsmILj512ELj64ELb1Eli21rocsparse_complex_numIfEEEv20rocsparse_operation_T3_S4_NS_24const_host_device_scalarIT4_EEPKT2_PKS4_PKS6_PS6_lPiSC_PS4_21rocsparse_index_base_20rocsparse_fill_mode_20rocsparse_diag_type_b
; %bb.0:
	s_clause 0x2
	s_load_b128 s[4:7], s[0:1], 0x58
	s_load_b128 s[8:11], s[0:1], 0x10
	s_load_b64 s[2:3], s[0:1], 0x48
	s_waitcnt lgkmcnt(0)
	s_bitcmp1_b32 s7, 0
	s_mov_b32 s26, s8
	s_cselect_b32 s12, -1, 0
	s_delay_alu instid0(SALU_CYCLE_1)
	s_xor_b32 s7, s12, -1
	s_and_b32 vcc_lo, exec_lo, s12
	s_cbranch_vccnz .LBB70_2
; %bb.1:
	s_load_b32 s26, s[8:9], 0x0
.LBB70_2:
	s_load_b64 s[24:25], s[0:1], 0x30
	s_and_not1_b32 vcc_lo, exec_lo, s7
	s_cbranch_vccnz .LBB70_4
; %bb.3:
	s_load_b32 s9, s[8:9], 0x4
.LBB70_4:
	s_clause 0x1
	s_load_b128 s[16:19], s[0:1], 0x0
	s_load_b64 s[22:23], s[0:1], 0x38
	s_waitcnt lgkmcnt(0)
	v_cvt_f32_u32_e32 v1, s17
	s_sub_i32 s8, 0, s17
	s_delay_alu instid0(VALU_DEP_1) | instskip(SKIP_2) | instid1(VALU_DEP_1)
	v_rcp_iflag_f32_e32 v1, v1
	s_waitcnt_depctr 0xfff
	v_mul_f32_e32 v1, 0x4f7ffffe, v1
	v_cvt_u32_f32_e32 v1, v1
	s_delay_alu instid0(VALU_DEP_1) | instskip(NEXT) | instid1(VALU_DEP_1)
	v_readfirstlane_b32 s7, v1
	s_mul_i32 s8, s8, s7
	s_delay_alu instid0(SALU_CYCLE_1) | instskip(NEXT) | instid1(SALU_CYCLE_1)
	s_mul_hi_u32 s8, s7, s8
	s_add_i32 s7, s7, s8
	s_delay_alu instid0(SALU_CYCLE_1) | instskip(NEXT) | instid1(SALU_CYCLE_1)
	s_mul_hi_u32 s7, s15, s7
	s_mul_i32 s8, s7, s17
	s_add_i32 s12, s7, 1
	s_sub_i32 s8, s15, s8
	s_delay_alu instid0(SALU_CYCLE_1)
	s_sub_i32 s13, s8, s17
	s_cmp_ge_u32 s8, s17
	s_cselect_b32 s7, s12, s7
	s_cselect_b32 s8, s13, s8
	s_add_i32 s12, s7, 1
	s_cmp_ge_u32 s8, s17
	s_cselect_b32 s8, s12, s7
	s_delay_alu instid0(SALU_CYCLE_1) | instskip(SKIP_2) | instid1(SALU_CYCLE_1)
	s_mul_i32 s7, s8, s17
	v_lshl_or_b32 v1, s8, 9, v0
	s_sub_i32 s12, s15, s7
	s_ashr_i32 s13, s12, 31
	s_delay_alu instid0(VALU_DEP_1) | instskip(SKIP_1) | instid1(SALU_CYCLE_1)
	v_ashrrev_i32_e32 v2, 31, v1
	s_lshl_b64 s[12:13], s[12:13], 2
	s_add_u32 s2, s2, s12
	s_addc_u32 s3, s3, s13
	s_load_b32 s20, s[2:3], 0x0
	s_waitcnt lgkmcnt(0)
	s_ashr_i32 s21, s20, 31
	s_delay_alu instid0(SALU_CYCLE_1) | instskip(NEXT) | instid1(SALU_CYCLE_1)
	s_lshl_b64 s[2:3], s[20:21], 3
	s_add_u32 s2, s10, s2
	s_addc_u32 s3, s11, s3
	s_mul_i32 s10, s20, s22
	s_load_b128 s[12:15], s[2:3], 0x0
	s_mul_i32 s2, s20, s23
	s_mul_hi_u32 s3, s20, s22
	v_add_co_u32 v3, vcc_lo, s10, v1
	s_add_i32 s2, s3, s2
	s_mul_i32 s3, s21, s22
	s_delay_alu instid0(SALU_CYCLE_1)
	s_add_i32 s11, s2, s3
	v_cmp_gt_i32_e64 s2, s18, v1
	v_add_co_ci_u32_e32 v4, vcc_lo, s11, v2, vcc_lo
	s_cmpk_lg_i32 s16, 0x71
	s_cbranch_scc0 .LBB70_8
; %bb.5:
	v_dual_mov_b32 v6, 0 :: v_dual_mov_b32 v7, 0
	s_mov_b32 s3, 0
	s_and_saveexec_b32 s8, s2
	s_cbranch_execz .LBB70_7
; %bb.6:
	v_lshlrev_b64 v[5:6], 3, v[3:4]
	s_delay_alu instid0(VALU_DEP_1) | instskip(NEXT) | instid1(VALU_DEP_2)
	v_add_co_u32 v5, vcc_lo, s24, v5
	v_add_co_ci_u32_e32 v6, vcc_lo, s25, v6, vcc_lo
	global_load_b64 v[5:6], v[5:6], off
	s_waitcnt vmcnt(0)
	v_mul_f32_e64 v7, v6, -s9
	s_delay_alu instid0(VALU_DEP_1) | instskip(NEXT) | instid1(VALU_DEP_1)
	v_dual_mul_f32 v6, s26, v6 :: v_dual_fmac_f32 v7, s26, v5
	v_fmac_f32_e32 v6, s9, v5
.LBB70_7:
	s_or_b32 exec_lo, exec_lo, s8
	s_load_b64 s[16:17], s[0:1], 0x40
	s_and_not1_b32 vcc_lo, exec_lo, s3
	s_cbranch_vccz .LBB70_9
	s_branch .LBB70_12
.LBB70_8:
                                        ; implicit-def: $vgpr6
                                        ; implicit-def: $vgpr7
	s_load_b64 s[16:17], s[0:1], 0x40
.LBB70_9:
	v_dual_mov_b32 v6, 0 :: v_dual_mov_b32 v7, 0
	s_and_saveexec_b32 s3, s2
	s_cbranch_execz .LBB70_11
; %bb.10:
	v_lshlrev_b64 v[3:4], 3, v[3:4]
	s_delay_alu instid0(VALU_DEP_1) | instskip(NEXT) | instid1(VALU_DEP_2)
	v_add_co_u32 v3, vcc_lo, s24, v3
	v_add_co_ci_u32_e32 v4, vcc_lo, s25, v4, vcc_lo
	global_load_b64 v[3:4], v[3:4], off
	s_waitcnt vmcnt(0)
	v_mul_f32_e64 v6, s26, -v4
	s_delay_alu instid0(VALU_DEP_1) | instskip(NEXT) | instid1(VALU_DEP_1)
	v_dual_mul_f32 v7, s9, v4 :: v_dual_fmac_f32 v6, s9, v3
	v_fmac_f32_e32 v7, s26, v3
.LBB70_11:
	s_or_b32 exec_lo, exec_lo, s3
.LBB70_12:
	v_lshlrev_b64 v[1:2], 3, v[1:2]
	s_waitcnt lgkmcnt(0)
	v_cmp_ge_i64_e64 s3, s[12:13], s[14:15]
	s_delay_alu instid0(VALU_DEP_2) | instskip(NEXT) | instid1(VALU_DEP_3)
	v_add_co_u32 v4, vcc_lo, s24, v1
	v_add_co_ci_u32_e32 v5, vcc_lo, s25, v2, vcc_lo
	s_delay_alu instid0(VALU_DEP_3)
	s_and_b32 vcc_lo, exec_lo, s3
	v_cmp_eq_u32_e64 s3, 0, v0
	s_cbranch_vccnz .LBB70_57
; %bb.13:
	s_clause 0x1
	s_load_b128 s[24:27], s[0:1], 0x20
	s_load_b64 s[8:9], s[0:1], 0x50
	v_dual_mov_b32 v1, 0 :: v_dual_lshlrev_b32 v2, 2, v0
	v_lshlrev_b32_e32 v8, 3, v0
	s_sub_u32 s12, s12, s4
	s_subb_u32 s13, s13, 0
	s_delay_alu instid0(VALU_DEP_2)
	v_mov_b32_e32 v15, v1
	s_sub_u32 s14, s14, s4
	v_mov_b32_e32 v14, 1.0
	s_subb_u32 s15, s15, 0
	v_or_b32_e32 v9, 0x1000, v2
	s_cmp_eq_u32 s6, 0
	s_mov_b64 s[18:19], s[12:13]
	s_cselect_b32 s21, -1, 0
	s_waitcnt lgkmcnt(0)
	v_add_co_u32 v10, s0, s24, v2
	s_delay_alu instid0(VALU_DEP_1) | instskip(SKIP_1) | instid1(VALU_DEP_1)
	v_add_co_ci_u32_e64 v11, null, s25, 0, s0
	v_add_co_u32 v12, s0, s26, v8
	v_add_co_ci_u32_e64 v13, null, s27, 0, s0
	s_add_i32 s24, s20, s4
	s_branch .LBB70_16
.LBB70_14:                              ;   in Loop: Header=BB70_16 Depth=1
	s_add_u32 s18, s18, 1
	s_addc_u32 s19, s19, 0
	s_delay_alu instid0(SALU_CYCLE_1)
	v_cmp_ge_i64_e64 s0, s[18:19], s[14:15]
.LBB70_15:                              ;   in Loop: Header=BB70_16 Depth=1
	v_dual_mov_b32 v6, v18 :: v_dual_mov_b32 v7, v19
	v_dual_mov_b32 v15, v16 :: v_dual_mov_b32 v14, v17
	s_delay_alu instid0(VALU_DEP_3)
	s_and_not1_b32 vcc_lo, exec_lo, s0
	s_cbranch_vccz .LBB70_58
.LBB70_16:                              ; =>This Loop Header: Depth=1
                                        ;     Child Loop BB70_55 Depth 2
                                        ;       Child Loop BB70_56 Depth 3
	s_sub_i32 s0, s18, s12
	s_delay_alu instid0(SALU_CYCLE_1) | instskip(NEXT) | instid1(SALU_CYCLE_1)
	s_and_b32 s0, s0, 0x1ff
	s_cmp_lg_u32 s0, 0
	s_cbranch_scc1 .LBB70_20
; %bb.17:                               ;   in Loop: Header=BB70_16 Depth=1
	v_dual_mov_b32 v16, -1 :: v_dual_mov_b32 v3, 0
	v_mov_b32_e32 v2, -1.0
	s_sub_u32 s26, s14, s18
	s_subb_u32 s27, s15, s19
	s_mov_b32 s1, exec_lo
	v_cmpx_gt_i64_e64 s[26:27], v[0:1]
	s_cbranch_execz .LBB70_19
; %bb.18:                               ;   in Loop: Header=BB70_16 Depth=1
	s_lshl_b64 s[26:27], s[18:19], 2
	s_delay_alu instid0(SALU_CYCLE_1)
	v_add_co_u32 v2, vcc_lo, v10, s26
	v_add_co_ci_u32_e32 v3, vcc_lo, s27, v11, vcc_lo
	s_lshl_b64 s[26:27], s[18:19], 3
	global_load_b32 v16, v[2:3], off
	v_add_co_u32 v2, vcc_lo, v12, s26
	v_add_co_ci_u32_e32 v3, vcc_lo, s27, v13, vcc_lo
	global_load_b64 v[2:3], v[2:3], off
	s_waitcnt vmcnt(1)
	v_subrev_nc_u32_e32 v16, s4, v16
.LBB70_19:                              ;   in Loop: Header=BB70_16 Depth=1
	s_or_b32 exec_lo, exec_lo, s1
	ds_store_b32 v9, v16
	s_waitcnt vmcnt(0)
	ds_store_b64 v8, v[2:3]
.LBB70_20:                              ;   in Loop: Header=BB70_16 Depth=1
	s_lshl_b32 s1, s0, 3
	s_lshl_b32 s0, s0, 2
	s_delay_alu instid0(SALU_CYCLE_1)
	v_dual_mov_b32 v2, s1 :: v_dual_mov_b32 v3, s0
	s_waitcnt lgkmcnt(0)
	s_waitcnt_vscnt null, 0x0
	s_barrier
	buffer_gl0_inv
	ds_load_b64 v[16:17], v2
	ds_load_b32 v2, v3 offset:4096
	s_waitcnt lgkmcnt(1)
	v_cmp_eq_f32_e32 vcc_lo, 0, v16
	v_cmp_eq_f32_e64 s0, 0, v17
	s_waitcnt lgkmcnt(0)
	v_readfirstlane_b32 s13, v2
	v_cmp_ne_u32_e64 s1, s20, v2
	s_delay_alu instid0(VALU_DEP_3) | instskip(NEXT) | instid1(VALU_DEP_2)
	s_and_b32 s0, vcc_lo, s0
	s_cmp_eq_u32 s13, s20
	s_cselect_b32 s26, -1, 0
	s_delay_alu instid0(SALU_CYCLE_1) | instskip(NEXT) | instid1(SALU_CYCLE_1)
	s_and_b32 s0, s0, s26
	s_and_b32 s0, s21, s0
	s_delay_alu instid0(SALU_CYCLE_1) | instskip(SKIP_2) | instid1(SALU_CYCLE_1)
	v_cndmask_b32_e64 v2, v17, 0, s0
	v_cndmask_b32_e64 v3, v16, 1.0, s0
	s_and_b32 s25, s3, s0
	s_and_saveexec_b32 s0, s25
	s_cbranch_execz .LBB70_24
; %bb.21:                               ;   in Loop: Header=BB70_16 Depth=1
	v_mbcnt_lo_u32_b32 v2, exec_lo, 0
	s_mov_b32 s25, exec_lo
	s_delay_alu instid0(VALU_DEP_1)
	v_cmpx_eq_u32_e32 0, v2
	s_cbranch_execz .LBB70_23
; %bb.22:                               ;   in Loop: Header=BB70_16 Depth=1
	v_mov_b32_e32 v2, s24
	global_atomic_min_i32 v1, v2, s[8:9]
.LBB70_23:                              ;   in Loop: Header=BB70_16 Depth=1
	s_or_b32 exec_lo, exec_lo, s25
	v_dual_mov_b32 v2, 0 :: v_dual_mov_b32 v3, 1.0
.LBB70_24:                              ;   in Loop: Header=BB70_16 Depth=1
	s_or_b32 exec_lo, exec_lo, s0
	s_cmp_lt_i32 s5, 1
	s_mov_b32 s0, 0
	s_cbranch_scc1 .LBB70_30
; %bb.25:                               ;   in Loop: Header=BB70_16 Depth=1
	s_cmp_eq_u32 s5, 1
	s_cbranch_scc0 .LBB70_31
; %bb.26:                               ;   in Loop: Header=BB70_16 Depth=1
	v_dual_mov_b32 v16, v15 :: v_dual_mov_b32 v17, v14
	s_cmp_ge_i32 s13, s20
	s_mov_b32 s25, 0
	s_cbranch_scc0 .LBB70_33
; %bb.27:                               ;   in Loop: Header=BB70_16 Depth=1
	s_and_b32 vcc_lo, exec_lo, s26
	s_cbranch_vccz .LBB70_32
; %bb.28:                               ;   in Loop: Header=BB70_16 Depth=1
	v_dual_mov_b32 v16, v15 :: v_dual_mov_b32 v17, v14
	s_and_not1_b32 vcc_lo, exec_lo, s21
	s_cbranch_vccnz .LBB70_33
; %bb.29:                               ;   in Loop: Header=BB70_16 Depth=1
	v_mul_f32_e32 v16, v2, v2
	s_delay_alu instid0(VALU_DEP_1) | instskip(NEXT) | instid1(VALU_DEP_1)
	v_fmac_f32_e32 v16, v3, v3
	v_div_scale_f32 v17, null, v16, v16, 1.0
	v_div_scale_f32 v20, vcc_lo, 1.0, v16, 1.0
	s_delay_alu instid0(VALU_DEP_2) | instskip(SKIP_2) | instid1(VALU_DEP_1)
	v_rcp_f32_e32 v18, v17
	s_waitcnt_depctr 0xfff
	v_fma_f32 v19, -v17, v18, 1.0
	v_fmac_f32_e32 v18, v19, v18
	s_delay_alu instid0(VALU_DEP_1) | instskip(NEXT) | instid1(VALU_DEP_1)
	v_mul_f32_e32 v19, v20, v18
	v_fma_f32 v21, -v17, v19, v20
	s_delay_alu instid0(VALU_DEP_1) | instskip(NEXT) | instid1(VALU_DEP_1)
	v_fmac_f32_e32 v19, v21, v18
	v_fma_f32 v17, -v17, v19, v20
	s_delay_alu instid0(VALU_DEP_1) | instskip(SKIP_2) | instid1(VALU_DEP_3)
	v_div_fmas_f32 v17, v17, v18, v19
	v_fma_f32 v18, 0, v2, v3
	v_fma_f32 v19, v3, 0, -v2
	v_div_fixup_f32 v16, v17, v16, 1.0
	s_delay_alu instid0(VALU_DEP_1) | instskip(NEXT) | instid1(VALU_DEP_3)
	v_mul_f32_e32 v17, v18, v16
	v_mul_f32_e32 v16, v19, v16
	s_branch .LBB70_33
.LBB70_30:                              ;   in Loop: Header=BB70_16 Depth=1
	s_mov_b32 s25, 0
                                        ; implicit-def: $sgpr26
                                        ; implicit-def: $vgpr18
                                        ; implicit-def: $vgpr19
                                        ; implicit-def: $vgpr16
                                        ; implicit-def: $vgpr17
	s_cbranch_execnz .LBB70_34
	s_branch .LBB70_36
.LBB70_31:                              ;   in Loop: Header=BB70_16 Depth=1
	s_mov_b32 s25, -1
                                        ; implicit-def: $sgpr26
                                        ; implicit-def: $vgpr18
                                        ; implicit-def: $vgpr19
                                        ; implicit-def: $vgpr16
                                        ; implicit-def: $vgpr17
	s_branch .LBB70_36
.LBB70_32:                              ;   in Loop: Header=BB70_16 Depth=1
	s_mov_b32 s25, -1
                                        ; implicit-def: $vgpr16
                                        ; implicit-def: $vgpr17
.LBB70_33:                              ;   in Loop: Header=BB70_16 Depth=1
	v_dual_mov_b32 v18, v6 :: v_dual_mov_b32 v19, v7
	s_mov_b32 s26, 4
	s_branch .LBB70_36
.LBB70_34:                              ;   in Loop: Header=BB70_16 Depth=1
	s_cmp_eq_u32 s5, 0
	s_cbranch_scc1 .LBB70_40
; %bb.35:                               ;   in Loop: Header=BB70_16 Depth=1
	s_mov_b32 s25, -1
                                        ; implicit-def: $sgpr26
                                        ; implicit-def: $vgpr18
                                        ; implicit-def: $vgpr19
                                        ; implicit-def: $vgpr16
                                        ; implicit-def: $vgpr17
.LBB70_36:                              ;   in Loop: Header=BB70_16 Depth=1
	s_delay_alu instid0(SALU_CYCLE_1)
	s_and_b32 vcc_lo, exec_lo, s25
	s_cbranch_vccnz .LBB70_43
.LBB70_37:                              ;   in Loop: Header=BB70_16 Depth=1
	s_and_b32 vcc_lo, exec_lo, s0
	s_cbranch_vccnz .LBB70_48
.LBB70_38:                              ;   in Loop: Header=BB70_16 Depth=1
	s_cmp_gt_i32 s26, 3
	s_mov_b32 s0, -1
	s_cbranch_scc1 .LBB70_51
.LBB70_39:                              ;   in Loop: Header=BB70_16 Depth=1
	s_cmp_eq_u32 s26, 0
	s_cselect_b32 s1, -1, 0
	s_delay_alu instid0(SALU_CYCLE_1)
	s_and_not1_b32 vcc_lo, exec_lo, s1
	s_cbranch_vccz .LBB70_14
	s_branch .LBB70_52
.LBB70_40:                              ;   in Loop: Header=BB70_16 Depth=1
	s_cmp_le_i32 s13, s20
	s_mov_b32 s25, 0
	s_cbranch_scc0 .LBB70_42
; %bb.41:                               ;   in Loop: Header=BB70_16 Depth=1
	s_mov_b32 s0, -1
	s_mov_b32 s25, s1
.LBB70_42:                              ;   in Loop: Header=BB70_16 Depth=1
	v_dual_mov_b32 v18, v6 :: v_dual_mov_b32 v19, v7
	v_dual_mov_b32 v16, v15 :: v_dual_mov_b32 v17, v14
	s_mov_b32 s26, 2
	s_and_b32 vcc_lo, exec_lo, s25
	s_cbranch_vccz .LBB70_37
.LBB70_43:                              ;   in Loop: Header=BB70_16 Depth=1
	s_and_saveexec_b32 s25, s3
	s_cbranch_execz .LBB70_45
; %bb.44:                               ;   in Loop: Header=BB70_16 Depth=1
	s_add_i32 s0, s13, s7
	s_delay_alu instid0(SALU_CYCLE_1) | instskip(NEXT) | instid1(SALU_CYCLE_1)
	s_ashr_i32 s1, s0, 31
	s_lshl_b64 s[0:1], s[0:1], 2
	s_delay_alu instid0(SALU_CYCLE_1)
	s_add_u32 s0, s16, s0
	s_addc_u32 s1, s17, s1
	global_load_b32 v16, v1, s[0:1] glc
	s_waitcnt vmcnt(0)
	v_cmp_ne_u32_e32 vcc_lo, 0, v16
	s_cbranch_vccz .LBB70_53
.LBB70_45:                              ;   in Loop: Header=BB70_16 Depth=1
	s_or_b32 exec_lo, exec_lo, s25
	v_dual_mov_b32 v18, 0 :: v_dual_mov_b32 v19, 0
	s_mov_b32 s0, 0
	s_waitcnt_vscnt null, 0x0
	s_barrier
	buffer_gl0_inv
	buffer_gl1_inv
	buffer_gl0_inv
	s_and_saveexec_b32 s1, s2
	s_cbranch_execz .LBB70_47
; %bb.46:                               ;   in Loop: Header=BB70_16 Depth=1
	s_mul_i32 s25, s13, s23
	s_mul_hi_u32 s26, s13, s22
	s_ashr_i32 s27, s13, 31
	s_add_i32 s25, s26, s25
	s_mul_i32 s27, s27, s22
	s_mul_i32 s26, s13, s22
	s_add_i32 s27, s25, s27
	s_delay_alu instid0(SALU_CYCLE_1) | instskip(NEXT) | instid1(SALU_CYCLE_1)
	s_lshl_b64 s[26:27], s[26:27], 3
	v_add_co_u32 v16, vcc_lo, v4, s26
	v_add_co_ci_u32_e32 v17, vcc_lo, s27, v5, vcc_lo
	global_load_b64 v[16:17], v[16:17], off
	s_waitcnt vmcnt(0)
	v_fma_f32 v19, -v3, v16, v7
	v_fma_f32 v16, -v2, v16, v6
	s_delay_alu instid0(VALU_DEP_2) | instskip(NEXT) | instid1(VALU_DEP_2)
	v_fmac_f32_e32 v19, v2, v17
	v_fma_f32 v18, -v3, v17, v16
.LBB70_47:                              ;   in Loop: Header=BB70_16 Depth=1
	s_or_b32 exec_lo, exec_lo, s1
	v_dual_mov_b32 v16, v15 :: v_dual_mov_b32 v17, v14
	s_mov_b32 s26, 0
	s_and_b32 vcc_lo, exec_lo, s0
	s_cbranch_vccz .LBB70_38
.LBB70_48:                              ;   in Loop: Header=BB70_16 Depth=1
	s_and_not1_b32 vcc_lo, exec_lo, s21
	s_cbranch_vccnz .LBB70_50
; %bb.49:                               ;   in Loop: Header=BB70_16 Depth=1
	v_mul_f32_e32 v14, v2, v2
	s_delay_alu instid0(VALU_DEP_1) | instskip(NEXT) | instid1(VALU_DEP_1)
	v_fmac_f32_e32 v14, v3, v3
	v_div_scale_f32 v15, null, v14, v14, 1.0
	v_div_scale_f32 v18, vcc_lo, 1.0, v14, 1.0
	s_delay_alu instid0(VALU_DEP_2) | instskip(SKIP_2) | instid1(VALU_DEP_1)
	v_rcp_f32_e32 v16, v15
	s_waitcnt_depctr 0xfff
	v_fma_f32 v17, -v15, v16, 1.0
	v_fmac_f32_e32 v16, v17, v16
	s_delay_alu instid0(VALU_DEP_1) | instskip(NEXT) | instid1(VALU_DEP_1)
	v_mul_f32_e32 v17, v18, v16
	v_fma_f32 v19, -v15, v17, v18
	s_delay_alu instid0(VALU_DEP_1) | instskip(NEXT) | instid1(VALU_DEP_1)
	v_fmac_f32_e32 v17, v19, v16
	v_fma_f32 v15, -v15, v17, v18
	s_delay_alu instid0(VALU_DEP_1) | instskip(SKIP_2) | instid1(VALU_DEP_3)
	v_div_fmas_f32 v15, v15, v16, v17
	v_fma_f32 v16, 0, v2, v3
	v_fma_f32 v2, v3, 0, -v2
	v_div_fixup_f32 v15, v15, v14, 1.0
	s_delay_alu instid0(VALU_DEP_1) | instskip(NEXT) | instid1(VALU_DEP_3)
	v_mul_f32_e32 v14, v16, v15
	v_mul_f32_e32 v15, v2, v15
.LBB70_50:                              ;   in Loop: Header=BB70_16 Depth=1
	s_delay_alu instid0(VALU_DEP_1) | instskip(SKIP_2) | instid1(SALU_CYCLE_1)
	v_dual_mov_b32 v17, v14 :: v_dual_mov_b32 v16, v15
	v_dual_mov_b32 v19, v7 :: v_dual_mov_b32 v18, v6
	s_mov_b32 s26, 2
	s_cmp_gt_i32 s26, 3
	s_mov_b32 s0, -1
	s_cbranch_scc0 .LBB70_39
.LBB70_51:                              ;   in Loop: Header=BB70_16 Depth=1
	s_branch .LBB70_14
.LBB70_52:                              ;   in Loop: Header=BB70_16 Depth=1
                                        ; implicit-def: $sgpr18_sgpr19
	s_branch .LBB70_15
.LBB70_53:                              ;   in Loop: Header=BB70_16 Depth=1
	s_mov_b32 s26, 0
	s_branch .LBB70_55
	.p2align	6
.LBB70_54:                              ;   in Loop: Header=BB70_55 Depth=2
	global_load_b32 v16, v1, s[0:1] glc
	s_cmpk_lt_u32 s26, 0xf43
	s_cselect_b32 s27, -1, 0
	s_delay_alu instid0(SALU_CYCLE_1)
	s_cmp_lg_u32 s27, 0
	s_addc_u32 s26, s26, 0
	s_waitcnt vmcnt(0)
	v_cmp_ne_u32_e32 vcc_lo, 0, v16
	s_cbranch_vccnz .LBB70_45
.LBB70_55:                              ;   Parent Loop BB70_16 Depth=1
                                        ; =>  This Loop Header: Depth=2
                                        ;       Child Loop BB70_56 Depth 3
	s_cmp_eq_u32 s26, 0
	s_mov_b32 s27, s26
	s_cbranch_scc1 .LBB70_54
.LBB70_56:                              ;   Parent Loop BB70_16 Depth=1
                                        ;     Parent Loop BB70_55 Depth=2
                                        ; =>    This Inner Loop Header: Depth=3
	s_add_i32 s27, s27, -1
	s_sleep 1
	s_cmp_eq_u32 s27, 0
	s_cbranch_scc0 .LBB70_56
	s_branch .LBB70_54
.LBB70_57:
	v_dual_mov_b32 v16, 0 :: v_dual_mov_b32 v17, 1.0
	s_and_saveexec_b32 s0, s2
	s_cbranch_execnz .LBB70_59
	s_branch .LBB70_60
.LBB70_58:
	v_dual_mov_b32 v6, v18 :: v_dual_mov_b32 v7, v19
	s_and_saveexec_b32 s0, s2
	s_cbranch_execz .LBB70_60
.LBB70_59:
	s_delay_alu instid0(VALU_DEP_1) | instskip(NEXT) | instid1(VALU_DEP_2)
	v_mul_f32_e64 v8, v16, -v6
	v_mul_f32_e32 v3, v16, v7
	s_lshl_b64 s[2:3], s[10:11], 3
	s_cmp_eq_u32 s6, 0
	v_add_co_u32 v1, vcc_lo, v4, s2
	v_fmac_f32_e32 v8, v7, v17
	v_fmac_f32_e32 v3, v6, v17
	v_add_co_ci_u32_e32 v2, vcc_lo, s3, v5, vcc_lo
	s_cselect_b32 vcc_lo, -1, 0
	s_delay_alu instid0(VALU_DEP_2)
	v_dual_cndmask_b32 v4, v6, v3 :: v_dual_cndmask_b32 v3, v7, v8
	global_store_b64 v[1:2], v[3:4], off
.LBB70_60:
	s_or_b32 exec_lo, exec_lo, s0
	s_waitcnt_vscnt null, 0x0
	buffer_gl1_inv
	buffer_gl0_inv
	s_barrier
	buffer_gl0_inv
	s_mov_b32 s0, exec_lo
	v_cmpx_eq_u32_e32 0, v0
	s_cbranch_execz .LBB70_62
; %bb.61:
	s_add_i32 s0, s20, s7
	v_dual_mov_b32 v0, 0 :: v_dual_mov_b32 v1, 1
	s_ashr_i32 s1, s0, 31
	s_delay_alu instid0(SALU_CYCLE_1) | instskip(NEXT) | instid1(SALU_CYCLE_1)
	s_lshl_b64 s[0:1], s[0:1], 2
	s_add_u32 s0, s16, s0
	s_addc_u32 s1, s17, s1
	global_store_b32 v0, v1, s[0:1]
.LBB70_62:
	s_nop 0
	s_sendmsg sendmsg(MSG_DEALLOC_VGPRS)
	s_endpgm
	.section	.rodata,"a",@progbits
	.p2align	6, 0x0
	.amdhsa_kernel _ZN9rocsparseL5csrsmILj512ELj64ELb1Eli21rocsparse_complex_numIfEEEv20rocsparse_operation_T3_S4_NS_24const_host_device_scalarIT4_EEPKT2_PKS4_PKS6_PS6_lPiSC_PS4_21rocsparse_index_base_20rocsparse_fill_mode_20rocsparse_diag_type_b
		.amdhsa_group_segment_fixed_size 6144
		.amdhsa_private_segment_fixed_size 0
		.amdhsa_kernarg_size 104
		.amdhsa_user_sgpr_count 15
		.amdhsa_user_sgpr_dispatch_ptr 0
		.amdhsa_user_sgpr_queue_ptr 0
		.amdhsa_user_sgpr_kernarg_segment_ptr 1
		.amdhsa_user_sgpr_dispatch_id 0
		.amdhsa_user_sgpr_private_segment_size 0
		.amdhsa_wavefront_size32 1
		.amdhsa_uses_dynamic_stack 0
		.amdhsa_enable_private_segment 0
		.amdhsa_system_sgpr_workgroup_id_x 1
		.amdhsa_system_sgpr_workgroup_id_y 0
		.amdhsa_system_sgpr_workgroup_id_z 0
		.amdhsa_system_sgpr_workgroup_info 0
		.amdhsa_system_vgpr_workitem_id 0
		.amdhsa_next_free_vgpr 22
		.amdhsa_next_free_sgpr 28
		.amdhsa_reserve_vcc 1
		.amdhsa_float_round_mode_32 0
		.amdhsa_float_round_mode_16_64 0
		.amdhsa_float_denorm_mode_32 3
		.amdhsa_float_denorm_mode_16_64 3
		.amdhsa_dx10_clamp 1
		.amdhsa_ieee_mode 1
		.amdhsa_fp16_overflow 0
		.amdhsa_workgroup_processor_mode 1
		.amdhsa_memory_ordered 1
		.amdhsa_forward_progress 0
		.amdhsa_shared_vgpr_count 0
		.amdhsa_exception_fp_ieee_invalid_op 0
		.amdhsa_exception_fp_denorm_src 0
		.amdhsa_exception_fp_ieee_div_zero 0
		.amdhsa_exception_fp_ieee_overflow 0
		.amdhsa_exception_fp_ieee_underflow 0
		.amdhsa_exception_fp_ieee_inexact 0
		.amdhsa_exception_int_div_zero 0
	.end_amdhsa_kernel
	.section	.text._ZN9rocsparseL5csrsmILj512ELj64ELb1Eli21rocsparse_complex_numIfEEEv20rocsparse_operation_T3_S4_NS_24const_host_device_scalarIT4_EEPKT2_PKS4_PKS6_PS6_lPiSC_PS4_21rocsparse_index_base_20rocsparse_fill_mode_20rocsparse_diag_type_b,"axG",@progbits,_ZN9rocsparseL5csrsmILj512ELj64ELb1Eli21rocsparse_complex_numIfEEEv20rocsparse_operation_T3_S4_NS_24const_host_device_scalarIT4_EEPKT2_PKS4_PKS6_PS6_lPiSC_PS4_21rocsparse_index_base_20rocsparse_fill_mode_20rocsparse_diag_type_b,comdat
.Lfunc_end70:
	.size	_ZN9rocsparseL5csrsmILj512ELj64ELb1Eli21rocsparse_complex_numIfEEEv20rocsparse_operation_T3_S4_NS_24const_host_device_scalarIT4_EEPKT2_PKS4_PKS6_PS6_lPiSC_PS4_21rocsparse_index_base_20rocsparse_fill_mode_20rocsparse_diag_type_b, .Lfunc_end70-_ZN9rocsparseL5csrsmILj512ELj64ELb1Eli21rocsparse_complex_numIfEEEv20rocsparse_operation_T3_S4_NS_24const_host_device_scalarIT4_EEPKT2_PKS4_PKS6_PS6_lPiSC_PS4_21rocsparse_index_base_20rocsparse_fill_mode_20rocsparse_diag_type_b
                                        ; -- End function
	.section	.AMDGPU.csdata,"",@progbits
; Kernel info:
; codeLenInByte = 2184
; NumSgprs: 30
; NumVgprs: 22
; ScratchSize: 0
; MemoryBound: 0
; FloatMode: 240
; IeeeMode: 1
; LDSByteSize: 6144 bytes/workgroup (compile time only)
; SGPRBlocks: 3
; VGPRBlocks: 2
; NumSGPRsForWavesPerEU: 30
; NumVGPRsForWavesPerEU: 22
; Occupancy: 16
; WaveLimiterHint : 1
; COMPUTE_PGM_RSRC2:SCRATCH_EN: 0
; COMPUTE_PGM_RSRC2:USER_SGPR: 15
; COMPUTE_PGM_RSRC2:TRAP_HANDLER: 0
; COMPUTE_PGM_RSRC2:TGID_X_EN: 1
; COMPUTE_PGM_RSRC2:TGID_Y_EN: 0
; COMPUTE_PGM_RSRC2:TGID_Z_EN: 0
; COMPUTE_PGM_RSRC2:TIDIG_COMP_CNT: 0
	.section	.text._ZN9rocsparseL5csrsmILj512ELj64ELb0Eli21rocsparse_complex_numIfEEEv20rocsparse_operation_T3_S4_NS_24const_host_device_scalarIT4_EEPKT2_PKS4_PKS6_PS6_lPiSC_PS4_21rocsparse_index_base_20rocsparse_fill_mode_20rocsparse_diag_type_b,"axG",@progbits,_ZN9rocsparseL5csrsmILj512ELj64ELb0Eli21rocsparse_complex_numIfEEEv20rocsparse_operation_T3_S4_NS_24const_host_device_scalarIT4_EEPKT2_PKS4_PKS6_PS6_lPiSC_PS4_21rocsparse_index_base_20rocsparse_fill_mode_20rocsparse_diag_type_b,comdat
	.globl	_ZN9rocsparseL5csrsmILj512ELj64ELb0Eli21rocsparse_complex_numIfEEEv20rocsparse_operation_T3_S4_NS_24const_host_device_scalarIT4_EEPKT2_PKS4_PKS6_PS6_lPiSC_PS4_21rocsparse_index_base_20rocsparse_fill_mode_20rocsparse_diag_type_b ; -- Begin function _ZN9rocsparseL5csrsmILj512ELj64ELb0Eli21rocsparse_complex_numIfEEEv20rocsparse_operation_T3_S4_NS_24const_host_device_scalarIT4_EEPKT2_PKS4_PKS6_PS6_lPiSC_PS4_21rocsparse_index_base_20rocsparse_fill_mode_20rocsparse_diag_type_b
	.p2align	8
	.type	_ZN9rocsparseL5csrsmILj512ELj64ELb0Eli21rocsparse_complex_numIfEEEv20rocsparse_operation_T3_S4_NS_24const_host_device_scalarIT4_EEPKT2_PKS4_PKS6_PS6_lPiSC_PS4_21rocsparse_index_base_20rocsparse_fill_mode_20rocsparse_diag_type_b,@function
_ZN9rocsparseL5csrsmILj512ELj64ELb0Eli21rocsparse_complex_numIfEEEv20rocsparse_operation_T3_S4_NS_24const_host_device_scalarIT4_EEPKT2_PKS4_PKS6_PS6_lPiSC_PS4_21rocsparse_index_base_20rocsparse_fill_mode_20rocsparse_diag_type_b: ; @_ZN9rocsparseL5csrsmILj512ELj64ELb0Eli21rocsparse_complex_numIfEEEv20rocsparse_operation_T3_S4_NS_24const_host_device_scalarIT4_EEPKT2_PKS4_PKS6_PS6_lPiSC_PS4_21rocsparse_index_base_20rocsparse_fill_mode_20rocsparse_diag_type_b
; %bb.0:
	s_clause 0x2
	s_load_b128 s[4:7], s[0:1], 0x58
	s_load_b128 s[8:11], s[0:1], 0x10
	s_load_b64 s[2:3], s[0:1], 0x48
	s_waitcnt lgkmcnt(0)
	s_bitcmp1_b32 s7, 0
	s_mov_b32 s26, s8
	s_cselect_b32 s12, -1, 0
	s_delay_alu instid0(SALU_CYCLE_1)
	s_xor_b32 s7, s12, -1
	s_and_b32 vcc_lo, exec_lo, s12
	s_cbranch_vccnz .LBB71_2
; %bb.1:
	s_load_b32 s26, s[8:9], 0x0
.LBB71_2:
	s_load_b64 s[24:25], s[0:1], 0x30
	s_and_not1_b32 vcc_lo, exec_lo, s7
	s_cbranch_vccnz .LBB71_4
; %bb.3:
	s_load_b32 s9, s[8:9], 0x4
.LBB71_4:
	s_clause 0x1
	s_load_b128 s[16:19], s[0:1], 0x0
	s_load_b64 s[22:23], s[0:1], 0x38
	s_waitcnt lgkmcnt(0)
	v_cvt_f32_u32_e32 v1, s17
	s_sub_i32 s8, 0, s17
	s_delay_alu instid0(VALU_DEP_1) | instskip(SKIP_2) | instid1(VALU_DEP_1)
	v_rcp_iflag_f32_e32 v1, v1
	s_waitcnt_depctr 0xfff
	v_mul_f32_e32 v1, 0x4f7ffffe, v1
	v_cvt_u32_f32_e32 v1, v1
	s_delay_alu instid0(VALU_DEP_1) | instskip(NEXT) | instid1(VALU_DEP_1)
	v_readfirstlane_b32 s7, v1
	s_mul_i32 s8, s8, s7
	s_delay_alu instid0(SALU_CYCLE_1) | instskip(NEXT) | instid1(SALU_CYCLE_1)
	s_mul_hi_u32 s8, s7, s8
	s_add_i32 s7, s7, s8
	s_delay_alu instid0(SALU_CYCLE_1) | instskip(NEXT) | instid1(SALU_CYCLE_1)
	s_mul_hi_u32 s7, s15, s7
	s_mul_i32 s8, s7, s17
	s_add_i32 s12, s7, 1
	s_sub_i32 s8, s15, s8
	s_delay_alu instid0(SALU_CYCLE_1)
	s_sub_i32 s13, s8, s17
	s_cmp_ge_u32 s8, s17
	s_cselect_b32 s7, s12, s7
	s_cselect_b32 s8, s13, s8
	s_add_i32 s12, s7, 1
	s_cmp_ge_u32 s8, s17
	s_cselect_b32 s8, s12, s7
	s_delay_alu instid0(SALU_CYCLE_1) | instskip(SKIP_2) | instid1(SALU_CYCLE_1)
	s_mul_i32 s7, s8, s17
	v_lshl_or_b32 v1, s8, 9, v0
	s_sub_i32 s12, s15, s7
	s_ashr_i32 s13, s12, 31
	s_delay_alu instid0(VALU_DEP_1) | instskip(SKIP_1) | instid1(SALU_CYCLE_1)
	v_ashrrev_i32_e32 v2, 31, v1
	s_lshl_b64 s[12:13], s[12:13], 2
	s_add_u32 s2, s2, s12
	s_addc_u32 s3, s3, s13
	s_load_b32 s20, s[2:3], 0x0
	s_waitcnt lgkmcnt(0)
	s_ashr_i32 s21, s20, 31
	s_delay_alu instid0(SALU_CYCLE_1) | instskip(NEXT) | instid1(SALU_CYCLE_1)
	s_lshl_b64 s[2:3], s[20:21], 3
	s_add_u32 s2, s10, s2
	s_addc_u32 s3, s11, s3
	s_mul_i32 s10, s20, s22
	s_load_b128 s[12:15], s[2:3], 0x0
	s_mul_i32 s2, s20, s23
	s_mul_hi_u32 s3, s20, s22
	v_add_co_u32 v3, vcc_lo, s10, v1
	s_add_i32 s2, s3, s2
	s_mul_i32 s3, s21, s22
	s_delay_alu instid0(SALU_CYCLE_1)
	s_add_i32 s11, s2, s3
	v_cmp_gt_i32_e64 s2, s18, v1
	v_add_co_ci_u32_e32 v4, vcc_lo, s11, v2, vcc_lo
	s_cmpk_lg_i32 s16, 0x71
	s_cbranch_scc0 .LBB71_8
; %bb.5:
	v_dual_mov_b32 v6, 0 :: v_dual_mov_b32 v7, 0
	s_mov_b32 s3, 0
	s_and_saveexec_b32 s8, s2
	s_cbranch_execz .LBB71_7
; %bb.6:
	v_lshlrev_b64 v[5:6], 3, v[3:4]
	s_delay_alu instid0(VALU_DEP_1) | instskip(NEXT) | instid1(VALU_DEP_2)
	v_add_co_u32 v5, vcc_lo, s24, v5
	v_add_co_ci_u32_e32 v6, vcc_lo, s25, v6, vcc_lo
	global_load_b64 v[5:6], v[5:6], off
	s_waitcnt vmcnt(0)
	v_mul_f32_e64 v7, v6, -s9
	s_delay_alu instid0(VALU_DEP_1) | instskip(NEXT) | instid1(VALU_DEP_1)
	v_dual_mul_f32 v6, s26, v6 :: v_dual_fmac_f32 v7, s26, v5
	v_fmac_f32_e32 v6, s9, v5
.LBB71_7:
	s_or_b32 exec_lo, exec_lo, s8
	s_load_b64 s[16:17], s[0:1], 0x40
	s_and_not1_b32 vcc_lo, exec_lo, s3
	s_cbranch_vccz .LBB71_9
	s_branch .LBB71_12
.LBB71_8:
                                        ; implicit-def: $vgpr6
                                        ; implicit-def: $vgpr7
	s_load_b64 s[16:17], s[0:1], 0x40
.LBB71_9:
	v_dual_mov_b32 v6, 0 :: v_dual_mov_b32 v7, 0
	s_and_saveexec_b32 s3, s2
	s_cbranch_execz .LBB71_11
; %bb.10:
	v_lshlrev_b64 v[3:4], 3, v[3:4]
	s_delay_alu instid0(VALU_DEP_1) | instskip(NEXT) | instid1(VALU_DEP_2)
	v_add_co_u32 v3, vcc_lo, s24, v3
	v_add_co_ci_u32_e32 v4, vcc_lo, s25, v4, vcc_lo
	global_load_b64 v[3:4], v[3:4], off
	s_waitcnt vmcnt(0)
	v_mul_f32_e64 v6, s26, -v4
	s_delay_alu instid0(VALU_DEP_1) | instskip(NEXT) | instid1(VALU_DEP_1)
	v_dual_mul_f32 v7, s9, v4 :: v_dual_fmac_f32 v6, s9, v3
	v_fmac_f32_e32 v7, s26, v3
.LBB71_11:
	s_or_b32 exec_lo, exec_lo, s3
.LBB71_12:
	v_lshlrev_b64 v[1:2], 3, v[1:2]
	s_waitcnt lgkmcnt(0)
	v_cmp_ge_i64_e64 s3, s[12:13], s[14:15]
	s_delay_alu instid0(VALU_DEP_2) | instskip(NEXT) | instid1(VALU_DEP_3)
	v_add_co_u32 v4, vcc_lo, s24, v1
	v_add_co_ci_u32_e32 v5, vcc_lo, s25, v2, vcc_lo
	s_delay_alu instid0(VALU_DEP_3)
	s_and_b32 vcc_lo, exec_lo, s3
	v_cmp_eq_u32_e64 s3, 0, v0
	s_cbranch_vccnz .LBB71_54
; %bb.13:
	s_clause 0x1
	s_load_b128 s[24:27], s[0:1], 0x20
	s_load_b64 s[8:9], s[0:1], 0x50
	v_dual_mov_b32 v1, 0 :: v_dual_lshlrev_b32 v2, 2, v0
	v_lshlrev_b32_e32 v8, 3, v0
	s_sub_u32 s12, s12, s4
	s_subb_u32 s13, s13, 0
	s_delay_alu instid0(VALU_DEP_2)
	v_mov_b32_e32 v15, v1
	s_sub_u32 s14, s14, s4
	v_mov_b32_e32 v14, 1.0
	s_subb_u32 s15, s15, 0
	v_or_b32_e32 v9, 0x1000, v2
	s_cmp_eq_u32 s6, 0
	s_mov_b64 s[18:19], s[12:13]
	s_cselect_b32 s21, -1, 0
	s_waitcnt lgkmcnt(0)
	v_add_co_u32 v10, s0, s24, v2
	s_delay_alu instid0(VALU_DEP_1) | instskip(SKIP_1) | instid1(VALU_DEP_1)
	v_add_co_ci_u32_e64 v11, null, s25, 0, s0
	v_add_co_u32 v12, s0, s26, v8
	v_add_co_ci_u32_e64 v13, null, s27, 0, s0
	s_add_i32 s24, s20, s4
	s_branch .LBB71_16
.LBB71_14:                              ;   in Loop: Header=BB71_16 Depth=1
	s_add_u32 s18, s18, 1
	s_addc_u32 s19, s19, 0
	s_delay_alu instid0(SALU_CYCLE_1)
	v_cmp_ge_i64_e64 s0, s[18:19], s[14:15]
.LBB71_15:                              ;   in Loop: Header=BB71_16 Depth=1
	v_dual_mov_b32 v6, v18 :: v_dual_mov_b32 v7, v19
	v_dual_mov_b32 v15, v16 :: v_dual_mov_b32 v14, v17
	s_delay_alu instid0(VALU_DEP_3)
	s_and_not1_b32 vcc_lo, exec_lo, s0
	s_cbranch_vccz .LBB71_55
.LBB71_16:                              ; =>This Loop Header: Depth=1
                                        ;     Child Loop BB71_45 Depth 2
	s_sub_i32 s0, s18, s12
	s_delay_alu instid0(SALU_CYCLE_1) | instskip(NEXT) | instid1(SALU_CYCLE_1)
	s_and_b32 s0, s0, 0x1ff
	s_cmp_lg_u32 s0, 0
	s_cbranch_scc1 .LBB71_20
; %bb.17:                               ;   in Loop: Header=BB71_16 Depth=1
	v_dual_mov_b32 v16, -1 :: v_dual_mov_b32 v3, 0
	v_mov_b32_e32 v2, -1.0
	s_sub_u32 s26, s14, s18
	s_subb_u32 s27, s15, s19
	s_mov_b32 s1, exec_lo
	v_cmpx_gt_i64_e64 s[26:27], v[0:1]
	s_cbranch_execz .LBB71_19
; %bb.18:                               ;   in Loop: Header=BB71_16 Depth=1
	s_lshl_b64 s[26:27], s[18:19], 2
	s_delay_alu instid0(SALU_CYCLE_1)
	v_add_co_u32 v2, vcc_lo, v10, s26
	v_add_co_ci_u32_e32 v3, vcc_lo, s27, v11, vcc_lo
	s_lshl_b64 s[26:27], s[18:19], 3
	global_load_b32 v16, v[2:3], off
	v_add_co_u32 v2, vcc_lo, v12, s26
	v_add_co_ci_u32_e32 v3, vcc_lo, s27, v13, vcc_lo
	global_load_b64 v[2:3], v[2:3], off
	s_waitcnt vmcnt(1)
	v_subrev_nc_u32_e32 v16, s4, v16
.LBB71_19:                              ;   in Loop: Header=BB71_16 Depth=1
	s_or_b32 exec_lo, exec_lo, s1
	ds_store_b32 v9, v16
	s_waitcnt vmcnt(0)
	ds_store_b64 v8, v[2:3]
.LBB71_20:                              ;   in Loop: Header=BB71_16 Depth=1
	s_lshl_b32 s1, s0, 3
	s_lshl_b32 s0, s0, 2
	s_delay_alu instid0(SALU_CYCLE_1)
	v_dual_mov_b32 v2, s1 :: v_dual_mov_b32 v3, s0
	s_waitcnt lgkmcnt(0)
	s_waitcnt_vscnt null, 0x0
	s_barrier
	buffer_gl0_inv
	ds_load_b64 v[16:17], v2
	ds_load_b32 v2, v3 offset:4096
	s_waitcnt lgkmcnt(1)
	v_cmp_eq_f32_e32 vcc_lo, 0, v16
	v_cmp_eq_f32_e64 s0, 0, v17
	s_waitcnt lgkmcnt(0)
	v_readfirstlane_b32 s13, v2
	v_cmp_ne_u32_e64 s1, s20, v2
	s_delay_alu instid0(VALU_DEP_3) | instskip(NEXT) | instid1(VALU_DEP_2)
	s_and_b32 s0, vcc_lo, s0
	s_cmp_eq_u32 s13, s20
	s_cselect_b32 s26, -1, 0
	s_delay_alu instid0(SALU_CYCLE_1) | instskip(NEXT) | instid1(SALU_CYCLE_1)
	s_and_b32 s0, s0, s26
	s_and_b32 s0, s21, s0
	s_delay_alu instid0(SALU_CYCLE_1) | instskip(SKIP_2) | instid1(SALU_CYCLE_1)
	v_cndmask_b32_e64 v2, v17, 0, s0
	v_cndmask_b32_e64 v3, v16, 1.0, s0
	s_and_b32 s25, s3, s0
	s_and_saveexec_b32 s0, s25
	s_cbranch_execz .LBB71_24
; %bb.21:                               ;   in Loop: Header=BB71_16 Depth=1
	v_mbcnt_lo_u32_b32 v2, exec_lo, 0
	s_mov_b32 s25, exec_lo
	s_delay_alu instid0(VALU_DEP_1)
	v_cmpx_eq_u32_e32 0, v2
	s_cbranch_execz .LBB71_23
; %bb.22:                               ;   in Loop: Header=BB71_16 Depth=1
	v_mov_b32_e32 v2, s24
	global_atomic_min_i32 v1, v2, s[8:9]
.LBB71_23:                              ;   in Loop: Header=BB71_16 Depth=1
	s_or_b32 exec_lo, exec_lo, s25
	v_dual_mov_b32 v2, 0 :: v_dual_mov_b32 v3, 1.0
.LBB71_24:                              ;   in Loop: Header=BB71_16 Depth=1
	s_or_b32 exec_lo, exec_lo, s0
	s_cmp_lt_i32 s5, 1
	s_mov_b32 s0, 0
	s_cbranch_scc1 .LBB71_30
; %bb.25:                               ;   in Loop: Header=BB71_16 Depth=1
	s_cmp_eq_u32 s5, 1
	s_cbranch_scc0 .LBB71_31
; %bb.26:                               ;   in Loop: Header=BB71_16 Depth=1
	v_dual_mov_b32 v16, v15 :: v_dual_mov_b32 v17, v14
	s_cmp_ge_i32 s13, s20
	s_mov_b32 s25, 0
	s_cbranch_scc0 .LBB71_33
; %bb.27:                               ;   in Loop: Header=BB71_16 Depth=1
	s_and_b32 vcc_lo, exec_lo, s26
	s_cbranch_vccz .LBB71_32
; %bb.28:                               ;   in Loop: Header=BB71_16 Depth=1
	v_dual_mov_b32 v16, v15 :: v_dual_mov_b32 v17, v14
	s_and_not1_b32 vcc_lo, exec_lo, s21
	s_cbranch_vccnz .LBB71_33
; %bb.29:                               ;   in Loop: Header=BB71_16 Depth=1
	v_mul_f32_e32 v16, v2, v2
	s_delay_alu instid0(VALU_DEP_1) | instskip(NEXT) | instid1(VALU_DEP_1)
	v_fmac_f32_e32 v16, v3, v3
	v_div_scale_f32 v17, null, v16, v16, 1.0
	v_div_scale_f32 v20, vcc_lo, 1.0, v16, 1.0
	s_delay_alu instid0(VALU_DEP_2) | instskip(SKIP_2) | instid1(VALU_DEP_1)
	v_rcp_f32_e32 v18, v17
	s_waitcnt_depctr 0xfff
	v_fma_f32 v19, -v17, v18, 1.0
	v_fmac_f32_e32 v18, v19, v18
	s_delay_alu instid0(VALU_DEP_1) | instskip(NEXT) | instid1(VALU_DEP_1)
	v_mul_f32_e32 v19, v20, v18
	v_fma_f32 v21, -v17, v19, v20
	s_delay_alu instid0(VALU_DEP_1) | instskip(NEXT) | instid1(VALU_DEP_1)
	v_fmac_f32_e32 v19, v21, v18
	v_fma_f32 v17, -v17, v19, v20
	s_delay_alu instid0(VALU_DEP_1) | instskip(SKIP_2) | instid1(VALU_DEP_3)
	v_div_fmas_f32 v17, v17, v18, v19
	v_fma_f32 v18, 0, v2, v3
	v_fma_f32 v19, v3, 0, -v2
	v_div_fixup_f32 v16, v17, v16, 1.0
	s_delay_alu instid0(VALU_DEP_1) | instskip(NEXT) | instid1(VALU_DEP_3)
	v_mul_f32_e32 v17, v18, v16
	v_mul_f32_e32 v16, v19, v16
	s_branch .LBB71_33
.LBB71_30:                              ;   in Loop: Header=BB71_16 Depth=1
	s_mov_b32 s25, 0
                                        ; implicit-def: $sgpr26
                                        ; implicit-def: $vgpr18
                                        ; implicit-def: $vgpr19
                                        ; implicit-def: $vgpr16
                                        ; implicit-def: $vgpr17
	s_cbranch_execnz .LBB71_34
	s_branch .LBB71_36
.LBB71_31:                              ;   in Loop: Header=BB71_16 Depth=1
	s_mov_b32 s25, -1
                                        ; implicit-def: $sgpr26
                                        ; implicit-def: $vgpr18
                                        ; implicit-def: $vgpr19
                                        ; implicit-def: $vgpr16
                                        ; implicit-def: $vgpr17
	s_branch .LBB71_36
.LBB71_32:                              ;   in Loop: Header=BB71_16 Depth=1
	s_mov_b32 s25, -1
                                        ; implicit-def: $vgpr16
                                        ; implicit-def: $vgpr17
.LBB71_33:                              ;   in Loop: Header=BB71_16 Depth=1
	v_dual_mov_b32 v18, v6 :: v_dual_mov_b32 v19, v7
	s_mov_b32 s26, 4
	s_branch .LBB71_36
.LBB71_34:                              ;   in Loop: Header=BB71_16 Depth=1
	s_cmp_eq_u32 s5, 0
	s_cbranch_scc1 .LBB71_40
; %bb.35:                               ;   in Loop: Header=BB71_16 Depth=1
	s_mov_b32 s25, -1
                                        ; implicit-def: $sgpr26
                                        ; implicit-def: $vgpr18
                                        ; implicit-def: $vgpr19
                                        ; implicit-def: $vgpr16
                                        ; implicit-def: $vgpr17
.LBB71_36:                              ;   in Loop: Header=BB71_16 Depth=1
	s_delay_alu instid0(SALU_CYCLE_1)
	s_and_b32 vcc_lo, exec_lo, s25
	s_cbranch_vccnz .LBB71_43
.LBB71_37:                              ;   in Loop: Header=BB71_16 Depth=1
	s_and_b32 vcc_lo, exec_lo, s0
	s_cbranch_vccnz .LBB71_49
.LBB71_38:                              ;   in Loop: Header=BB71_16 Depth=1
	s_cmp_gt_i32 s26, 3
	s_mov_b32 s0, -1
	s_cbranch_scc1 .LBB71_52
.LBB71_39:                              ;   in Loop: Header=BB71_16 Depth=1
	s_cmp_eq_u32 s26, 0
	s_cselect_b32 s1, -1, 0
	s_delay_alu instid0(SALU_CYCLE_1)
	s_and_not1_b32 vcc_lo, exec_lo, s1
	s_cbranch_vccz .LBB71_14
	s_branch .LBB71_53
.LBB71_40:                              ;   in Loop: Header=BB71_16 Depth=1
	s_cmp_le_i32 s13, s20
	s_mov_b32 s25, 0
	s_cbranch_scc0 .LBB71_42
; %bb.41:                               ;   in Loop: Header=BB71_16 Depth=1
	s_mov_b32 s0, -1
	s_mov_b32 s25, s1
.LBB71_42:                              ;   in Loop: Header=BB71_16 Depth=1
	v_dual_mov_b32 v18, v6 :: v_dual_mov_b32 v19, v7
	v_dual_mov_b32 v16, v15 :: v_dual_mov_b32 v17, v14
	s_mov_b32 s26, 2
	s_and_b32 vcc_lo, exec_lo, s25
	s_cbranch_vccz .LBB71_37
.LBB71_43:                              ;   in Loop: Header=BB71_16 Depth=1
	s_and_saveexec_b32 s25, s3
	s_cbranch_execz .LBB71_46
; %bb.44:                               ;   in Loop: Header=BB71_16 Depth=1
	s_add_i32 s0, s13, s7
	s_delay_alu instid0(SALU_CYCLE_1) | instskip(NEXT) | instid1(SALU_CYCLE_1)
	s_ashr_i32 s1, s0, 31
	s_lshl_b64 s[0:1], s[0:1], 2
	s_delay_alu instid0(SALU_CYCLE_1)
	s_add_u32 s0, s16, s0
	s_addc_u32 s1, s17, s1
	global_load_b32 v16, v1, s[0:1] glc
	s_waitcnt vmcnt(0)
	v_cmp_ne_u32_e32 vcc_lo, 0, v16
	s_cbranch_vccnz .LBB71_46
.LBB71_45:                              ;   Parent Loop BB71_16 Depth=1
                                        ; =>  This Inner Loop Header: Depth=2
	global_load_b32 v16, v1, s[0:1] glc
	s_waitcnt vmcnt(0)
	v_cmp_eq_u32_e32 vcc_lo, 0, v16
	s_cbranch_vccnz .LBB71_45
.LBB71_46:                              ;   in Loop: Header=BB71_16 Depth=1
	s_or_b32 exec_lo, exec_lo, s25
	v_dual_mov_b32 v18, 0 :: v_dual_mov_b32 v19, 0
	s_mov_b32 s0, 0
	s_waitcnt_vscnt null, 0x0
	s_barrier
	buffer_gl0_inv
	buffer_gl1_inv
	buffer_gl0_inv
	s_and_saveexec_b32 s1, s2
	s_cbranch_execz .LBB71_48
; %bb.47:                               ;   in Loop: Header=BB71_16 Depth=1
	s_mul_i32 s25, s13, s23
	s_mul_hi_u32 s26, s13, s22
	s_ashr_i32 s27, s13, 31
	s_add_i32 s25, s26, s25
	s_mul_i32 s27, s27, s22
	s_mul_i32 s26, s13, s22
	s_add_i32 s27, s25, s27
	s_delay_alu instid0(SALU_CYCLE_1) | instskip(NEXT) | instid1(SALU_CYCLE_1)
	s_lshl_b64 s[26:27], s[26:27], 3
	v_add_co_u32 v16, vcc_lo, v4, s26
	v_add_co_ci_u32_e32 v17, vcc_lo, s27, v5, vcc_lo
	global_load_b64 v[16:17], v[16:17], off
	s_waitcnt vmcnt(0)
	v_fma_f32 v19, -v3, v16, v7
	v_fma_f32 v16, -v2, v16, v6
	s_delay_alu instid0(VALU_DEP_2) | instskip(NEXT) | instid1(VALU_DEP_2)
	v_fmac_f32_e32 v19, v2, v17
	v_fma_f32 v18, -v3, v17, v16
.LBB71_48:                              ;   in Loop: Header=BB71_16 Depth=1
	s_or_b32 exec_lo, exec_lo, s1
	v_dual_mov_b32 v16, v15 :: v_dual_mov_b32 v17, v14
	s_mov_b32 s26, 0
	s_and_b32 vcc_lo, exec_lo, s0
	s_cbranch_vccz .LBB71_38
.LBB71_49:                              ;   in Loop: Header=BB71_16 Depth=1
	s_and_not1_b32 vcc_lo, exec_lo, s21
	s_cbranch_vccnz .LBB71_51
; %bb.50:                               ;   in Loop: Header=BB71_16 Depth=1
	v_mul_f32_e32 v14, v2, v2
	s_delay_alu instid0(VALU_DEP_1) | instskip(NEXT) | instid1(VALU_DEP_1)
	v_fmac_f32_e32 v14, v3, v3
	v_div_scale_f32 v15, null, v14, v14, 1.0
	v_div_scale_f32 v18, vcc_lo, 1.0, v14, 1.0
	s_delay_alu instid0(VALU_DEP_2) | instskip(SKIP_2) | instid1(VALU_DEP_1)
	v_rcp_f32_e32 v16, v15
	s_waitcnt_depctr 0xfff
	v_fma_f32 v17, -v15, v16, 1.0
	v_fmac_f32_e32 v16, v17, v16
	s_delay_alu instid0(VALU_DEP_1) | instskip(NEXT) | instid1(VALU_DEP_1)
	v_mul_f32_e32 v17, v18, v16
	v_fma_f32 v19, -v15, v17, v18
	s_delay_alu instid0(VALU_DEP_1) | instskip(NEXT) | instid1(VALU_DEP_1)
	v_fmac_f32_e32 v17, v19, v16
	v_fma_f32 v15, -v15, v17, v18
	s_delay_alu instid0(VALU_DEP_1) | instskip(SKIP_2) | instid1(VALU_DEP_3)
	v_div_fmas_f32 v15, v15, v16, v17
	v_fma_f32 v16, 0, v2, v3
	v_fma_f32 v2, v3, 0, -v2
	v_div_fixup_f32 v15, v15, v14, 1.0
	s_delay_alu instid0(VALU_DEP_1) | instskip(NEXT) | instid1(VALU_DEP_3)
	v_mul_f32_e32 v14, v16, v15
	v_mul_f32_e32 v15, v2, v15
.LBB71_51:                              ;   in Loop: Header=BB71_16 Depth=1
	s_delay_alu instid0(VALU_DEP_1) | instskip(SKIP_2) | instid1(SALU_CYCLE_1)
	v_dual_mov_b32 v17, v14 :: v_dual_mov_b32 v16, v15
	v_dual_mov_b32 v19, v7 :: v_dual_mov_b32 v18, v6
	s_mov_b32 s26, 2
	s_cmp_gt_i32 s26, 3
	s_mov_b32 s0, -1
	s_cbranch_scc0 .LBB71_39
.LBB71_52:                              ;   in Loop: Header=BB71_16 Depth=1
	s_branch .LBB71_14
.LBB71_53:                              ;   in Loop: Header=BB71_16 Depth=1
                                        ; implicit-def: $sgpr18_sgpr19
	s_branch .LBB71_15
.LBB71_54:
	v_dual_mov_b32 v16, 0 :: v_dual_mov_b32 v17, 1.0
	s_and_saveexec_b32 s0, s2
	s_cbranch_execnz .LBB71_56
	s_branch .LBB71_57
.LBB71_55:
	v_dual_mov_b32 v6, v18 :: v_dual_mov_b32 v7, v19
	s_and_saveexec_b32 s0, s2
	s_cbranch_execz .LBB71_57
.LBB71_56:
	s_delay_alu instid0(VALU_DEP_1) | instskip(NEXT) | instid1(VALU_DEP_2)
	v_mul_f32_e64 v8, v16, -v6
	v_mul_f32_e32 v3, v16, v7
	s_lshl_b64 s[2:3], s[10:11], 3
	s_cmp_eq_u32 s6, 0
	v_add_co_u32 v1, vcc_lo, v4, s2
	v_fmac_f32_e32 v8, v7, v17
	v_fmac_f32_e32 v3, v6, v17
	v_add_co_ci_u32_e32 v2, vcc_lo, s3, v5, vcc_lo
	s_cselect_b32 vcc_lo, -1, 0
	s_delay_alu instid0(VALU_DEP_2)
	v_dual_cndmask_b32 v4, v6, v3 :: v_dual_cndmask_b32 v3, v7, v8
	global_store_b64 v[1:2], v[3:4], off
.LBB71_57:
	s_or_b32 exec_lo, exec_lo, s0
	s_waitcnt_vscnt null, 0x0
	buffer_gl1_inv
	buffer_gl0_inv
	s_barrier
	buffer_gl0_inv
	s_mov_b32 s0, exec_lo
	v_cmpx_eq_u32_e32 0, v0
	s_cbranch_execz .LBB71_59
; %bb.58:
	s_add_i32 s0, s20, s7
	v_dual_mov_b32 v0, 0 :: v_dual_mov_b32 v1, 1
	s_ashr_i32 s1, s0, 31
	s_delay_alu instid0(SALU_CYCLE_1) | instskip(NEXT) | instid1(SALU_CYCLE_1)
	s_lshl_b64 s[0:1], s[0:1], 2
	s_add_u32 s0, s16, s0
	s_addc_u32 s1, s17, s1
	global_store_b32 v0, v1, s[0:1]
.LBB71_59:
	s_nop 0
	s_sendmsg sendmsg(MSG_DEALLOC_VGPRS)
	s_endpgm
	.section	.rodata,"a",@progbits
	.p2align	6, 0x0
	.amdhsa_kernel _ZN9rocsparseL5csrsmILj512ELj64ELb0Eli21rocsparse_complex_numIfEEEv20rocsparse_operation_T3_S4_NS_24const_host_device_scalarIT4_EEPKT2_PKS4_PKS6_PS6_lPiSC_PS4_21rocsparse_index_base_20rocsparse_fill_mode_20rocsparse_diag_type_b
		.amdhsa_group_segment_fixed_size 6144
		.amdhsa_private_segment_fixed_size 0
		.amdhsa_kernarg_size 104
		.amdhsa_user_sgpr_count 15
		.amdhsa_user_sgpr_dispatch_ptr 0
		.amdhsa_user_sgpr_queue_ptr 0
		.amdhsa_user_sgpr_kernarg_segment_ptr 1
		.amdhsa_user_sgpr_dispatch_id 0
		.amdhsa_user_sgpr_private_segment_size 0
		.amdhsa_wavefront_size32 1
		.amdhsa_uses_dynamic_stack 0
		.amdhsa_enable_private_segment 0
		.amdhsa_system_sgpr_workgroup_id_x 1
		.amdhsa_system_sgpr_workgroup_id_y 0
		.amdhsa_system_sgpr_workgroup_id_z 0
		.amdhsa_system_sgpr_workgroup_info 0
		.amdhsa_system_vgpr_workitem_id 0
		.amdhsa_next_free_vgpr 22
		.amdhsa_next_free_sgpr 28
		.amdhsa_reserve_vcc 1
		.amdhsa_float_round_mode_32 0
		.amdhsa_float_round_mode_16_64 0
		.amdhsa_float_denorm_mode_32 3
		.amdhsa_float_denorm_mode_16_64 3
		.amdhsa_dx10_clamp 1
		.amdhsa_ieee_mode 1
		.amdhsa_fp16_overflow 0
		.amdhsa_workgroup_processor_mode 1
		.amdhsa_memory_ordered 1
		.amdhsa_forward_progress 0
		.amdhsa_shared_vgpr_count 0
		.amdhsa_exception_fp_ieee_invalid_op 0
		.amdhsa_exception_fp_denorm_src 0
		.amdhsa_exception_fp_ieee_div_zero 0
		.amdhsa_exception_fp_ieee_overflow 0
		.amdhsa_exception_fp_ieee_underflow 0
		.amdhsa_exception_fp_ieee_inexact 0
		.amdhsa_exception_int_div_zero 0
	.end_amdhsa_kernel
	.section	.text._ZN9rocsparseL5csrsmILj512ELj64ELb0Eli21rocsparse_complex_numIfEEEv20rocsparse_operation_T3_S4_NS_24const_host_device_scalarIT4_EEPKT2_PKS4_PKS6_PS6_lPiSC_PS4_21rocsparse_index_base_20rocsparse_fill_mode_20rocsparse_diag_type_b,"axG",@progbits,_ZN9rocsparseL5csrsmILj512ELj64ELb0Eli21rocsparse_complex_numIfEEEv20rocsparse_operation_T3_S4_NS_24const_host_device_scalarIT4_EEPKT2_PKS4_PKS6_PS6_lPiSC_PS4_21rocsparse_index_base_20rocsparse_fill_mode_20rocsparse_diag_type_b,comdat
.Lfunc_end71:
	.size	_ZN9rocsparseL5csrsmILj512ELj64ELb0Eli21rocsparse_complex_numIfEEEv20rocsparse_operation_T3_S4_NS_24const_host_device_scalarIT4_EEPKT2_PKS4_PKS6_PS6_lPiSC_PS4_21rocsparse_index_base_20rocsparse_fill_mode_20rocsparse_diag_type_b, .Lfunc_end71-_ZN9rocsparseL5csrsmILj512ELj64ELb0Eli21rocsparse_complex_numIfEEEv20rocsparse_operation_T3_S4_NS_24const_host_device_scalarIT4_EEPKT2_PKS4_PKS6_PS6_lPiSC_PS4_21rocsparse_index_base_20rocsparse_fill_mode_20rocsparse_diag_type_b
                                        ; -- End function
	.section	.AMDGPU.csdata,"",@progbits
; Kernel info:
; codeLenInByte = 2124
; NumSgprs: 30
; NumVgprs: 22
; ScratchSize: 0
; MemoryBound: 0
; FloatMode: 240
; IeeeMode: 1
; LDSByteSize: 6144 bytes/workgroup (compile time only)
; SGPRBlocks: 3
; VGPRBlocks: 2
; NumSGPRsForWavesPerEU: 30
; NumVGPRsForWavesPerEU: 22
; Occupancy: 16
; WaveLimiterHint : 1
; COMPUTE_PGM_RSRC2:SCRATCH_EN: 0
; COMPUTE_PGM_RSRC2:USER_SGPR: 15
; COMPUTE_PGM_RSRC2:TRAP_HANDLER: 0
; COMPUTE_PGM_RSRC2:TGID_X_EN: 1
; COMPUTE_PGM_RSRC2:TGID_Y_EN: 0
; COMPUTE_PGM_RSRC2:TGID_Z_EN: 0
; COMPUTE_PGM_RSRC2:TIDIG_COMP_CNT: 0
	.section	.text._ZN9rocsparseL5csrsmILj1024ELj64ELb1Eli21rocsparse_complex_numIfEEEv20rocsparse_operation_T3_S4_NS_24const_host_device_scalarIT4_EEPKT2_PKS4_PKS6_PS6_lPiSC_PS4_21rocsparse_index_base_20rocsparse_fill_mode_20rocsparse_diag_type_b,"axG",@progbits,_ZN9rocsparseL5csrsmILj1024ELj64ELb1Eli21rocsparse_complex_numIfEEEv20rocsparse_operation_T3_S4_NS_24const_host_device_scalarIT4_EEPKT2_PKS4_PKS6_PS6_lPiSC_PS4_21rocsparse_index_base_20rocsparse_fill_mode_20rocsparse_diag_type_b,comdat
	.globl	_ZN9rocsparseL5csrsmILj1024ELj64ELb1Eli21rocsparse_complex_numIfEEEv20rocsparse_operation_T3_S4_NS_24const_host_device_scalarIT4_EEPKT2_PKS4_PKS6_PS6_lPiSC_PS4_21rocsparse_index_base_20rocsparse_fill_mode_20rocsparse_diag_type_b ; -- Begin function _ZN9rocsparseL5csrsmILj1024ELj64ELb1Eli21rocsparse_complex_numIfEEEv20rocsparse_operation_T3_S4_NS_24const_host_device_scalarIT4_EEPKT2_PKS4_PKS6_PS6_lPiSC_PS4_21rocsparse_index_base_20rocsparse_fill_mode_20rocsparse_diag_type_b
	.p2align	8
	.type	_ZN9rocsparseL5csrsmILj1024ELj64ELb1Eli21rocsparse_complex_numIfEEEv20rocsparse_operation_T3_S4_NS_24const_host_device_scalarIT4_EEPKT2_PKS4_PKS6_PS6_lPiSC_PS4_21rocsparse_index_base_20rocsparse_fill_mode_20rocsparse_diag_type_b,@function
_ZN9rocsparseL5csrsmILj1024ELj64ELb1Eli21rocsparse_complex_numIfEEEv20rocsparse_operation_T3_S4_NS_24const_host_device_scalarIT4_EEPKT2_PKS4_PKS6_PS6_lPiSC_PS4_21rocsparse_index_base_20rocsparse_fill_mode_20rocsparse_diag_type_b: ; @_ZN9rocsparseL5csrsmILj1024ELj64ELb1Eli21rocsparse_complex_numIfEEEv20rocsparse_operation_T3_S4_NS_24const_host_device_scalarIT4_EEPKT2_PKS4_PKS6_PS6_lPiSC_PS4_21rocsparse_index_base_20rocsparse_fill_mode_20rocsparse_diag_type_b
; %bb.0:
	s_clause 0x2
	s_load_b128 s[4:7], s[0:1], 0x58
	s_load_b128 s[8:11], s[0:1], 0x10
	s_load_b64 s[2:3], s[0:1], 0x48
	s_waitcnt lgkmcnt(0)
	s_bitcmp1_b32 s7, 0
	s_mov_b32 s26, s8
	s_cselect_b32 s12, -1, 0
	s_delay_alu instid0(SALU_CYCLE_1)
	s_xor_b32 s7, s12, -1
	s_and_b32 vcc_lo, exec_lo, s12
	s_cbranch_vccnz .LBB72_2
; %bb.1:
	s_load_b32 s26, s[8:9], 0x0
.LBB72_2:
	s_load_b64 s[20:21], s[0:1], 0x30
	s_and_not1_b32 vcc_lo, exec_lo, s7
	s_cbranch_vccnz .LBB72_4
; %bb.3:
	s_load_b32 s9, s[8:9], 0x4
.LBB72_4:
	s_clause 0x1
	s_load_b128 s[16:19], s[0:1], 0x0
	s_load_b64 s[24:25], s[0:1], 0x38
	s_waitcnt lgkmcnt(0)
	v_cvt_f32_u32_e32 v1, s17
	s_sub_i32 s8, 0, s17
	s_delay_alu instid0(VALU_DEP_1) | instskip(SKIP_2) | instid1(VALU_DEP_1)
	v_rcp_iflag_f32_e32 v1, v1
	s_waitcnt_depctr 0xfff
	v_mul_f32_e32 v1, 0x4f7ffffe, v1
	v_cvt_u32_f32_e32 v1, v1
	s_delay_alu instid0(VALU_DEP_1) | instskip(NEXT) | instid1(VALU_DEP_1)
	v_readfirstlane_b32 s7, v1
	s_mul_i32 s8, s8, s7
	s_delay_alu instid0(SALU_CYCLE_1) | instskip(NEXT) | instid1(SALU_CYCLE_1)
	s_mul_hi_u32 s8, s7, s8
	s_add_i32 s7, s7, s8
	s_delay_alu instid0(SALU_CYCLE_1) | instskip(NEXT) | instid1(SALU_CYCLE_1)
	s_mul_hi_u32 s7, s15, s7
	s_mul_i32 s8, s7, s17
	s_add_i32 s12, s7, 1
	s_sub_i32 s8, s15, s8
	s_delay_alu instid0(SALU_CYCLE_1)
	s_sub_i32 s13, s8, s17
	s_cmp_ge_u32 s8, s17
	s_cselect_b32 s7, s12, s7
	s_cselect_b32 s8, s13, s8
	s_add_i32 s12, s7, 1
	s_cmp_ge_u32 s8, s17
	s_cselect_b32 s8, s12, s7
	s_delay_alu instid0(SALU_CYCLE_1) | instskip(SKIP_2) | instid1(SALU_CYCLE_1)
	s_mul_i32 s7, s8, s17
	v_lshl_or_b32 v4, s8, 10, v0
	s_sub_i32 s12, s15, s7
	s_ashr_i32 s13, s12, 31
	s_delay_alu instid0(VALU_DEP_1) | instskip(SKIP_1) | instid1(SALU_CYCLE_1)
	v_ashrrev_i32_e32 v5, 31, v4
	s_lshl_b64 s[12:13], s[12:13], 2
	s_add_u32 s2, s2, s12
	s_addc_u32 s3, s3, s13
	s_load_b32 s22, s[2:3], 0x0
	s_waitcnt lgkmcnt(0)
	s_ashr_i32 s23, s22, 31
	v_mad_u64_u32 v[2:3], null, s22, s24, v[4:5]
	s_lshl_b64 s[2:3], s[22:23], 3
	s_delay_alu instid0(SALU_CYCLE_1)
	s_add_u32 s2, s10, s2
	s_addc_u32 s3, s11, s3
	s_cmpk_lg_i32 s16, 0x71
	s_load_b128 s[12:15], s[2:3], 0x0
	s_mul_i32 s2, s23, s24
	s_mul_i32 s3, s22, s25
	s_delay_alu instid0(SALU_CYCLE_1)
	v_add3_u32 v3, s3, s2, v3
	v_cmp_gt_i32_e64 s2, s18, v4
	s_cbranch_scc0 .LBB72_53
; %bb.5:
	v_dual_mov_b32 v6, 0 :: v_dual_mov_b32 v7, 0
	s_mov_b32 s3, 0
	s_delay_alu instid0(VALU_DEP_2)
	s_and_saveexec_b32 s8, s2
	s_cbranch_execz .LBB72_7
; %bb.6:
	v_lshlrev_b64 v[6:7], 3, v[2:3]
	s_delay_alu instid0(VALU_DEP_1) | instskip(NEXT) | instid1(VALU_DEP_2)
	v_add_co_u32 v6, vcc_lo, s20, v6
	v_add_co_ci_u32_e32 v7, vcc_lo, s21, v7, vcc_lo
	global_load_b64 v[8:9], v[6:7], off
	s_waitcnt vmcnt(0)
	v_mul_f32_e64 v7, v9, -s9
	s_delay_alu instid0(VALU_DEP_1) | instskip(NEXT) | instid1(VALU_DEP_1)
	v_dual_mul_f32 v6, s26, v9 :: v_dual_fmac_f32 v7, s26, v8
	v_fmac_f32_e32 v6, s9, v8
.LBB72_7:
	s_or_b32 exec_lo, exec_lo, s8
	s_load_b64 s[10:11], s[0:1], 0x40
	s_and_not1_b32 vcc_lo, exec_lo, s3
	s_cbranch_vccz .LBB72_54
; %bb.8:
	s_waitcnt lgkmcnt(0)
	v_cmp_ge_i64_e64 s3, s[12:13], s[14:15]
	s_delay_alu instid0(VALU_DEP_1)
	s_and_b32 vcc_lo, exec_lo, s3
	v_cmp_eq_u32_e64 s3, 0, v0
	s_cbranch_vccnz .LBB72_57
.LBB72_9:
	s_clause 0x1
	s_load_b128 s[16:19], s[0:1], 0x20
	s_load_b64 s[8:9], s[0:1], 0x50
	v_dual_mov_b32 v1, 0 :: v_dual_lshlrev_b32 v12, 2, v0
	v_lshlrev_b64 v[4:5], 3, v[4:5]
	v_lshlrev_b32_e32 v8, 3, v0
	s_sub_u32 s12, s12, s4
	s_delay_alu instid0(VALU_DEP_3)
	v_mov_b32_e32 v17, v1
	v_or_b32_e32 v9, 0x2000, v12
	s_subb_u32 s13, s13, 0
	v_add_co_u32 v10, vcc_lo, s20, v4
	s_sub_u32 s14, s14, s4
	s_subb_u32 s15, s15, 0
	v_add_co_ci_u32_e32 v11, vcc_lo, s21, v5, vcc_lo
	v_mov_b32_e32 v16, 1.0
	s_cmp_eq_u32 s6, 0
	s_waitcnt lgkmcnt(0)
	v_add_co_u32 v12, s0, s16, v12
	s_delay_alu instid0(VALU_DEP_1) | instskip(SKIP_1) | instid1(VALU_DEP_1)
	v_add_co_ci_u32_e64 v13, null, s17, 0, s0
	v_add_co_u32 v14, s0, s18, v8
	v_add_co_ci_u32_e64 v15, null, s19, 0, s0
	s_cselect_b32 s18, -1, 0
	s_add_i32 s19, s22, s4
	s_mov_b64 s[16:17], s[12:13]
	s_branch .LBB72_12
.LBB72_10:                              ;   in Loop: Header=BB72_12 Depth=1
	s_add_u32 s16, s16, 1
	s_addc_u32 s17, s17, 0
	s_delay_alu instid0(SALU_CYCLE_1)
	v_cmp_ge_i64_e64 s0, s[16:17], s[14:15]
.LBB72_11:                              ;   in Loop: Header=BB72_12 Depth=1
	v_dual_mov_b32 v6, v20 :: v_dual_mov_b32 v7, v21
	v_dual_mov_b32 v17, v18 :: v_dual_mov_b32 v16, v19
	s_delay_alu instid0(VALU_DEP_3)
	s_and_not1_b32 vcc_lo, exec_lo, s0
	s_cbranch_vccz .LBB72_58
.LBB72_12:                              ; =>This Loop Header: Depth=1
                                        ;     Child Loop BB72_51 Depth 2
                                        ;       Child Loop BB72_52 Depth 3
	s_sub_i32 s0, s16, s12
	s_delay_alu instid0(SALU_CYCLE_1) | instskip(NEXT) | instid1(SALU_CYCLE_1)
	s_and_b32 s0, s0, 0x3ff
	s_cmp_lg_u32 s0, 0
	s_cbranch_scc1 .LBB72_16
; %bb.13:                               ;   in Loop: Header=BB72_12 Depth=1
	v_dual_mov_b32 v18, -1 :: v_dual_mov_b32 v5, 0
	v_mov_b32_e32 v4, -1.0
	s_sub_u32 s26, s14, s16
	s_subb_u32 s27, s15, s17
	s_mov_b32 s1, exec_lo
	v_cmpx_gt_i64_e64 s[26:27], v[0:1]
	s_cbranch_execz .LBB72_15
; %bb.14:                               ;   in Loop: Header=BB72_12 Depth=1
	s_lshl_b64 s[26:27], s[16:17], 2
	s_delay_alu instid0(SALU_CYCLE_1)
	v_add_co_u32 v4, vcc_lo, v12, s26
	v_add_co_ci_u32_e32 v5, vcc_lo, s27, v13, vcc_lo
	s_lshl_b64 s[26:27], s[16:17], 3
	global_load_b32 v18, v[4:5], off
	v_add_co_u32 v4, vcc_lo, v14, s26
	v_add_co_ci_u32_e32 v5, vcc_lo, s27, v15, vcc_lo
	global_load_b64 v[4:5], v[4:5], off
	s_waitcnt vmcnt(1)
	v_subrev_nc_u32_e32 v18, s4, v18
.LBB72_15:                              ;   in Loop: Header=BB72_12 Depth=1
	s_or_b32 exec_lo, exec_lo, s1
	ds_store_b32 v9, v18
	s_waitcnt vmcnt(0)
	ds_store_b64 v8, v[4:5]
.LBB72_16:                              ;   in Loop: Header=BB72_12 Depth=1
	s_lshl_b32 s1, s0, 3
	s_lshl_b32 s0, s0, 2
	s_delay_alu instid0(SALU_CYCLE_1)
	v_dual_mov_b32 v4, s1 :: v_dual_mov_b32 v5, s0
	s_waitcnt lgkmcnt(0)
	s_waitcnt_vscnt null, 0x0
	s_barrier
	buffer_gl0_inv
	ds_load_b64 v[18:19], v4
	ds_load_b32 v4, v5 offset:8192
	s_waitcnt lgkmcnt(1)
	v_cmp_eq_f32_e32 vcc_lo, 0, v18
	v_cmp_eq_f32_e64 s0, 0, v19
	s_waitcnt lgkmcnt(0)
	v_readfirstlane_b32 s13, v4
	v_cmp_ne_u32_e64 s1, s22, v4
	s_delay_alu instid0(VALU_DEP_3) | instskip(NEXT) | instid1(VALU_DEP_2)
	s_and_b32 s0, vcc_lo, s0
	s_cmp_eq_u32 s13, s22
	s_cselect_b32 s26, -1, 0
	s_delay_alu instid0(SALU_CYCLE_1) | instskip(NEXT) | instid1(SALU_CYCLE_1)
	s_and_b32 s0, s0, s26
	s_and_b32 s0, s18, s0
	s_delay_alu instid0(SALU_CYCLE_1) | instskip(SKIP_2) | instid1(SALU_CYCLE_1)
	v_cndmask_b32_e64 v4, v19, 0, s0
	v_cndmask_b32_e64 v5, v18, 1.0, s0
	s_and_b32 s23, s3, s0
	s_and_saveexec_b32 s0, s23
	s_cbranch_execz .LBB72_20
; %bb.17:                               ;   in Loop: Header=BB72_12 Depth=1
	v_mbcnt_lo_u32_b32 v4, exec_lo, 0
	s_mov_b32 s23, exec_lo
	s_delay_alu instid0(VALU_DEP_1)
	v_cmpx_eq_u32_e32 0, v4
	s_cbranch_execz .LBB72_19
; %bb.18:                               ;   in Loop: Header=BB72_12 Depth=1
	v_mov_b32_e32 v4, s19
	global_atomic_min_i32 v1, v4, s[8:9]
.LBB72_19:                              ;   in Loop: Header=BB72_12 Depth=1
	s_or_b32 exec_lo, exec_lo, s23
	v_dual_mov_b32 v4, 0 :: v_dual_mov_b32 v5, 1.0
.LBB72_20:                              ;   in Loop: Header=BB72_12 Depth=1
	s_or_b32 exec_lo, exec_lo, s0
	s_cmp_lt_i32 s5, 1
	s_mov_b32 s0, 0
	s_cbranch_scc1 .LBB72_26
; %bb.21:                               ;   in Loop: Header=BB72_12 Depth=1
	s_cmp_eq_u32 s5, 1
	s_cbranch_scc0 .LBB72_27
; %bb.22:                               ;   in Loop: Header=BB72_12 Depth=1
	v_dual_mov_b32 v18, v17 :: v_dual_mov_b32 v19, v16
	s_cmp_ge_i32 s13, s22
	s_mov_b32 s23, 0
	s_cbranch_scc0 .LBB72_29
; %bb.23:                               ;   in Loop: Header=BB72_12 Depth=1
	s_and_b32 vcc_lo, exec_lo, s26
	s_cbranch_vccz .LBB72_28
; %bb.24:                               ;   in Loop: Header=BB72_12 Depth=1
	v_dual_mov_b32 v18, v17 :: v_dual_mov_b32 v19, v16
	s_and_not1_b32 vcc_lo, exec_lo, s18
	s_cbranch_vccnz .LBB72_29
; %bb.25:                               ;   in Loop: Header=BB72_12 Depth=1
	v_mul_f32_e32 v18, v4, v4
	s_delay_alu instid0(VALU_DEP_1) | instskip(NEXT) | instid1(VALU_DEP_1)
	v_fmac_f32_e32 v18, v5, v5
	v_div_scale_f32 v19, null, v18, v18, 1.0
	v_div_scale_f32 v22, vcc_lo, 1.0, v18, 1.0
	s_delay_alu instid0(VALU_DEP_2) | instskip(SKIP_2) | instid1(VALU_DEP_1)
	v_rcp_f32_e32 v20, v19
	s_waitcnt_depctr 0xfff
	v_fma_f32 v21, -v19, v20, 1.0
	v_fmac_f32_e32 v20, v21, v20
	s_delay_alu instid0(VALU_DEP_1) | instskip(NEXT) | instid1(VALU_DEP_1)
	v_mul_f32_e32 v21, v22, v20
	v_fma_f32 v23, -v19, v21, v22
	s_delay_alu instid0(VALU_DEP_1) | instskip(NEXT) | instid1(VALU_DEP_1)
	v_fmac_f32_e32 v21, v23, v20
	v_fma_f32 v19, -v19, v21, v22
	s_delay_alu instid0(VALU_DEP_1) | instskip(SKIP_2) | instid1(VALU_DEP_3)
	v_div_fmas_f32 v19, v19, v20, v21
	v_fma_f32 v20, 0, v4, v5
	v_fma_f32 v21, v5, 0, -v4
	v_div_fixup_f32 v18, v19, v18, 1.0
	s_delay_alu instid0(VALU_DEP_1) | instskip(NEXT) | instid1(VALU_DEP_3)
	v_mul_f32_e32 v19, v20, v18
	v_mul_f32_e32 v18, v21, v18
	s_branch .LBB72_29
.LBB72_26:                              ;   in Loop: Header=BB72_12 Depth=1
	s_mov_b32 s23, 0
                                        ; implicit-def: $sgpr26
                                        ; implicit-def: $vgpr20
                                        ; implicit-def: $vgpr21
                                        ; implicit-def: $vgpr18
                                        ; implicit-def: $vgpr19
	s_cbranch_execnz .LBB72_30
	s_branch .LBB72_32
.LBB72_27:                              ;   in Loop: Header=BB72_12 Depth=1
	s_mov_b32 s23, -1
                                        ; implicit-def: $sgpr26
                                        ; implicit-def: $vgpr20
                                        ; implicit-def: $vgpr21
                                        ; implicit-def: $vgpr18
                                        ; implicit-def: $vgpr19
	s_branch .LBB72_32
.LBB72_28:                              ;   in Loop: Header=BB72_12 Depth=1
	s_mov_b32 s23, -1
                                        ; implicit-def: $vgpr18
                                        ; implicit-def: $vgpr19
.LBB72_29:                              ;   in Loop: Header=BB72_12 Depth=1
	v_dual_mov_b32 v20, v6 :: v_dual_mov_b32 v21, v7
	s_mov_b32 s26, 4
	s_branch .LBB72_32
.LBB72_30:                              ;   in Loop: Header=BB72_12 Depth=1
	s_cmp_eq_u32 s5, 0
	s_cbranch_scc1 .LBB72_36
; %bb.31:                               ;   in Loop: Header=BB72_12 Depth=1
	s_mov_b32 s23, -1
                                        ; implicit-def: $sgpr26
                                        ; implicit-def: $vgpr20
                                        ; implicit-def: $vgpr21
                                        ; implicit-def: $vgpr18
                                        ; implicit-def: $vgpr19
.LBB72_32:                              ;   in Loop: Header=BB72_12 Depth=1
	s_delay_alu instid0(SALU_CYCLE_1)
	s_and_b32 vcc_lo, exec_lo, s23
	s_cbranch_vccnz .LBB72_39
.LBB72_33:                              ;   in Loop: Header=BB72_12 Depth=1
	s_and_b32 vcc_lo, exec_lo, s0
	s_cbranch_vccnz .LBB72_44
.LBB72_34:                              ;   in Loop: Header=BB72_12 Depth=1
	s_cmp_gt_i32 s26, 3
	s_mov_b32 s0, -1
	s_cbranch_scc1 .LBB72_47
.LBB72_35:                              ;   in Loop: Header=BB72_12 Depth=1
	s_cmp_eq_u32 s26, 0
	s_cselect_b32 s1, -1, 0
	s_delay_alu instid0(SALU_CYCLE_1)
	s_and_not1_b32 vcc_lo, exec_lo, s1
	s_cbranch_vccz .LBB72_10
	s_branch .LBB72_48
.LBB72_36:                              ;   in Loop: Header=BB72_12 Depth=1
	s_cmp_le_i32 s13, s22
	s_mov_b32 s23, 0
	s_cbranch_scc0 .LBB72_38
; %bb.37:                               ;   in Loop: Header=BB72_12 Depth=1
	s_mov_b32 s0, -1
	s_mov_b32 s23, s1
.LBB72_38:                              ;   in Loop: Header=BB72_12 Depth=1
	v_dual_mov_b32 v20, v6 :: v_dual_mov_b32 v21, v7
	v_dual_mov_b32 v18, v17 :: v_dual_mov_b32 v19, v16
	s_mov_b32 s26, 2
	s_and_b32 vcc_lo, exec_lo, s23
	s_cbranch_vccz .LBB72_33
.LBB72_39:                              ;   in Loop: Header=BB72_12 Depth=1
	s_and_saveexec_b32 s23, s3
	s_cbranch_execz .LBB72_41
; %bb.40:                               ;   in Loop: Header=BB72_12 Depth=1
	s_add_i32 s0, s13, s7
	s_delay_alu instid0(SALU_CYCLE_1) | instskip(NEXT) | instid1(SALU_CYCLE_1)
	s_ashr_i32 s1, s0, 31
	s_lshl_b64 s[0:1], s[0:1], 2
	s_delay_alu instid0(SALU_CYCLE_1)
	s_add_u32 s0, s10, s0
	s_addc_u32 s1, s11, s1
	global_load_b32 v18, v1, s[0:1] glc
	s_waitcnt vmcnt(0)
	v_cmp_ne_u32_e32 vcc_lo, 0, v18
	s_cbranch_vccz .LBB72_49
.LBB72_41:                              ;   in Loop: Header=BB72_12 Depth=1
	s_or_b32 exec_lo, exec_lo, s23
	v_dual_mov_b32 v20, 0 :: v_dual_mov_b32 v21, 0
	s_mov_b32 s0, 0
	s_waitcnt_vscnt null, 0x0
	s_barrier
	buffer_gl0_inv
	buffer_gl1_inv
	buffer_gl0_inv
	s_and_saveexec_b32 s1, s2
	s_cbranch_execz .LBB72_43
; %bb.42:                               ;   in Loop: Header=BB72_12 Depth=1
	s_mul_i32 s23, s13, s25
	s_mul_hi_u32 s26, s13, s24
	s_ashr_i32 s27, s13, 31
	s_add_i32 s23, s26, s23
	s_mul_i32 s27, s27, s24
	s_mul_i32 s26, s13, s24
	s_add_i32 s27, s23, s27
	s_delay_alu instid0(SALU_CYCLE_1) | instskip(NEXT) | instid1(SALU_CYCLE_1)
	s_lshl_b64 s[26:27], s[26:27], 3
	v_add_co_u32 v18, vcc_lo, v10, s26
	v_add_co_ci_u32_e32 v19, vcc_lo, s27, v11, vcc_lo
	global_load_b64 v[18:19], v[18:19], off
	s_waitcnt vmcnt(0)
	v_fma_f32 v21, -v5, v18, v7
	v_fma_f32 v18, -v4, v18, v6
	s_delay_alu instid0(VALU_DEP_2) | instskip(NEXT) | instid1(VALU_DEP_2)
	v_fmac_f32_e32 v21, v4, v19
	v_fma_f32 v20, -v5, v19, v18
.LBB72_43:                              ;   in Loop: Header=BB72_12 Depth=1
	s_or_b32 exec_lo, exec_lo, s1
	v_dual_mov_b32 v18, v17 :: v_dual_mov_b32 v19, v16
	s_mov_b32 s26, 0
	s_and_b32 vcc_lo, exec_lo, s0
	s_cbranch_vccz .LBB72_34
.LBB72_44:                              ;   in Loop: Header=BB72_12 Depth=1
	s_and_not1_b32 vcc_lo, exec_lo, s18
	s_cbranch_vccnz .LBB72_46
; %bb.45:                               ;   in Loop: Header=BB72_12 Depth=1
	v_mul_f32_e32 v16, v4, v4
	s_delay_alu instid0(VALU_DEP_1) | instskip(NEXT) | instid1(VALU_DEP_1)
	v_fmac_f32_e32 v16, v5, v5
	v_div_scale_f32 v17, null, v16, v16, 1.0
	v_div_scale_f32 v20, vcc_lo, 1.0, v16, 1.0
	s_delay_alu instid0(VALU_DEP_2) | instskip(SKIP_2) | instid1(VALU_DEP_1)
	v_rcp_f32_e32 v18, v17
	s_waitcnt_depctr 0xfff
	v_fma_f32 v19, -v17, v18, 1.0
	v_fmac_f32_e32 v18, v19, v18
	s_delay_alu instid0(VALU_DEP_1) | instskip(NEXT) | instid1(VALU_DEP_1)
	v_mul_f32_e32 v19, v20, v18
	v_fma_f32 v21, -v17, v19, v20
	s_delay_alu instid0(VALU_DEP_1) | instskip(NEXT) | instid1(VALU_DEP_1)
	v_fmac_f32_e32 v19, v21, v18
	v_fma_f32 v17, -v17, v19, v20
	s_delay_alu instid0(VALU_DEP_1) | instskip(SKIP_2) | instid1(VALU_DEP_3)
	v_div_fmas_f32 v17, v17, v18, v19
	v_fma_f32 v18, 0, v4, v5
	v_fma_f32 v4, v5, 0, -v4
	v_div_fixup_f32 v17, v17, v16, 1.0
	s_delay_alu instid0(VALU_DEP_1) | instskip(NEXT) | instid1(VALU_DEP_3)
	v_mul_f32_e32 v16, v18, v17
	v_mul_f32_e32 v17, v4, v17
.LBB72_46:                              ;   in Loop: Header=BB72_12 Depth=1
	s_delay_alu instid0(VALU_DEP_1) | instskip(SKIP_2) | instid1(SALU_CYCLE_1)
	v_dual_mov_b32 v19, v16 :: v_dual_mov_b32 v18, v17
	v_dual_mov_b32 v21, v7 :: v_dual_mov_b32 v20, v6
	s_mov_b32 s26, 2
	s_cmp_gt_i32 s26, 3
	s_mov_b32 s0, -1
	s_cbranch_scc0 .LBB72_35
.LBB72_47:                              ;   in Loop: Header=BB72_12 Depth=1
	s_branch .LBB72_10
.LBB72_48:                              ;   in Loop: Header=BB72_12 Depth=1
                                        ; implicit-def: $sgpr16_sgpr17
	s_branch .LBB72_11
.LBB72_49:                              ;   in Loop: Header=BB72_12 Depth=1
	s_mov_b32 s26, 0
	s_branch .LBB72_51
	.p2align	6
.LBB72_50:                              ;   in Loop: Header=BB72_51 Depth=2
	global_load_b32 v18, v1, s[0:1] glc
	s_cmpk_lt_u32 s26, 0xf43
	s_cselect_b32 s27, -1, 0
	s_delay_alu instid0(SALU_CYCLE_1)
	s_cmp_lg_u32 s27, 0
	s_addc_u32 s26, s26, 0
	s_waitcnt vmcnt(0)
	v_cmp_ne_u32_e32 vcc_lo, 0, v18
	s_cbranch_vccnz .LBB72_41
.LBB72_51:                              ;   Parent Loop BB72_12 Depth=1
                                        ; =>  This Loop Header: Depth=2
                                        ;       Child Loop BB72_52 Depth 3
	s_cmp_eq_u32 s26, 0
	s_mov_b32 s27, s26
	s_cbranch_scc1 .LBB72_50
.LBB72_52:                              ;   Parent Loop BB72_12 Depth=1
                                        ;     Parent Loop BB72_51 Depth=2
                                        ; =>    This Inner Loop Header: Depth=3
	s_add_i32 s27, s27, -1
	s_sleep 1
	s_cmp_eq_u32 s27, 0
	s_cbranch_scc0 .LBB72_52
	s_branch .LBB72_50
.LBB72_53:
                                        ; implicit-def: $vgpr6
                                        ; implicit-def: $vgpr7
	s_load_b64 s[10:11], s[0:1], 0x40
.LBB72_54:
	v_dual_mov_b32 v6, 0 :: v_dual_mov_b32 v7, 0
	s_delay_alu instid0(VALU_DEP_2)
	s_and_saveexec_b32 s3, s2
	s_cbranch_execz .LBB72_56
; %bb.55:
	v_lshlrev_b64 v[6:7], 3, v[2:3]
	s_delay_alu instid0(VALU_DEP_1) | instskip(NEXT) | instid1(VALU_DEP_2)
	v_add_co_u32 v6, vcc_lo, s20, v6
	v_add_co_ci_u32_e32 v7, vcc_lo, s21, v7, vcc_lo
	global_load_b64 v[8:9], v[6:7], off
	s_waitcnt vmcnt(0)
	v_mul_f32_e64 v6, s26, -v9
	s_delay_alu instid0(VALU_DEP_1) | instskip(NEXT) | instid1(VALU_DEP_1)
	v_dual_mul_f32 v7, s9, v9 :: v_dual_fmac_f32 v6, s9, v8
	v_fmac_f32_e32 v7, s26, v8
.LBB72_56:
	s_or_b32 exec_lo, exec_lo, s3
	s_waitcnt lgkmcnt(0)
	v_cmp_ge_i64_e64 s3, s[12:13], s[14:15]
	s_delay_alu instid0(VALU_DEP_1)
	s_and_b32 vcc_lo, exec_lo, s3
	v_cmp_eq_u32_e64 s3, 0, v0
	s_cbranch_vccz .LBB72_9
.LBB72_57:
	v_dual_mov_b32 v18, 0 :: v_dual_mov_b32 v19, 1.0
	s_and_saveexec_b32 s0, s2
	s_cbranch_execnz .LBB72_59
	s_branch .LBB72_60
.LBB72_58:
	v_dual_mov_b32 v6, v20 :: v_dual_mov_b32 v7, v21
	s_and_saveexec_b32 s0, s2
	s_cbranch_execz .LBB72_60
.LBB72_59:
	v_lshlrev_b64 v[1:2], 3, v[2:3]
	s_delay_alu instid0(VALU_DEP_2) | instskip(SKIP_1) | instid1(VALU_DEP_2)
	v_mul_f32_e64 v5, v18, -v6
	s_cmp_eq_u32 s6, 0
	v_add_co_u32 v1, vcc_lo, s20, v1
	s_delay_alu instid0(VALU_DEP_3) | instskip(SKIP_2) | instid1(VALU_DEP_1)
	v_add_co_ci_u32_e32 v2, vcc_lo, s21, v2, vcc_lo
	s_cselect_b32 vcc_lo, -1, 0
	v_fmac_f32_e32 v5, v7, v19
	v_dual_mul_f32 v4, v18, v7 :: v_dual_cndmask_b32 v3, v7, v5
	s_delay_alu instid0(VALU_DEP_1) | instskip(NEXT) | instid1(VALU_DEP_1)
	v_fmac_f32_e32 v4, v6, v19
	v_cndmask_b32_e32 v4, v6, v4, vcc_lo
	global_store_b64 v[1:2], v[3:4], off
.LBB72_60:
	s_or_b32 exec_lo, exec_lo, s0
	s_waitcnt_vscnt null, 0x0
	buffer_gl1_inv
	buffer_gl0_inv
	s_barrier
	buffer_gl0_inv
	s_mov_b32 s0, exec_lo
	v_cmpx_eq_u32_e32 0, v0
	s_cbranch_execz .LBB72_62
; %bb.61:
	s_add_i32 s0, s22, s7
	v_dual_mov_b32 v0, 0 :: v_dual_mov_b32 v1, 1
	s_ashr_i32 s1, s0, 31
	s_delay_alu instid0(SALU_CYCLE_1) | instskip(NEXT) | instid1(SALU_CYCLE_1)
	s_lshl_b64 s[0:1], s[0:1], 2
	s_add_u32 s0, s10, s0
	s_addc_u32 s1, s11, s1
	global_store_b32 v0, v1, s[0:1]
.LBB72_62:
	s_nop 0
	s_sendmsg sendmsg(MSG_DEALLOC_VGPRS)
	s_endpgm
	.section	.rodata,"a",@progbits
	.p2align	6, 0x0
	.amdhsa_kernel _ZN9rocsparseL5csrsmILj1024ELj64ELb1Eli21rocsparse_complex_numIfEEEv20rocsparse_operation_T3_S4_NS_24const_host_device_scalarIT4_EEPKT2_PKS4_PKS6_PS6_lPiSC_PS4_21rocsparse_index_base_20rocsparse_fill_mode_20rocsparse_diag_type_b
		.amdhsa_group_segment_fixed_size 12288
		.amdhsa_private_segment_fixed_size 0
		.amdhsa_kernarg_size 104
		.amdhsa_user_sgpr_count 15
		.amdhsa_user_sgpr_dispatch_ptr 0
		.amdhsa_user_sgpr_queue_ptr 0
		.amdhsa_user_sgpr_kernarg_segment_ptr 1
		.amdhsa_user_sgpr_dispatch_id 0
		.amdhsa_user_sgpr_private_segment_size 0
		.amdhsa_wavefront_size32 1
		.amdhsa_uses_dynamic_stack 0
		.amdhsa_enable_private_segment 0
		.amdhsa_system_sgpr_workgroup_id_x 1
		.amdhsa_system_sgpr_workgroup_id_y 0
		.amdhsa_system_sgpr_workgroup_id_z 0
		.amdhsa_system_sgpr_workgroup_info 0
		.amdhsa_system_vgpr_workitem_id 0
		.amdhsa_next_free_vgpr 24
		.amdhsa_next_free_sgpr 28
		.amdhsa_reserve_vcc 1
		.amdhsa_float_round_mode_32 0
		.amdhsa_float_round_mode_16_64 0
		.amdhsa_float_denorm_mode_32 3
		.amdhsa_float_denorm_mode_16_64 3
		.amdhsa_dx10_clamp 1
		.amdhsa_ieee_mode 1
		.amdhsa_fp16_overflow 0
		.amdhsa_workgroup_processor_mode 1
		.amdhsa_memory_ordered 1
		.amdhsa_forward_progress 0
		.amdhsa_shared_vgpr_count 0
		.amdhsa_exception_fp_ieee_invalid_op 0
		.amdhsa_exception_fp_denorm_src 0
		.amdhsa_exception_fp_ieee_div_zero 0
		.amdhsa_exception_fp_ieee_overflow 0
		.amdhsa_exception_fp_ieee_underflow 0
		.amdhsa_exception_fp_ieee_inexact 0
		.amdhsa_exception_int_div_zero 0
	.end_amdhsa_kernel
	.section	.text._ZN9rocsparseL5csrsmILj1024ELj64ELb1Eli21rocsparse_complex_numIfEEEv20rocsparse_operation_T3_S4_NS_24const_host_device_scalarIT4_EEPKT2_PKS4_PKS6_PS6_lPiSC_PS4_21rocsparse_index_base_20rocsparse_fill_mode_20rocsparse_diag_type_b,"axG",@progbits,_ZN9rocsparseL5csrsmILj1024ELj64ELb1Eli21rocsparse_complex_numIfEEEv20rocsparse_operation_T3_S4_NS_24const_host_device_scalarIT4_EEPKT2_PKS4_PKS6_PS6_lPiSC_PS4_21rocsparse_index_base_20rocsparse_fill_mode_20rocsparse_diag_type_b,comdat
.Lfunc_end72:
	.size	_ZN9rocsparseL5csrsmILj1024ELj64ELb1Eli21rocsparse_complex_numIfEEEv20rocsparse_operation_T3_S4_NS_24const_host_device_scalarIT4_EEPKT2_PKS4_PKS6_PS6_lPiSC_PS4_21rocsparse_index_base_20rocsparse_fill_mode_20rocsparse_diag_type_b, .Lfunc_end72-_ZN9rocsparseL5csrsmILj1024ELj64ELb1Eli21rocsparse_complex_numIfEEEv20rocsparse_operation_T3_S4_NS_24const_host_device_scalarIT4_EEPKT2_PKS4_PKS6_PS6_lPiSC_PS4_21rocsparse_index_base_20rocsparse_fill_mode_20rocsparse_diag_type_b
                                        ; -- End function
	.section	.AMDGPU.csdata,"",@progbits
; Kernel info:
; codeLenInByte = 2212
; NumSgprs: 30
; NumVgprs: 24
; ScratchSize: 0
; MemoryBound: 0
; FloatMode: 240
; IeeeMode: 1
; LDSByteSize: 12288 bytes/workgroup (compile time only)
; SGPRBlocks: 3
; VGPRBlocks: 2
; NumSGPRsForWavesPerEU: 30
; NumVGPRsForWavesPerEU: 24
; Occupancy: 16
; WaveLimiterHint : 1
; COMPUTE_PGM_RSRC2:SCRATCH_EN: 0
; COMPUTE_PGM_RSRC2:USER_SGPR: 15
; COMPUTE_PGM_RSRC2:TRAP_HANDLER: 0
; COMPUTE_PGM_RSRC2:TGID_X_EN: 1
; COMPUTE_PGM_RSRC2:TGID_Y_EN: 0
; COMPUTE_PGM_RSRC2:TGID_Z_EN: 0
; COMPUTE_PGM_RSRC2:TIDIG_COMP_CNT: 0
	.section	.text._ZN9rocsparseL5csrsmILj1024ELj64ELb0Eli21rocsparse_complex_numIfEEEv20rocsparse_operation_T3_S4_NS_24const_host_device_scalarIT4_EEPKT2_PKS4_PKS6_PS6_lPiSC_PS4_21rocsparse_index_base_20rocsparse_fill_mode_20rocsparse_diag_type_b,"axG",@progbits,_ZN9rocsparseL5csrsmILj1024ELj64ELb0Eli21rocsparse_complex_numIfEEEv20rocsparse_operation_T3_S4_NS_24const_host_device_scalarIT4_EEPKT2_PKS4_PKS6_PS6_lPiSC_PS4_21rocsparse_index_base_20rocsparse_fill_mode_20rocsparse_diag_type_b,comdat
	.globl	_ZN9rocsparseL5csrsmILj1024ELj64ELb0Eli21rocsparse_complex_numIfEEEv20rocsparse_operation_T3_S4_NS_24const_host_device_scalarIT4_EEPKT2_PKS4_PKS6_PS6_lPiSC_PS4_21rocsparse_index_base_20rocsparse_fill_mode_20rocsparse_diag_type_b ; -- Begin function _ZN9rocsparseL5csrsmILj1024ELj64ELb0Eli21rocsparse_complex_numIfEEEv20rocsparse_operation_T3_S4_NS_24const_host_device_scalarIT4_EEPKT2_PKS4_PKS6_PS6_lPiSC_PS4_21rocsparse_index_base_20rocsparse_fill_mode_20rocsparse_diag_type_b
	.p2align	8
	.type	_ZN9rocsparseL5csrsmILj1024ELj64ELb0Eli21rocsparse_complex_numIfEEEv20rocsparse_operation_T3_S4_NS_24const_host_device_scalarIT4_EEPKT2_PKS4_PKS6_PS6_lPiSC_PS4_21rocsparse_index_base_20rocsparse_fill_mode_20rocsparse_diag_type_b,@function
_ZN9rocsparseL5csrsmILj1024ELj64ELb0Eli21rocsparse_complex_numIfEEEv20rocsparse_operation_T3_S4_NS_24const_host_device_scalarIT4_EEPKT2_PKS4_PKS6_PS6_lPiSC_PS4_21rocsparse_index_base_20rocsparse_fill_mode_20rocsparse_diag_type_b: ; @_ZN9rocsparseL5csrsmILj1024ELj64ELb0Eli21rocsparse_complex_numIfEEEv20rocsparse_operation_T3_S4_NS_24const_host_device_scalarIT4_EEPKT2_PKS4_PKS6_PS6_lPiSC_PS4_21rocsparse_index_base_20rocsparse_fill_mode_20rocsparse_diag_type_b
; %bb.0:
	s_clause 0x2
	s_load_b128 s[4:7], s[0:1], 0x58
	s_load_b128 s[8:11], s[0:1], 0x10
	s_load_b64 s[2:3], s[0:1], 0x48
	s_waitcnt lgkmcnt(0)
	s_bitcmp1_b32 s7, 0
	s_mov_b32 s26, s8
	s_cselect_b32 s12, -1, 0
	s_delay_alu instid0(SALU_CYCLE_1)
	s_xor_b32 s7, s12, -1
	s_and_b32 vcc_lo, exec_lo, s12
	s_cbranch_vccnz .LBB73_2
; %bb.1:
	s_load_b32 s26, s[8:9], 0x0
.LBB73_2:
	s_load_b64 s[20:21], s[0:1], 0x30
	s_and_not1_b32 vcc_lo, exec_lo, s7
	s_cbranch_vccnz .LBB73_4
; %bb.3:
	s_load_b32 s9, s[8:9], 0x4
.LBB73_4:
	s_clause 0x1
	s_load_b128 s[16:19], s[0:1], 0x0
	s_load_b64 s[24:25], s[0:1], 0x38
	s_waitcnt lgkmcnt(0)
	v_cvt_f32_u32_e32 v1, s17
	s_sub_i32 s8, 0, s17
	s_delay_alu instid0(VALU_DEP_1) | instskip(SKIP_2) | instid1(VALU_DEP_1)
	v_rcp_iflag_f32_e32 v1, v1
	s_waitcnt_depctr 0xfff
	v_mul_f32_e32 v1, 0x4f7ffffe, v1
	v_cvt_u32_f32_e32 v1, v1
	s_delay_alu instid0(VALU_DEP_1) | instskip(NEXT) | instid1(VALU_DEP_1)
	v_readfirstlane_b32 s7, v1
	s_mul_i32 s8, s8, s7
	s_delay_alu instid0(SALU_CYCLE_1) | instskip(NEXT) | instid1(SALU_CYCLE_1)
	s_mul_hi_u32 s8, s7, s8
	s_add_i32 s7, s7, s8
	s_delay_alu instid0(SALU_CYCLE_1) | instskip(NEXT) | instid1(SALU_CYCLE_1)
	s_mul_hi_u32 s7, s15, s7
	s_mul_i32 s8, s7, s17
	s_add_i32 s12, s7, 1
	s_sub_i32 s8, s15, s8
	s_delay_alu instid0(SALU_CYCLE_1)
	s_sub_i32 s13, s8, s17
	s_cmp_ge_u32 s8, s17
	s_cselect_b32 s7, s12, s7
	s_cselect_b32 s8, s13, s8
	s_add_i32 s12, s7, 1
	s_cmp_ge_u32 s8, s17
	s_cselect_b32 s8, s12, s7
	s_delay_alu instid0(SALU_CYCLE_1) | instskip(SKIP_2) | instid1(SALU_CYCLE_1)
	s_mul_i32 s7, s8, s17
	v_lshl_or_b32 v4, s8, 10, v0
	s_sub_i32 s12, s15, s7
	s_ashr_i32 s13, s12, 31
	s_delay_alu instid0(VALU_DEP_1) | instskip(SKIP_1) | instid1(SALU_CYCLE_1)
	v_ashrrev_i32_e32 v5, 31, v4
	s_lshl_b64 s[12:13], s[12:13], 2
	s_add_u32 s2, s2, s12
	s_addc_u32 s3, s3, s13
	s_load_b32 s22, s[2:3], 0x0
	s_waitcnt lgkmcnt(0)
	s_ashr_i32 s23, s22, 31
	v_mad_u64_u32 v[2:3], null, s22, s24, v[4:5]
	s_lshl_b64 s[2:3], s[22:23], 3
	s_delay_alu instid0(SALU_CYCLE_1)
	s_add_u32 s2, s10, s2
	s_addc_u32 s3, s11, s3
	s_cmpk_lg_i32 s16, 0x71
	s_load_b128 s[12:15], s[2:3], 0x0
	s_mul_i32 s2, s23, s24
	s_mul_i32 s3, s22, s25
	s_delay_alu instid0(SALU_CYCLE_1)
	v_add3_u32 v3, s3, s2, v3
	v_cmp_gt_i32_e64 s2, s18, v4
	s_cbranch_scc0 .LBB73_50
; %bb.5:
	v_dual_mov_b32 v6, 0 :: v_dual_mov_b32 v7, 0
	s_mov_b32 s3, 0
	s_delay_alu instid0(VALU_DEP_2)
	s_and_saveexec_b32 s8, s2
	s_cbranch_execz .LBB73_7
; %bb.6:
	v_lshlrev_b64 v[6:7], 3, v[2:3]
	s_delay_alu instid0(VALU_DEP_1) | instskip(NEXT) | instid1(VALU_DEP_2)
	v_add_co_u32 v6, vcc_lo, s20, v6
	v_add_co_ci_u32_e32 v7, vcc_lo, s21, v7, vcc_lo
	global_load_b64 v[8:9], v[6:7], off
	s_waitcnt vmcnt(0)
	v_mul_f32_e64 v7, v9, -s9
	s_delay_alu instid0(VALU_DEP_1) | instskip(NEXT) | instid1(VALU_DEP_1)
	v_dual_mul_f32 v6, s26, v9 :: v_dual_fmac_f32 v7, s26, v8
	v_fmac_f32_e32 v6, s9, v8
.LBB73_7:
	s_or_b32 exec_lo, exec_lo, s8
	s_load_b64 s[10:11], s[0:1], 0x40
	s_and_not1_b32 vcc_lo, exec_lo, s3
	s_cbranch_vccz .LBB73_51
; %bb.8:
	s_waitcnt lgkmcnt(0)
	v_cmp_ge_i64_e64 s3, s[12:13], s[14:15]
	s_delay_alu instid0(VALU_DEP_1)
	s_and_b32 vcc_lo, exec_lo, s3
	v_cmp_eq_u32_e64 s3, 0, v0
	s_cbranch_vccnz .LBB73_54
.LBB73_9:
	s_clause 0x1
	s_load_b128 s[16:19], s[0:1], 0x20
	s_load_b64 s[8:9], s[0:1], 0x50
	v_dual_mov_b32 v1, 0 :: v_dual_lshlrev_b32 v12, 2, v0
	v_lshlrev_b64 v[4:5], 3, v[4:5]
	v_lshlrev_b32_e32 v8, 3, v0
	s_sub_u32 s12, s12, s4
	s_delay_alu instid0(VALU_DEP_3)
	v_mov_b32_e32 v17, v1
	v_or_b32_e32 v9, 0x2000, v12
	s_subb_u32 s13, s13, 0
	v_add_co_u32 v10, vcc_lo, s20, v4
	s_sub_u32 s14, s14, s4
	s_subb_u32 s15, s15, 0
	v_add_co_ci_u32_e32 v11, vcc_lo, s21, v5, vcc_lo
	v_mov_b32_e32 v16, 1.0
	s_cmp_eq_u32 s6, 0
	s_waitcnt lgkmcnt(0)
	v_add_co_u32 v12, s0, s16, v12
	s_delay_alu instid0(VALU_DEP_1) | instskip(SKIP_1) | instid1(VALU_DEP_1)
	v_add_co_ci_u32_e64 v13, null, s17, 0, s0
	v_add_co_u32 v14, s0, s18, v8
	v_add_co_ci_u32_e64 v15, null, s19, 0, s0
	s_cselect_b32 s18, -1, 0
	s_add_i32 s19, s22, s4
	s_mov_b64 s[16:17], s[12:13]
	s_branch .LBB73_12
.LBB73_10:                              ;   in Loop: Header=BB73_12 Depth=1
	s_add_u32 s16, s16, 1
	s_addc_u32 s17, s17, 0
	s_delay_alu instid0(SALU_CYCLE_1)
	v_cmp_ge_i64_e64 s0, s[16:17], s[14:15]
.LBB73_11:                              ;   in Loop: Header=BB73_12 Depth=1
	v_dual_mov_b32 v6, v20 :: v_dual_mov_b32 v7, v21
	v_dual_mov_b32 v17, v18 :: v_dual_mov_b32 v16, v19
	s_delay_alu instid0(VALU_DEP_3)
	s_and_not1_b32 vcc_lo, exec_lo, s0
	s_cbranch_vccz .LBB73_55
.LBB73_12:                              ; =>This Loop Header: Depth=1
                                        ;     Child Loop BB73_41 Depth 2
	s_sub_i32 s0, s16, s12
	s_delay_alu instid0(SALU_CYCLE_1) | instskip(NEXT) | instid1(SALU_CYCLE_1)
	s_and_b32 s0, s0, 0x3ff
	s_cmp_lg_u32 s0, 0
	s_cbranch_scc1 .LBB73_16
; %bb.13:                               ;   in Loop: Header=BB73_12 Depth=1
	v_dual_mov_b32 v18, -1 :: v_dual_mov_b32 v5, 0
	v_mov_b32_e32 v4, -1.0
	s_sub_u32 s26, s14, s16
	s_subb_u32 s27, s15, s17
	s_mov_b32 s1, exec_lo
	v_cmpx_gt_i64_e64 s[26:27], v[0:1]
	s_cbranch_execz .LBB73_15
; %bb.14:                               ;   in Loop: Header=BB73_12 Depth=1
	s_lshl_b64 s[26:27], s[16:17], 2
	s_delay_alu instid0(SALU_CYCLE_1)
	v_add_co_u32 v4, vcc_lo, v12, s26
	v_add_co_ci_u32_e32 v5, vcc_lo, s27, v13, vcc_lo
	s_lshl_b64 s[26:27], s[16:17], 3
	global_load_b32 v18, v[4:5], off
	v_add_co_u32 v4, vcc_lo, v14, s26
	v_add_co_ci_u32_e32 v5, vcc_lo, s27, v15, vcc_lo
	global_load_b64 v[4:5], v[4:5], off
	s_waitcnt vmcnt(1)
	v_subrev_nc_u32_e32 v18, s4, v18
.LBB73_15:                              ;   in Loop: Header=BB73_12 Depth=1
	s_or_b32 exec_lo, exec_lo, s1
	ds_store_b32 v9, v18
	s_waitcnt vmcnt(0)
	ds_store_b64 v8, v[4:5]
.LBB73_16:                              ;   in Loop: Header=BB73_12 Depth=1
	s_lshl_b32 s1, s0, 3
	s_lshl_b32 s0, s0, 2
	s_delay_alu instid0(SALU_CYCLE_1)
	v_dual_mov_b32 v4, s1 :: v_dual_mov_b32 v5, s0
	s_waitcnt lgkmcnt(0)
	s_waitcnt_vscnt null, 0x0
	s_barrier
	buffer_gl0_inv
	ds_load_b64 v[18:19], v4
	ds_load_b32 v4, v5 offset:8192
	s_waitcnt lgkmcnt(1)
	v_cmp_eq_f32_e32 vcc_lo, 0, v18
	v_cmp_eq_f32_e64 s0, 0, v19
	s_waitcnt lgkmcnt(0)
	v_readfirstlane_b32 s13, v4
	v_cmp_ne_u32_e64 s1, s22, v4
	s_delay_alu instid0(VALU_DEP_3) | instskip(NEXT) | instid1(VALU_DEP_2)
	s_and_b32 s0, vcc_lo, s0
	s_cmp_eq_u32 s13, s22
	s_cselect_b32 s26, -1, 0
	s_delay_alu instid0(SALU_CYCLE_1) | instskip(NEXT) | instid1(SALU_CYCLE_1)
	s_and_b32 s0, s0, s26
	s_and_b32 s0, s18, s0
	s_delay_alu instid0(SALU_CYCLE_1) | instskip(SKIP_2) | instid1(SALU_CYCLE_1)
	v_cndmask_b32_e64 v4, v19, 0, s0
	v_cndmask_b32_e64 v5, v18, 1.0, s0
	s_and_b32 s23, s3, s0
	s_and_saveexec_b32 s0, s23
	s_cbranch_execz .LBB73_20
; %bb.17:                               ;   in Loop: Header=BB73_12 Depth=1
	v_mbcnt_lo_u32_b32 v4, exec_lo, 0
	s_mov_b32 s23, exec_lo
	s_delay_alu instid0(VALU_DEP_1)
	v_cmpx_eq_u32_e32 0, v4
	s_cbranch_execz .LBB73_19
; %bb.18:                               ;   in Loop: Header=BB73_12 Depth=1
	v_mov_b32_e32 v4, s19
	global_atomic_min_i32 v1, v4, s[8:9]
.LBB73_19:                              ;   in Loop: Header=BB73_12 Depth=1
	s_or_b32 exec_lo, exec_lo, s23
	v_dual_mov_b32 v4, 0 :: v_dual_mov_b32 v5, 1.0
.LBB73_20:                              ;   in Loop: Header=BB73_12 Depth=1
	s_or_b32 exec_lo, exec_lo, s0
	s_cmp_lt_i32 s5, 1
	s_mov_b32 s0, 0
	s_cbranch_scc1 .LBB73_26
; %bb.21:                               ;   in Loop: Header=BB73_12 Depth=1
	s_cmp_eq_u32 s5, 1
	s_cbranch_scc0 .LBB73_27
; %bb.22:                               ;   in Loop: Header=BB73_12 Depth=1
	v_dual_mov_b32 v18, v17 :: v_dual_mov_b32 v19, v16
	s_cmp_ge_i32 s13, s22
	s_mov_b32 s23, 0
	s_cbranch_scc0 .LBB73_29
; %bb.23:                               ;   in Loop: Header=BB73_12 Depth=1
	s_and_b32 vcc_lo, exec_lo, s26
	s_cbranch_vccz .LBB73_28
; %bb.24:                               ;   in Loop: Header=BB73_12 Depth=1
	v_dual_mov_b32 v18, v17 :: v_dual_mov_b32 v19, v16
	s_and_not1_b32 vcc_lo, exec_lo, s18
	s_cbranch_vccnz .LBB73_29
; %bb.25:                               ;   in Loop: Header=BB73_12 Depth=1
	v_mul_f32_e32 v18, v4, v4
	s_delay_alu instid0(VALU_DEP_1) | instskip(NEXT) | instid1(VALU_DEP_1)
	v_fmac_f32_e32 v18, v5, v5
	v_div_scale_f32 v19, null, v18, v18, 1.0
	v_div_scale_f32 v22, vcc_lo, 1.0, v18, 1.0
	s_delay_alu instid0(VALU_DEP_2) | instskip(SKIP_2) | instid1(VALU_DEP_1)
	v_rcp_f32_e32 v20, v19
	s_waitcnt_depctr 0xfff
	v_fma_f32 v21, -v19, v20, 1.0
	v_fmac_f32_e32 v20, v21, v20
	s_delay_alu instid0(VALU_DEP_1) | instskip(NEXT) | instid1(VALU_DEP_1)
	v_mul_f32_e32 v21, v22, v20
	v_fma_f32 v23, -v19, v21, v22
	s_delay_alu instid0(VALU_DEP_1) | instskip(NEXT) | instid1(VALU_DEP_1)
	v_fmac_f32_e32 v21, v23, v20
	v_fma_f32 v19, -v19, v21, v22
	s_delay_alu instid0(VALU_DEP_1) | instskip(SKIP_2) | instid1(VALU_DEP_3)
	v_div_fmas_f32 v19, v19, v20, v21
	v_fma_f32 v20, 0, v4, v5
	v_fma_f32 v21, v5, 0, -v4
	v_div_fixup_f32 v18, v19, v18, 1.0
	s_delay_alu instid0(VALU_DEP_1) | instskip(NEXT) | instid1(VALU_DEP_3)
	v_mul_f32_e32 v19, v20, v18
	v_mul_f32_e32 v18, v21, v18
	s_branch .LBB73_29
.LBB73_26:                              ;   in Loop: Header=BB73_12 Depth=1
	s_mov_b32 s23, 0
                                        ; implicit-def: $sgpr26
                                        ; implicit-def: $vgpr20
                                        ; implicit-def: $vgpr21
                                        ; implicit-def: $vgpr18
                                        ; implicit-def: $vgpr19
	s_cbranch_execnz .LBB73_30
	s_branch .LBB73_32
.LBB73_27:                              ;   in Loop: Header=BB73_12 Depth=1
	s_mov_b32 s23, -1
                                        ; implicit-def: $sgpr26
                                        ; implicit-def: $vgpr20
                                        ; implicit-def: $vgpr21
                                        ; implicit-def: $vgpr18
                                        ; implicit-def: $vgpr19
	s_branch .LBB73_32
.LBB73_28:                              ;   in Loop: Header=BB73_12 Depth=1
	s_mov_b32 s23, -1
                                        ; implicit-def: $vgpr18
                                        ; implicit-def: $vgpr19
.LBB73_29:                              ;   in Loop: Header=BB73_12 Depth=1
	v_dual_mov_b32 v20, v6 :: v_dual_mov_b32 v21, v7
	s_mov_b32 s26, 4
	s_branch .LBB73_32
.LBB73_30:                              ;   in Loop: Header=BB73_12 Depth=1
	s_cmp_eq_u32 s5, 0
	s_cbranch_scc1 .LBB73_36
; %bb.31:                               ;   in Loop: Header=BB73_12 Depth=1
	s_mov_b32 s23, -1
                                        ; implicit-def: $sgpr26
                                        ; implicit-def: $vgpr20
                                        ; implicit-def: $vgpr21
                                        ; implicit-def: $vgpr18
                                        ; implicit-def: $vgpr19
.LBB73_32:                              ;   in Loop: Header=BB73_12 Depth=1
	s_delay_alu instid0(SALU_CYCLE_1)
	s_and_b32 vcc_lo, exec_lo, s23
	s_cbranch_vccnz .LBB73_39
.LBB73_33:                              ;   in Loop: Header=BB73_12 Depth=1
	s_and_b32 vcc_lo, exec_lo, s0
	s_cbranch_vccnz .LBB73_45
.LBB73_34:                              ;   in Loop: Header=BB73_12 Depth=1
	s_cmp_gt_i32 s26, 3
	s_mov_b32 s0, -1
	s_cbranch_scc1 .LBB73_48
.LBB73_35:                              ;   in Loop: Header=BB73_12 Depth=1
	s_cmp_eq_u32 s26, 0
	s_cselect_b32 s1, -1, 0
	s_delay_alu instid0(SALU_CYCLE_1)
	s_and_not1_b32 vcc_lo, exec_lo, s1
	s_cbranch_vccz .LBB73_10
	s_branch .LBB73_49
.LBB73_36:                              ;   in Loop: Header=BB73_12 Depth=1
	s_cmp_le_i32 s13, s22
	s_mov_b32 s23, 0
	s_cbranch_scc0 .LBB73_38
; %bb.37:                               ;   in Loop: Header=BB73_12 Depth=1
	s_mov_b32 s0, -1
	s_mov_b32 s23, s1
.LBB73_38:                              ;   in Loop: Header=BB73_12 Depth=1
	v_dual_mov_b32 v20, v6 :: v_dual_mov_b32 v21, v7
	v_dual_mov_b32 v18, v17 :: v_dual_mov_b32 v19, v16
	s_mov_b32 s26, 2
	s_and_b32 vcc_lo, exec_lo, s23
	s_cbranch_vccz .LBB73_33
.LBB73_39:                              ;   in Loop: Header=BB73_12 Depth=1
	s_and_saveexec_b32 s23, s3
	s_cbranch_execz .LBB73_42
; %bb.40:                               ;   in Loop: Header=BB73_12 Depth=1
	s_add_i32 s0, s13, s7
	s_delay_alu instid0(SALU_CYCLE_1) | instskip(NEXT) | instid1(SALU_CYCLE_1)
	s_ashr_i32 s1, s0, 31
	s_lshl_b64 s[0:1], s[0:1], 2
	s_delay_alu instid0(SALU_CYCLE_1)
	s_add_u32 s0, s10, s0
	s_addc_u32 s1, s11, s1
	global_load_b32 v18, v1, s[0:1] glc
	s_waitcnt vmcnt(0)
	v_cmp_ne_u32_e32 vcc_lo, 0, v18
	s_cbranch_vccnz .LBB73_42
.LBB73_41:                              ;   Parent Loop BB73_12 Depth=1
                                        ; =>  This Inner Loop Header: Depth=2
	global_load_b32 v18, v1, s[0:1] glc
	s_waitcnt vmcnt(0)
	v_cmp_eq_u32_e32 vcc_lo, 0, v18
	s_cbranch_vccnz .LBB73_41
.LBB73_42:                              ;   in Loop: Header=BB73_12 Depth=1
	s_or_b32 exec_lo, exec_lo, s23
	v_dual_mov_b32 v20, 0 :: v_dual_mov_b32 v21, 0
	s_mov_b32 s0, 0
	s_waitcnt_vscnt null, 0x0
	s_barrier
	buffer_gl0_inv
	buffer_gl1_inv
	buffer_gl0_inv
	s_and_saveexec_b32 s1, s2
	s_cbranch_execz .LBB73_44
; %bb.43:                               ;   in Loop: Header=BB73_12 Depth=1
	s_mul_i32 s23, s13, s25
	s_mul_hi_u32 s26, s13, s24
	s_ashr_i32 s27, s13, 31
	s_add_i32 s23, s26, s23
	s_mul_i32 s27, s27, s24
	s_mul_i32 s26, s13, s24
	s_add_i32 s27, s23, s27
	s_delay_alu instid0(SALU_CYCLE_1) | instskip(NEXT) | instid1(SALU_CYCLE_1)
	s_lshl_b64 s[26:27], s[26:27], 3
	v_add_co_u32 v18, vcc_lo, v10, s26
	v_add_co_ci_u32_e32 v19, vcc_lo, s27, v11, vcc_lo
	global_load_b64 v[18:19], v[18:19], off
	s_waitcnt vmcnt(0)
	v_fma_f32 v21, -v5, v18, v7
	v_fma_f32 v18, -v4, v18, v6
	s_delay_alu instid0(VALU_DEP_2) | instskip(NEXT) | instid1(VALU_DEP_2)
	v_fmac_f32_e32 v21, v4, v19
	v_fma_f32 v20, -v5, v19, v18
.LBB73_44:                              ;   in Loop: Header=BB73_12 Depth=1
	s_or_b32 exec_lo, exec_lo, s1
	v_dual_mov_b32 v18, v17 :: v_dual_mov_b32 v19, v16
	s_mov_b32 s26, 0
	s_and_b32 vcc_lo, exec_lo, s0
	s_cbranch_vccz .LBB73_34
.LBB73_45:                              ;   in Loop: Header=BB73_12 Depth=1
	s_and_not1_b32 vcc_lo, exec_lo, s18
	s_cbranch_vccnz .LBB73_47
; %bb.46:                               ;   in Loop: Header=BB73_12 Depth=1
	v_mul_f32_e32 v16, v4, v4
	s_delay_alu instid0(VALU_DEP_1) | instskip(NEXT) | instid1(VALU_DEP_1)
	v_fmac_f32_e32 v16, v5, v5
	v_div_scale_f32 v17, null, v16, v16, 1.0
	v_div_scale_f32 v20, vcc_lo, 1.0, v16, 1.0
	s_delay_alu instid0(VALU_DEP_2) | instskip(SKIP_2) | instid1(VALU_DEP_1)
	v_rcp_f32_e32 v18, v17
	s_waitcnt_depctr 0xfff
	v_fma_f32 v19, -v17, v18, 1.0
	v_fmac_f32_e32 v18, v19, v18
	s_delay_alu instid0(VALU_DEP_1) | instskip(NEXT) | instid1(VALU_DEP_1)
	v_mul_f32_e32 v19, v20, v18
	v_fma_f32 v21, -v17, v19, v20
	s_delay_alu instid0(VALU_DEP_1) | instskip(NEXT) | instid1(VALU_DEP_1)
	v_fmac_f32_e32 v19, v21, v18
	v_fma_f32 v17, -v17, v19, v20
	s_delay_alu instid0(VALU_DEP_1) | instskip(SKIP_2) | instid1(VALU_DEP_3)
	v_div_fmas_f32 v17, v17, v18, v19
	v_fma_f32 v18, 0, v4, v5
	v_fma_f32 v4, v5, 0, -v4
	v_div_fixup_f32 v17, v17, v16, 1.0
	s_delay_alu instid0(VALU_DEP_1) | instskip(NEXT) | instid1(VALU_DEP_3)
	v_mul_f32_e32 v16, v18, v17
	v_mul_f32_e32 v17, v4, v17
.LBB73_47:                              ;   in Loop: Header=BB73_12 Depth=1
	s_delay_alu instid0(VALU_DEP_1) | instskip(SKIP_2) | instid1(SALU_CYCLE_1)
	v_dual_mov_b32 v19, v16 :: v_dual_mov_b32 v18, v17
	v_dual_mov_b32 v21, v7 :: v_dual_mov_b32 v20, v6
	s_mov_b32 s26, 2
	s_cmp_gt_i32 s26, 3
	s_mov_b32 s0, -1
	s_cbranch_scc0 .LBB73_35
.LBB73_48:                              ;   in Loop: Header=BB73_12 Depth=1
	s_branch .LBB73_10
.LBB73_49:                              ;   in Loop: Header=BB73_12 Depth=1
                                        ; implicit-def: $sgpr16_sgpr17
	s_branch .LBB73_11
.LBB73_50:
                                        ; implicit-def: $vgpr6
                                        ; implicit-def: $vgpr7
	s_load_b64 s[10:11], s[0:1], 0x40
.LBB73_51:
	v_dual_mov_b32 v6, 0 :: v_dual_mov_b32 v7, 0
	s_delay_alu instid0(VALU_DEP_2)
	s_and_saveexec_b32 s3, s2
	s_cbranch_execz .LBB73_53
; %bb.52:
	v_lshlrev_b64 v[6:7], 3, v[2:3]
	s_delay_alu instid0(VALU_DEP_1) | instskip(NEXT) | instid1(VALU_DEP_2)
	v_add_co_u32 v6, vcc_lo, s20, v6
	v_add_co_ci_u32_e32 v7, vcc_lo, s21, v7, vcc_lo
	global_load_b64 v[8:9], v[6:7], off
	s_waitcnt vmcnt(0)
	v_mul_f32_e64 v6, s26, -v9
	s_delay_alu instid0(VALU_DEP_1) | instskip(NEXT) | instid1(VALU_DEP_1)
	v_dual_mul_f32 v7, s9, v9 :: v_dual_fmac_f32 v6, s9, v8
	v_fmac_f32_e32 v7, s26, v8
.LBB73_53:
	s_or_b32 exec_lo, exec_lo, s3
	s_waitcnt lgkmcnt(0)
	v_cmp_ge_i64_e64 s3, s[12:13], s[14:15]
	s_delay_alu instid0(VALU_DEP_1)
	s_and_b32 vcc_lo, exec_lo, s3
	v_cmp_eq_u32_e64 s3, 0, v0
	s_cbranch_vccz .LBB73_9
.LBB73_54:
	v_dual_mov_b32 v18, 0 :: v_dual_mov_b32 v19, 1.0
	s_and_saveexec_b32 s0, s2
	s_cbranch_execnz .LBB73_56
	s_branch .LBB73_57
.LBB73_55:
	v_dual_mov_b32 v6, v20 :: v_dual_mov_b32 v7, v21
	s_and_saveexec_b32 s0, s2
	s_cbranch_execz .LBB73_57
.LBB73_56:
	v_lshlrev_b64 v[1:2], 3, v[2:3]
	s_delay_alu instid0(VALU_DEP_2) | instskip(SKIP_1) | instid1(VALU_DEP_2)
	v_mul_f32_e64 v5, v18, -v6
	s_cmp_eq_u32 s6, 0
	v_add_co_u32 v1, vcc_lo, s20, v1
	s_delay_alu instid0(VALU_DEP_3) | instskip(SKIP_2) | instid1(VALU_DEP_1)
	v_add_co_ci_u32_e32 v2, vcc_lo, s21, v2, vcc_lo
	s_cselect_b32 vcc_lo, -1, 0
	v_fmac_f32_e32 v5, v7, v19
	v_dual_mul_f32 v4, v18, v7 :: v_dual_cndmask_b32 v3, v7, v5
	s_delay_alu instid0(VALU_DEP_1) | instskip(NEXT) | instid1(VALU_DEP_1)
	v_fmac_f32_e32 v4, v6, v19
	v_cndmask_b32_e32 v4, v6, v4, vcc_lo
	global_store_b64 v[1:2], v[3:4], off
.LBB73_57:
	s_or_b32 exec_lo, exec_lo, s0
	s_waitcnt_vscnt null, 0x0
	buffer_gl1_inv
	buffer_gl0_inv
	s_barrier
	buffer_gl0_inv
	s_mov_b32 s0, exec_lo
	v_cmpx_eq_u32_e32 0, v0
	s_cbranch_execz .LBB73_59
; %bb.58:
	s_add_i32 s0, s22, s7
	v_dual_mov_b32 v0, 0 :: v_dual_mov_b32 v1, 1
	s_ashr_i32 s1, s0, 31
	s_delay_alu instid0(SALU_CYCLE_1) | instskip(NEXT) | instid1(SALU_CYCLE_1)
	s_lshl_b64 s[0:1], s[0:1], 2
	s_add_u32 s0, s10, s0
	s_addc_u32 s1, s11, s1
	global_store_b32 v0, v1, s[0:1]
.LBB73_59:
	s_nop 0
	s_sendmsg sendmsg(MSG_DEALLOC_VGPRS)
	s_endpgm
	.section	.rodata,"a",@progbits
	.p2align	6, 0x0
	.amdhsa_kernel _ZN9rocsparseL5csrsmILj1024ELj64ELb0Eli21rocsparse_complex_numIfEEEv20rocsparse_operation_T3_S4_NS_24const_host_device_scalarIT4_EEPKT2_PKS4_PKS6_PS6_lPiSC_PS4_21rocsparse_index_base_20rocsparse_fill_mode_20rocsparse_diag_type_b
		.amdhsa_group_segment_fixed_size 12288
		.amdhsa_private_segment_fixed_size 0
		.amdhsa_kernarg_size 104
		.amdhsa_user_sgpr_count 15
		.amdhsa_user_sgpr_dispatch_ptr 0
		.amdhsa_user_sgpr_queue_ptr 0
		.amdhsa_user_sgpr_kernarg_segment_ptr 1
		.amdhsa_user_sgpr_dispatch_id 0
		.amdhsa_user_sgpr_private_segment_size 0
		.amdhsa_wavefront_size32 1
		.amdhsa_uses_dynamic_stack 0
		.amdhsa_enable_private_segment 0
		.amdhsa_system_sgpr_workgroup_id_x 1
		.amdhsa_system_sgpr_workgroup_id_y 0
		.amdhsa_system_sgpr_workgroup_id_z 0
		.amdhsa_system_sgpr_workgroup_info 0
		.amdhsa_system_vgpr_workitem_id 0
		.amdhsa_next_free_vgpr 24
		.amdhsa_next_free_sgpr 28
		.amdhsa_reserve_vcc 1
		.amdhsa_float_round_mode_32 0
		.amdhsa_float_round_mode_16_64 0
		.amdhsa_float_denorm_mode_32 3
		.amdhsa_float_denorm_mode_16_64 3
		.amdhsa_dx10_clamp 1
		.amdhsa_ieee_mode 1
		.amdhsa_fp16_overflow 0
		.amdhsa_workgroup_processor_mode 1
		.amdhsa_memory_ordered 1
		.amdhsa_forward_progress 0
		.amdhsa_shared_vgpr_count 0
		.amdhsa_exception_fp_ieee_invalid_op 0
		.amdhsa_exception_fp_denorm_src 0
		.amdhsa_exception_fp_ieee_div_zero 0
		.amdhsa_exception_fp_ieee_overflow 0
		.amdhsa_exception_fp_ieee_underflow 0
		.amdhsa_exception_fp_ieee_inexact 0
		.amdhsa_exception_int_div_zero 0
	.end_amdhsa_kernel
	.section	.text._ZN9rocsparseL5csrsmILj1024ELj64ELb0Eli21rocsparse_complex_numIfEEEv20rocsparse_operation_T3_S4_NS_24const_host_device_scalarIT4_EEPKT2_PKS4_PKS6_PS6_lPiSC_PS4_21rocsparse_index_base_20rocsparse_fill_mode_20rocsparse_diag_type_b,"axG",@progbits,_ZN9rocsparseL5csrsmILj1024ELj64ELb0Eli21rocsparse_complex_numIfEEEv20rocsparse_operation_T3_S4_NS_24const_host_device_scalarIT4_EEPKT2_PKS4_PKS6_PS6_lPiSC_PS4_21rocsparse_index_base_20rocsparse_fill_mode_20rocsparse_diag_type_b,comdat
.Lfunc_end73:
	.size	_ZN9rocsparseL5csrsmILj1024ELj64ELb0Eli21rocsparse_complex_numIfEEEv20rocsparse_operation_T3_S4_NS_24const_host_device_scalarIT4_EEPKT2_PKS4_PKS6_PS6_lPiSC_PS4_21rocsparse_index_base_20rocsparse_fill_mode_20rocsparse_diag_type_b, .Lfunc_end73-_ZN9rocsparseL5csrsmILj1024ELj64ELb0Eli21rocsparse_complex_numIfEEEv20rocsparse_operation_T3_S4_NS_24const_host_device_scalarIT4_EEPKT2_PKS4_PKS6_PS6_lPiSC_PS4_21rocsparse_index_base_20rocsparse_fill_mode_20rocsparse_diag_type_b
                                        ; -- End function
	.section	.AMDGPU.csdata,"",@progbits
; Kernel info:
; codeLenInByte = 2152
; NumSgprs: 30
; NumVgprs: 24
; ScratchSize: 0
; MemoryBound: 0
; FloatMode: 240
; IeeeMode: 1
; LDSByteSize: 12288 bytes/workgroup (compile time only)
; SGPRBlocks: 3
; VGPRBlocks: 2
; NumSGPRsForWavesPerEU: 30
; NumVGPRsForWavesPerEU: 24
; Occupancy: 16
; WaveLimiterHint : 1
; COMPUTE_PGM_RSRC2:SCRATCH_EN: 0
; COMPUTE_PGM_RSRC2:USER_SGPR: 15
; COMPUTE_PGM_RSRC2:TRAP_HANDLER: 0
; COMPUTE_PGM_RSRC2:TGID_X_EN: 1
; COMPUTE_PGM_RSRC2:TGID_Y_EN: 0
; COMPUTE_PGM_RSRC2:TGID_Z_EN: 0
; COMPUTE_PGM_RSRC2:TIDIG_COMP_CNT: 0
	.section	.text._ZN9rocsparseL5csrsmILj64ELj64ELb1Eli21rocsparse_complex_numIdEEEv20rocsparse_operation_T3_S4_NS_24const_host_device_scalarIT4_EEPKT2_PKS4_PKS6_PS6_lPiSC_PS4_21rocsparse_index_base_20rocsparse_fill_mode_20rocsparse_diag_type_b,"axG",@progbits,_ZN9rocsparseL5csrsmILj64ELj64ELb1Eli21rocsparse_complex_numIdEEEv20rocsparse_operation_T3_S4_NS_24const_host_device_scalarIT4_EEPKT2_PKS4_PKS6_PS6_lPiSC_PS4_21rocsparse_index_base_20rocsparse_fill_mode_20rocsparse_diag_type_b,comdat
	.globl	_ZN9rocsparseL5csrsmILj64ELj64ELb1Eli21rocsparse_complex_numIdEEEv20rocsparse_operation_T3_S4_NS_24const_host_device_scalarIT4_EEPKT2_PKS4_PKS6_PS6_lPiSC_PS4_21rocsparse_index_base_20rocsparse_fill_mode_20rocsparse_diag_type_b ; -- Begin function _ZN9rocsparseL5csrsmILj64ELj64ELb1Eli21rocsparse_complex_numIdEEEv20rocsparse_operation_T3_S4_NS_24const_host_device_scalarIT4_EEPKT2_PKS4_PKS6_PS6_lPiSC_PS4_21rocsparse_index_base_20rocsparse_fill_mode_20rocsparse_diag_type_b
	.p2align	8
	.type	_ZN9rocsparseL5csrsmILj64ELj64ELb1Eli21rocsparse_complex_numIdEEEv20rocsparse_operation_T3_S4_NS_24const_host_device_scalarIT4_EEPKT2_PKS4_PKS6_PS6_lPiSC_PS4_21rocsparse_index_base_20rocsparse_fill_mode_20rocsparse_diag_type_b,@function
_ZN9rocsparseL5csrsmILj64ELj64ELb1Eli21rocsparse_complex_numIdEEEv20rocsparse_operation_T3_S4_NS_24const_host_device_scalarIT4_EEPKT2_PKS4_PKS6_PS6_lPiSC_PS4_21rocsparse_index_base_20rocsparse_fill_mode_20rocsparse_diag_type_b: ; @_ZN9rocsparseL5csrsmILj64ELj64ELb1Eli21rocsparse_complex_numIdEEEv20rocsparse_operation_T3_S4_NS_24const_host_device_scalarIT4_EEPKT2_PKS4_PKS6_PS6_lPiSC_PS4_21rocsparse_index_base_20rocsparse_fill_mode_20rocsparse_diag_type_b
; %bb.0:
	s_load_b64 s[0:1], s[0:1], 0x4
	s_load_b128 s[4:7], s[2:3], 0x60
	v_bfe_u32 v1, v0, 10, 10
	s_load_b128 s[8:11], s[2:3], 0x10
	v_and_b32_e32 v8, 0x3ff, v0
	v_bfe_u32 v0, v0, 20, 10
	s_mov_b64 s[12:13], src_shared_base
	s_waitcnt lgkmcnt(0)
	v_mul_u32_u24_e32 v1, s1, v1
	s_lshr_b32 s0, s0, 16
	s_delay_alu instid0(SALU_CYCLE_1)
	s_mul_i32 s0, s0, s1
	s_delay_alu instid0(VALU_DEP_1) | instid1(SALU_CYCLE_1)
	v_mad_u32_u24 v1, s0, v8, v1
	s_and_b32 s0, 1, s7
	s_delay_alu instid0(SALU_CYCLE_1) | instskip(SKIP_1) | instid1(VALU_DEP_1)
	s_cmp_eq_u32 s0, 1
	s_load_b64 s[0:1], s[2:3], 0x20
	v_add_lshl_u32 v4, v1, v0, 3
	s_cselect_b32 vcc_lo, -1, 0
	v_dual_mov_b32 v2, s8 :: v_dual_mov_b32 v3, s9
	v_dual_mov_b32 v6, s10 :: v_dual_mov_b32 v7, s11
	s_delay_alu instid0(VALU_DEP_3) | instskip(SKIP_4) | instid1(SALU_CYCLE_1)
	v_add_nc_u32_e32 v0, 0x500, v4
	ds_store_b64 v4, v[2:3] offset:1280
	v_cndmask_b32_e32 v0, s8, v0, vcc_lo
	s_and_b32 vcc_lo, vcc_lo, exec_lo
	s_cselect_b32 s7, s13, s9
	v_mov_b32_e32 v1, s7
	flat_load_b64 v[4:5], v[0:1]
	s_clause 0x1
	s_load_b64 s[12:13], s[2:3], 0x50
	s_load_b64 s[22:23], s[2:3], 0x38
	s_cbranch_vccnz .LBB74_2
; %bb.1:
	v_dual_mov_b32 v0, s8 :: v_dual_mov_b32 v1, s9
	flat_load_b64 v[6:7], v[0:1] offset:8
.LBB74_2:
	s_clause 0x1
	s_load_b128 s[16:19], s[2:3], 0x0
	s_load_b64 s[20:21], s[2:3], 0x40
	s_waitcnt lgkmcnt(0)
	v_cvt_f32_u32_e32 v0, s17
	s_sub_i32 s8, 0, s17
	s_delay_alu instid0(VALU_DEP_1) | instskip(SKIP_2) | instid1(VALU_DEP_1)
	v_rcp_iflag_f32_e32 v0, v0
	s_waitcnt_depctr 0xfff
	v_mul_f32_e32 v0, 0x4f7ffffe, v0
	v_cvt_u32_f32_e32 v0, v0
	s_delay_alu instid0(VALU_DEP_1) | instskip(NEXT) | instid1(VALU_DEP_1)
	v_readfirstlane_b32 s7, v0
	s_mul_i32 s8, s8, s7
	s_delay_alu instid0(SALU_CYCLE_1) | instskip(NEXT) | instid1(SALU_CYCLE_1)
	s_mul_hi_u32 s8, s7, s8
	s_add_i32 s7, s7, s8
	s_delay_alu instid0(SALU_CYCLE_1) | instskip(NEXT) | instid1(SALU_CYCLE_1)
	s_mul_hi_u32 s7, s15, s7
	s_mul_i32 s8, s7, s17
	s_add_i32 s9, s7, 1
	s_sub_i32 s8, s15, s8
	s_delay_alu instid0(SALU_CYCLE_1)
	s_sub_i32 s10, s8, s17
	s_cmp_ge_u32 s8, s17
	s_cselect_b32 s7, s9, s7
	s_cselect_b32 s8, s10, s8
	s_add_i32 s9, s7, 1
	s_cmp_ge_u32 s8, s17
	s_cselect_b32 s14, s9, s7
	s_delay_alu instid0(SALU_CYCLE_1) | instskip(SKIP_2) | instid1(SALU_CYCLE_1)
	s_mul_i32 s7, s14, s17
	v_lshl_or_b32 v9, s14, 6, v8
	s_sub_i32 s8, s15, s7
	s_ashr_i32 s9, s8, 31
	s_delay_alu instid0(VALU_DEP_1) | instskip(SKIP_1) | instid1(SALU_CYCLE_1)
	v_ashrrev_i32_e32 v10, 31, v9
	s_lshl_b64 s[8:9], s[8:9], 2
	s_add_u32 s8, s12, s8
	s_addc_u32 s9, s13, s9
	s_load_b32 s12, s[8:9], 0x0
	s_waitcnt lgkmcnt(0)
	s_ashr_i32 s13, s12, 31
	s_mul_i32 s14, s12, s20
	s_lshl_b64 s[8:9], s[12:13], 3
	v_add_co_u32 v11, vcc_lo, s14, v9
	s_add_u32 s0, s0, s8
	s_addc_u32 s1, s1, s9
	s_load_b128 s[8:11], s[0:1], 0x0
	s_mul_i32 s0, s12, s21
	s_mul_hi_u32 s1, s12, s20
	s_delay_alu instid0(SALU_CYCLE_1) | instskip(SKIP_1) | instid1(SALU_CYCLE_1)
	s_add_i32 s0, s1, s0
	s_mul_i32 s1, s13, s20
	s_add_i32 s15, s0, s1
	v_cmp_gt_i32_e64 s0, s18, v9
	v_add_co_ci_u32_e32 v12, vcc_lo, s15, v10, vcc_lo
	s_cmpk_lg_i32 s16, 0x71
	s_cbranch_scc0 .LBB74_6
; %bb.3:
	v_mov_b32_e32 v2, 0
	v_mov_b32_e32 v3, 0
	s_delay_alu instid0(VALU_DEP_1)
	v_dual_mov_b32 v0, v2 :: v_dual_mov_b32 v1, v3
	s_and_saveexec_b32 s1, s0
	s_cbranch_execz .LBB74_5
; %bb.4:
	v_lshlrev_b64 v[0:1], 4, v[11:12]
	s_delay_alu instid0(VALU_DEP_1) | instskip(NEXT) | instid1(VALU_DEP_2)
	v_add_co_u32 v0, vcc_lo, s22, v0
	v_add_co_ci_u32_e32 v1, vcc_lo, s23, v1, vcc_lo
	global_load_b128 v[13:16], v[0:1], off
	s_waitcnt vmcnt(0)
	v_mul_f64 v[0:1], v[15:16], -v[6:7]
	v_mul_f64 v[2:3], v[4:5], v[15:16]
	s_delay_alu instid0(VALU_DEP_2) | instskip(NEXT) | instid1(VALU_DEP_2)
	v_fma_f64 v[0:1], v[4:5], v[13:14], v[0:1]
	v_fma_f64 v[2:3], v[6:7], v[13:14], v[2:3]
.LBB74_5:
	s_or_b32 exec_lo, exec_lo, s1
	s_load_b64 s[16:17], s[2:3], 0x48
	s_cbranch_execz .LBB74_7
	s_branch .LBB74_10
.LBB74_6:
                                        ; implicit-def: $vgpr2_vgpr3
	s_load_b64 s[16:17], s[2:3], 0x48
.LBB74_7:
	v_mov_b32_e32 v2, 0
	v_mov_b32_e32 v3, 0
	s_delay_alu instid0(VALU_DEP_1)
	v_dual_mov_b32 v0, v2 :: v_dual_mov_b32 v1, v3
	s_and_saveexec_b32 s1, s0
	s_cbranch_execz .LBB74_9
; %bb.8:
	v_lshlrev_b64 v[0:1], 4, v[11:12]
	s_delay_alu instid0(VALU_DEP_1) | instskip(NEXT) | instid1(VALU_DEP_2)
	v_add_co_u32 v0, vcc_lo, s22, v0
	v_add_co_ci_u32_e32 v1, vcc_lo, s23, v1, vcc_lo
	global_load_b128 v[11:14], v[0:1], off
	s_waitcnt vmcnt(0)
	v_mul_f64 v[0:1], v[6:7], v[13:14]
	v_mul_f64 v[2:3], v[4:5], -v[13:14]
	s_delay_alu instid0(VALU_DEP_2) | instskip(NEXT) | instid1(VALU_DEP_2)
	v_fma_f64 v[0:1], v[4:5], v[11:12], v[0:1]
	v_fma_f64 v[2:3], v[6:7], v[11:12], v[2:3]
.LBB74_9:
	s_or_b32 exec_lo, exec_lo, s1
.LBB74_10:
	s_waitcnt vmcnt(0)
	v_lshlrev_b64 v[4:5], 4, v[9:10]
	s_waitcnt lgkmcnt(0)
	v_cmp_ge_i64_e64 s1, s[8:9], s[10:11]
	s_delay_alu instid0(VALU_DEP_2) | instskip(NEXT) | instid1(VALU_DEP_3)
	v_add_co_u32 v22, vcc_lo, s22, v4
	v_add_co_ci_u32_e32 v23, vcc_lo, s23, v5, vcc_lo
	s_delay_alu instid0(VALU_DEP_3)
	s_and_b32 vcc_lo, exec_lo, s1
	v_cmp_eq_u32_e64 s1, 0, v8
	s_cbranch_vccnz .LBB74_55
; %bb.11:
	s_clause 0x1
	s_load_b128 s[24:27], s[2:3], 0x28
	s_load_b64 s[18:19], s[2:3], 0x58
	v_dual_mov_b32 v9, 0 :: v_dual_lshlrev_b32 v4, 2, v8
	v_lshlrev_b32_e32 v24, 4, v8
	s_sub_u32 s8, s8, s4
	v_mov_b32_e32 v10, 0
	v_mov_b32_e32 v11, 0
	s_subb_u32 s9, s9, 0
	v_mov_b32_e32 v12, 0
	v_mov_b32_e32 v13, 0x3ff00000
	s_sub_u32 s10, s10, s4
	s_subb_u32 s11, s11, 0
	v_or_b32_e32 v25, 0x400, v4
	s_cmp_eq_u32 s6, 0
	s_mov_b64 s[22:23], s[8:9]
	s_cselect_b32 s13, -1, 0
	s_waitcnt lgkmcnt(0)
	v_add_co_u32 v26, s2, s24, v4
	s_delay_alu instid0(VALU_DEP_1) | instskip(SKIP_1) | instid1(VALU_DEP_1)
	v_add_co_ci_u32_e64 v27, null, s25, 0, s2
	v_add_co_u32 v28, s2, s26, v24
	v_add_co_ci_u32_e64 v29, null, s27, 0, s2
	s_add_i32 s24, s12, s4
	s_branch .LBB74_14
.LBB74_12:                              ;   in Loop: Header=BB74_14 Depth=1
	s_add_u32 s22, s22, 1
	s_addc_u32 s23, s23, 0
	s_delay_alu instid0(SALU_CYCLE_1)
	v_cmp_ge_i64_e64 s2, s[22:23], s[10:11]
.LBB74_13:                              ;   in Loop: Header=BB74_14 Depth=1
	s_delay_alu instid0(VALU_DEP_3) | instskip(NEXT) | instid1(VALU_DEP_4)
	v_dual_mov_b32 v2, v18 :: v_dual_mov_b32 v3, v19
	v_dual_mov_b32 v0, v20 :: v_dual_mov_b32 v1, v21
	s_delay_alu instid0(VALU_DEP_4) | instskip(NEXT) | instid1(VALU_DEP_4)
	v_dual_mov_b32 v10, v14 :: v_dual_mov_b32 v11, v15
	v_dual_mov_b32 v12, v16 :: v_dual_mov_b32 v13, v17
	s_and_not1_b32 vcc_lo, exec_lo, s2
	s_cbranch_vccz .LBB74_56
.LBB74_14:                              ; =>This Loop Header: Depth=1
                                        ;     Child Loop BB74_53 Depth 2
                                        ;       Child Loop BB74_54 Depth 3
	s_sub_i32 s2, s22, s8
	s_delay_alu instid0(SALU_CYCLE_1) | instskip(NEXT) | instid1(SALU_CYCLE_1)
	s_and_b32 s3, s2, 63
	s_cmp_lg_u32 s3, 0
	s_cbranch_scc1 .LBB74_18
; %bb.15:                               ;   in Loop: Header=BB74_14 Depth=1
	v_mov_b32_e32 v6, 0
	v_dual_mov_b32 v7, 0 :: v_dual_mov_b32 v4, 0
	v_dual_mov_b32 v5, 0xbff00000 :: v_dual_mov_b32 v14, -1
	s_sub_u32 s26, s10, s22
	s_subb_u32 s27, s11, s23
	s_mov_b32 s2, exec_lo
	v_cmpx_gt_i64_e64 s[26:27], v[8:9]
	s_cbranch_execz .LBB74_17
; %bb.16:                               ;   in Loop: Header=BB74_14 Depth=1
	s_lshl_b64 s[26:27], s[22:23], 2
	s_delay_alu instid0(SALU_CYCLE_1)
	v_add_co_u32 v4, vcc_lo, v26, s26
	v_add_co_ci_u32_e32 v5, vcc_lo, s27, v27, vcc_lo
	s_lshl_b64 s[26:27], s[22:23], 4
	global_load_b32 v14, v[4:5], off
	v_add_co_u32 v4, vcc_lo, v28, s26
	v_add_co_ci_u32_e32 v5, vcc_lo, s27, v29, vcc_lo
	global_load_b128 v[4:7], v[4:5], off
	s_waitcnt vmcnt(1)
	v_subrev_nc_u32_e32 v14, s4, v14
.LBB74_17:                              ;   in Loop: Header=BB74_14 Depth=1
	s_or_b32 exec_lo, exec_lo, s2
	ds_store_b32 v25, v14
	s_waitcnt vmcnt(0)
	ds_store_b128 v24, v[4:7]
.LBB74_18:                              ;   in Loop: Header=BB74_14 Depth=1
	s_lshl_b32 s2, s3, 4
	s_waitcnt lgkmcnt(0)
	v_mov_b32_e32 v4, s2
	s_waitcnt_vscnt null, 0x0
	s_barrier
	buffer_gl0_inv
	s_lshl_b32 s3, s3, 2
	ds_load_b128 v[14:17], v4
	v_mov_b32_e32 v4, s3
	ds_load_b32 v4, v4 offset:1024
	s_waitcnt lgkmcnt(1)
	v_cmp_eq_f64_e32 vcc_lo, 0, v[14:15]
	v_cmp_eq_f64_e64 s2, 0, v[16:17]
	s_waitcnt lgkmcnt(0)
	v_readfirstlane_b32 s9, v4
	v_cmp_ne_u32_e64 s3, s12, v4
	s_delay_alu instid0(VALU_DEP_3) | instskip(NEXT) | instid1(VALU_DEP_2)
	s_and_b32 s2, vcc_lo, s2
	s_cmp_eq_u32 s9, s12
	s_cselect_b32 s26, -1, 0
	s_delay_alu instid0(SALU_CYCLE_1) | instskip(NEXT) | instid1(SALU_CYCLE_1)
	s_and_b32 s2, s2, s26
	s_and_b32 s2, s13, s2
	s_delay_alu instid0(SALU_CYCLE_1) | instskip(SKIP_4) | instid1(SALU_CYCLE_1)
	v_cndmask_b32_e64 v5, v17, 0, s2
	v_cndmask_b32_e64 v4, v16, 0, s2
	;; [unrolled: 1-line block ×4, first 2 shown]
	s_and_b32 s25, s1, s2
	s_and_saveexec_b32 s2, s25
	s_cbranch_execz .LBB74_22
; %bb.19:                               ;   in Loop: Header=BB74_14 Depth=1
	v_mbcnt_lo_u32_b32 v4, exec_lo, 0
	s_mov_b32 s25, exec_lo
	s_delay_alu instid0(VALU_DEP_1)
	v_cmpx_eq_u32_e32 0, v4
	s_cbranch_execz .LBB74_21
; %bb.20:                               ;   in Loop: Header=BB74_14 Depth=1
	v_mov_b32_e32 v4, s24
	global_atomic_min_i32 v9, v4, s[18:19]
.LBB74_21:                              ;   in Loop: Header=BB74_14 Depth=1
	s_or_b32 exec_lo, exec_lo, s25
	v_mov_b32_e32 v4, 0
	v_dual_mov_b32 v5, 0 :: v_dual_mov_b32 v6, 0
	v_mov_b32_e32 v7, 0x3ff00000
.LBB74_22:                              ;   in Loop: Header=BB74_14 Depth=1
	s_or_b32 exec_lo, exec_lo, s2
	s_cmp_lt_i32 s5, 1
	s_mov_b32 s2, 0
	s_cbranch_scc1 .LBB74_28
; %bb.23:                               ;   in Loop: Header=BB74_14 Depth=1
	s_cmp_eq_u32 s5, 1
	s_cbranch_scc0 .LBB74_29
; %bb.24:                               ;   in Loop: Header=BB74_14 Depth=1
	v_dual_mov_b32 v15, v11 :: v_dual_mov_b32 v14, v10
	v_dual_mov_b32 v17, v13 :: v_dual_mov_b32 v16, v12
	s_cmp_ge_i32 s9, s12
	s_mov_b32 s25, 0
	s_cbranch_scc0 .LBB74_31
; %bb.25:                               ;   in Loop: Header=BB74_14 Depth=1
	s_and_b32 vcc_lo, exec_lo, s26
	s_cbranch_vccz .LBB74_30
; %bb.26:                               ;   in Loop: Header=BB74_14 Depth=1
	v_dual_mov_b32 v15, v11 :: v_dual_mov_b32 v14, v10
	v_dual_mov_b32 v17, v13 :: v_dual_mov_b32 v16, v12
	s_and_not1_b32 vcc_lo, exec_lo, s13
	s_cbranch_vccnz .LBB74_31
; %bb.27:                               ;   in Loop: Header=BB74_14 Depth=1
	v_mul_f64 v[14:15], v[4:5], v[4:5]
	s_delay_alu instid0(VALU_DEP_1) | instskip(NEXT) | instid1(VALU_DEP_1)
	v_fma_f64 v[14:15], v[6:7], v[6:7], v[14:15]
	v_div_scale_f64 v[16:17], null, v[14:15], v[14:15], 1.0
	v_div_scale_f64 v[30:31], vcc_lo, 1.0, v[14:15], 1.0
	s_delay_alu instid0(VALU_DEP_2) | instskip(SKIP_2) | instid1(VALU_DEP_1)
	v_rcp_f64_e32 v[18:19], v[16:17]
	s_waitcnt_depctr 0xfff
	v_fma_f64 v[20:21], -v[16:17], v[18:19], 1.0
	v_fma_f64 v[18:19], v[18:19], v[20:21], v[18:19]
	s_delay_alu instid0(VALU_DEP_1) | instskip(NEXT) | instid1(VALU_DEP_1)
	v_fma_f64 v[20:21], -v[16:17], v[18:19], 1.0
	v_fma_f64 v[18:19], v[18:19], v[20:21], v[18:19]
	s_delay_alu instid0(VALU_DEP_1) | instskip(NEXT) | instid1(VALU_DEP_1)
	v_mul_f64 v[20:21], v[30:31], v[18:19]
	v_fma_f64 v[16:17], -v[16:17], v[20:21], v[30:31]
	s_delay_alu instid0(VALU_DEP_1) | instskip(SKIP_2) | instid1(VALU_DEP_3)
	v_div_fmas_f64 v[16:17], v[16:17], v[18:19], v[20:21]
	v_fma_f64 v[18:19], v[4:5], 0, v[6:7]
	v_fma_f64 v[20:21], v[6:7], 0, -v[4:5]
	v_div_fixup_f64 v[14:15], v[16:17], v[14:15], 1.0
	s_delay_alu instid0(VALU_DEP_1) | instskip(NEXT) | instid1(VALU_DEP_3)
	v_mul_f64 v[16:17], v[18:19], v[14:15]
	v_mul_f64 v[14:15], v[20:21], v[14:15]
	s_branch .LBB74_31
.LBB74_28:                              ;   in Loop: Header=BB74_14 Depth=1
	s_mov_b32 s25, 0
                                        ; implicit-def: $sgpr26
                                        ; implicit-def: $vgpr18_vgpr19
                                        ; implicit-def: $vgpr20_vgpr21
                                        ; implicit-def: $vgpr14_vgpr15
                                        ; implicit-def: $vgpr16_vgpr17
	s_cbranch_execnz .LBB74_32
	s_branch .LBB74_34
.LBB74_29:                              ;   in Loop: Header=BB74_14 Depth=1
	s_mov_b32 s25, -1
                                        ; implicit-def: $sgpr26
                                        ; implicit-def: $vgpr18_vgpr19
                                        ; implicit-def: $vgpr20_vgpr21
                                        ; implicit-def: $vgpr14_vgpr15
                                        ; implicit-def: $vgpr16_vgpr17
	s_branch .LBB74_34
.LBB74_30:                              ;   in Loop: Header=BB74_14 Depth=1
	s_mov_b32 s25, -1
                                        ; implicit-def: $vgpr14_vgpr15
                                        ; implicit-def: $vgpr16_vgpr17
.LBB74_31:                              ;   in Loop: Header=BB74_14 Depth=1
	v_dual_mov_b32 v19, v3 :: v_dual_mov_b32 v18, v2
	v_dual_mov_b32 v21, v1 :: v_dual_mov_b32 v20, v0
	s_mov_b32 s26, 4
	s_branch .LBB74_34
.LBB74_32:                              ;   in Loop: Header=BB74_14 Depth=1
	s_cmp_eq_u32 s5, 0
	s_cbranch_scc1 .LBB74_38
; %bb.33:                               ;   in Loop: Header=BB74_14 Depth=1
	s_mov_b32 s25, -1
                                        ; implicit-def: $sgpr26
                                        ; implicit-def: $vgpr18_vgpr19
                                        ; implicit-def: $vgpr20_vgpr21
                                        ; implicit-def: $vgpr14_vgpr15
                                        ; implicit-def: $vgpr16_vgpr17
.LBB74_34:                              ;   in Loop: Header=BB74_14 Depth=1
	s_delay_alu instid0(SALU_CYCLE_1)
	s_and_b32 vcc_lo, exec_lo, s25
	s_cbranch_vccnz .LBB74_41
.LBB74_35:                              ;   in Loop: Header=BB74_14 Depth=1
	s_and_b32 vcc_lo, exec_lo, s2
	s_cbranch_vccnz .LBB74_46
.LBB74_36:                              ;   in Loop: Header=BB74_14 Depth=1
	s_cmp_gt_i32 s26, 3
	s_mov_b32 s2, -1
	s_cbranch_scc1 .LBB74_49
.LBB74_37:                              ;   in Loop: Header=BB74_14 Depth=1
	s_cmp_eq_u32 s26, 0
	s_cselect_b32 s3, -1, 0
	s_delay_alu instid0(SALU_CYCLE_1)
	s_and_not1_b32 vcc_lo, exec_lo, s3
	s_cbranch_vccz .LBB74_12
	s_branch .LBB74_50
.LBB74_38:                              ;   in Loop: Header=BB74_14 Depth=1
	s_cmp_le_i32 s9, s12
	s_mov_b32 s25, 0
	s_cbranch_scc0 .LBB74_40
; %bb.39:                               ;   in Loop: Header=BB74_14 Depth=1
	s_mov_b32 s2, -1
	s_mov_b32 s25, s3
.LBB74_40:                              ;   in Loop: Header=BB74_14 Depth=1
	v_dual_mov_b32 v19, v3 :: v_dual_mov_b32 v18, v2
	v_dual_mov_b32 v21, v1 :: v_dual_mov_b32 v20, v0
	;; [unrolled: 1-line block ×4, first 2 shown]
	s_mov_b32 s26, 2
	s_and_b32 vcc_lo, exec_lo, s25
	s_cbranch_vccz .LBB74_35
.LBB74_41:                              ;   in Loop: Header=BB74_14 Depth=1
	s_and_saveexec_b32 s25, s1
	s_cbranch_execz .LBB74_43
; %bb.42:                               ;   in Loop: Header=BB74_14 Depth=1
	s_add_i32 s2, s9, s7
	s_delay_alu instid0(SALU_CYCLE_1) | instskip(NEXT) | instid1(SALU_CYCLE_1)
	s_ashr_i32 s3, s2, 31
	s_lshl_b64 s[2:3], s[2:3], 2
	s_delay_alu instid0(SALU_CYCLE_1)
	s_add_u32 s2, s16, s2
	s_addc_u32 s3, s17, s3
	global_load_b32 v14, v9, s[2:3] glc
	s_waitcnt vmcnt(0)
	v_cmp_ne_u32_e32 vcc_lo, 0, v14
	s_cbranch_vccz .LBB74_51
.LBB74_43:                              ;   in Loop: Header=BB74_14 Depth=1
	s_or_b32 exec_lo, exec_lo, s25
	v_mov_b32_e32 v18, 0
	v_mov_b32_e32 v19, 0
	s_waitcnt_vscnt null, 0x0
	s_barrier
	buffer_gl0_inv
	buffer_gl1_inv
	buffer_gl0_inv
	v_dual_mov_b32 v21, v19 :: v_dual_mov_b32 v20, v18
	s_and_saveexec_b32 s2, s0
	s_cbranch_execz .LBB74_45
; %bb.44:                               ;   in Loop: Header=BB74_14 Depth=1
	s_mul_i32 s3, s9, s21
	s_mul_hi_u32 s25, s9, s20
	s_ashr_i32 s26, s9, 31
	s_add_i32 s3, s25, s3
	s_mul_i32 s26, s26, s20
	s_delay_alu instid0(SALU_CYCLE_1) | instskip(SKIP_1) | instid1(SALU_CYCLE_1)
	s_add_i32 s27, s3, s26
	s_mul_i32 s26, s9, s20
	s_lshl_b64 s[26:27], s[26:27], 4
	s_delay_alu instid0(SALU_CYCLE_1)
	v_add_co_u32 v14, vcc_lo, v22, s26
	v_add_co_ci_u32_e32 v15, vcc_lo, s27, v23, vcc_lo
	global_load_b128 v[14:17], v[14:15], off
	s_waitcnt vmcnt(0)
	v_fma_f64 v[18:19], -v[6:7], v[14:15], v[0:1]
	v_fma_f64 v[14:15], -v[4:5], v[14:15], v[2:3]
	s_delay_alu instid0(VALU_DEP_2) | instskip(NEXT) | instid1(VALU_DEP_2)
	v_fma_f64 v[20:21], v[4:5], v[16:17], v[18:19]
	v_fma_f64 v[18:19], -v[6:7], v[16:17], v[14:15]
.LBB74_45:                              ;   in Loop: Header=BB74_14 Depth=1
	s_or_b32 exec_lo, exec_lo, s2
	v_dual_mov_b32 v15, v11 :: v_dual_mov_b32 v14, v10
	v_dual_mov_b32 v17, v13 :: v_dual_mov_b32 v16, v12
	s_mov_b32 s26, 0
	s_branch .LBB74_36
.LBB74_46:                              ;   in Loop: Header=BB74_14 Depth=1
	s_and_not1_b32 vcc_lo, exec_lo, s13
	s_cbranch_vccnz .LBB74_48
; %bb.47:                               ;   in Loop: Header=BB74_14 Depth=1
	v_mul_f64 v[10:11], v[4:5], v[4:5]
	s_delay_alu instid0(VALU_DEP_1) | instskip(NEXT) | instid1(VALU_DEP_1)
	v_fma_f64 v[10:11], v[6:7], v[6:7], v[10:11]
	v_div_scale_f64 v[12:13], null, v[10:11], v[10:11], 1.0
	v_div_scale_f64 v[18:19], vcc_lo, 1.0, v[10:11], 1.0
	s_delay_alu instid0(VALU_DEP_2) | instskip(SKIP_2) | instid1(VALU_DEP_1)
	v_rcp_f64_e32 v[14:15], v[12:13]
	s_waitcnt_depctr 0xfff
	v_fma_f64 v[16:17], -v[12:13], v[14:15], 1.0
	v_fma_f64 v[14:15], v[14:15], v[16:17], v[14:15]
	s_delay_alu instid0(VALU_DEP_1) | instskip(NEXT) | instid1(VALU_DEP_1)
	v_fma_f64 v[16:17], -v[12:13], v[14:15], 1.0
	v_fma_f64 v[14:15], v[14:15], v[16:17], v[14:15]
	s_delay_alu instid0(VALU_DEP_1) | instskip(NEXT) | instid1(VALU_DEP_1)
	v_mul_f64 v[16:17], v[18:19], v[14:15]
	v_fma_f64 v[12:13], -v[12:13], v[16:17], v[18:19]
	s_delay_alu instid0(VALU_DEP_1) | instskip(SKIP_2) | instid1(VALU_DEP_3)
	v_div_fmas_f64 v[12:13], v[12:13], v[14:15], v[16:17]
	v_fma_f64 v[14:15], v[4:5], 0, v[6:7]
	v_fma_f64 v[4:5], v[6:7], 0, -v[4:5]
	v_div_fixup_f64 v[10:11], v[12:13], v[10:11], 1.0
	s_delay_alu instid0(VALU_DEP_1) | instskip(NEXT) | instid1(VALU_DEP_3)
	v_mul_f64 v[12:13], v[14:15], v[10:11]
	v_mul_f64 v[10:11], v[4:5], v[10:11]
.LBB74_48:                              ;   in Loop: Header=BB74_14 Depth=1
	s_delay_alu instid0(VALU_DEP_2) | instskip(NEXT) | instid1(VALU_DEP_2)
	v_dual_mov_b32 v17, v13 :: v_dual_mov_b32 v16, v12
	v_dual_mov_b32 v15, v11 :: v_dual_mov_b32 v14, v10
	;; [unrolled: 1-line block ×4, first 2 shown]
	s_mov_b32 s26, 2
	s_delay_alu instid0(SALU_CYCLE_1)
	s_cmp_gt_i32 s26, 3
	s_mov_b32 s2, -1
	s_cbranch_scc0 .LBB74_37
.LBB74_49:                              ;   in Loop: Header=BB74_14 Depth=1
	s_branch .LBB74_12
.LBB74_50:                              ;   in Loop: Header=BB74_14 Depth=1
                                        ; implicit-def: $sgpr22_sgpr23
	s_branch .LBB74_13
.LBB74_51:                              ;   in Loop: Header=BB74_14 Depth=1
	s_mov_b32 s26, 0
	s_branch .LBB74_53
	.p2align	6
.LBB74_52:                              ;   in Loop: Header=BB74_53 Depth=2
	global_load_b32 v14, v9, s[2:3] glc
	s_cmpk_lt_u32 s26, 0xf43
	s_cselect_b32 s27, -1, 0
	s_delay_alu instid0(SALU_CYCLE_1)
	s_cmp_lg_u32 s27, 0
	s_addc_u32 s26, s26, 0
	s_waitcnt vmcnt(0)
	v_cmp_ne_u32_e32 vcc_lo, 0, v14
	s_cbranch_vccnz .LBB74_43
.LBB74_53:                              ;   Parent Loop BB74_14 Depth=1
                                        ; =>  This Loop Header: Depth=2
                                        ;       Child Loop BB74_54 Depth 3
	s_cmp_eq_u32 s26, 0
	s_mov_b32 s27, s26
	s_cbranch_scc1 .LBB74_52
.LBB74_54:                              ;   Parent Loop BB74_14 Depth=1
                                        ;     Parent Loop BB74_53 Depth=2
                                        ; =>    This Inner Loop Header: Depth=3
	s_add_i32 s27, s27, -1
	s_sleep 1
	s_cmp_eq_u32 s27, 0
	s_cbranch_scc0 .LBB74_54
	s_branch .LBB74_52
.LBB74_55:
	v_mov_b32_e32 v14, 0
	v_dual_mov_b32 v15, 0 :: v_dual_mov_b32 v16, 0
	v_mov_b32_e32 v17, 0x3ff00000
	s_cmp_lg_u32 s6, 0
	s_cbranch_scc1 .LBB74_58
	s_branch .LBB74_57
.LBB74_56:
	v_dual_mov_b32 v2, v18 :: v_dual_mov_b32 v3, v19
	v_dual_mov_b32 v0, v20 :: v_dual_mov_b32 v1, v21
	s_cmp_lg_u32 s6, 0
	s_cbranch_scc1 .LBB74_58
.LBB74_57:
	s_delay_alu instid0(VALU_DEP_2) | instskip(NEXT) | instid1(VALU_DEP_2)
	v_mul_f64 v[4:5], v[14:15], -v[2:3]
	v_mul_f64 v[6:7], v[14:15], v[0:1]
	s_delay_alu instid0(VALU_DEP_2) | instskip(NEXT) | instid1(VALU_DEP_2)
	v_fma_f64 v[0:1], v[0:1], v[16:17], v[4:5]
	v_fma_f64 v[2:3], v[2:3], v[16:17], v[6:7]
.LBB74_58:
	s_and_saveexec_b32 s1, s0
	s_cbranch_execz .LBB74_60
; %bb.59:
	s_lshl_b64 s[2:3], s[14:15], 4
	s_delay_alu instid0(SALU_CYCLE_1)
	v_add_co_u32 v4, vcc_lo, v22, s2
	v_add_co_ci_u32_e32 v5, vcc_lo, s3, v23, vcc_lo
	global_store_b128 v[4:5], v[0:3], off
.LBB74_60:
	s_or_b32 exec_lo, exec_lo, s1
	s_waitcnt_vscnt null, 0x0
	buffer_gl1_inv
	buffer_gl0_inv
	s_barrier
	buffer_gl0_inv
	s_mov_b32 s0, exec_lo
	v_cmpx_eq_u32_e32 0, v8
	s_cbranch_execz .LBB74_62
; %bb.61:
	s_add_i32 s0, s12, s7
	v_dual_mov_b32 v0, 0 :: v_dual_mov_b32 v1, 1
	s_ashr_i32 s1, s0, 31
	s_delay_alu instid0(SALU_CYCLE_1) | instskip(NEXT) | instid1(SALU_CYCLE_1)
	s_lshl_b64 s[0:1], s[0:1], 2
	s_add_u32 s0, s16, s0
	s_addc_u32 s1, s17, s1
	global_store_b32 v0, v1, s[0:1]
.LBB74_62:
	s_nop 0
	s_sendmsg sendmsg(MSG_DEALLOC_VGPRS)
	s_endpgm
	.section	.rodata,"a",@progbits
	.p2align	6, 0x0
	.amdhsa_kernel _ZN9rocsparseL5csrsmILj64ELj64ELb1Eli21rocsparse_complex_numIdEEEv20rocsparse_operation_T3_S4_NS_24const_host_device_scalarIT4_EEPKT2_PKS4_PKS6_PS6_lPiSC_PS4_21rocsparse_index_base_20rocsparse_fill_mode_20rocsparse_diag_type_b
		.amdhsa_group_segment_fixed_size 1792
		.amdhsa_private_segment_fixed_size 0
		.amdhsa_kernarg_size 112
		.amdhsa_user_sgpr_count 15
		.amdhsa_user_sgpr_dispatch_ptr 1
		.amdhsa_user_sgpr_queue_ptr 0
		.amdhsa_user_sgpr_kernarg_segment_ptr 1
		.amdhsa_user_sgpr_dispatch_id 0
		.amdhsa_user_sgpr_private_segment_size 0
		.amdhsa_wavefront_size32 1
		.amdhsa_uses_dynamic_stack 0
		.amdhsa_enable_private_segment 0
		.amdhsa_system_sgpr_workgroup_id_x 1
		.amdhsa_system_sgpr_workgroup_id_y 0
		.amdhsa_system_sgpr_workgroup_id_z 0
		.amdhsa_system_sgpr_workgroup_info 0
		.amdhsa_system_vgpr_workitem_id 2
		.amdhsa_next_free_vgpr 32
		.amdhsa_next_free_sgpr 28
		.amdhsa_reserve_vcc 1
		.amdhsa_float_round_mode_32 0
		.amdhsa_float_round_mode_16_64 0
		.amdhsa_float_denorm_mode_32 3
		.amdhsa_float_denorm_mode_16_64 3
		.amdhsa_dx10_clamp 1
		.amdhsa_ieee_mode 1
		.amdhsa_fp16_overflow 0
		.amdhsa_workgroup_processor_mode 1
		.amdhsa_memory_ordered 1
		.amdhsa_forward_progress 0
		.amdhsa_shared_vgpr_count 0
		.amdhsa_exception_fp_ieee_invalid_op 0
		.amdhsa_exception_fp_denorm_src 0
		.amdhsa_exception_fp_ieee_div_zero 0
		.amdhsa_exception_fp_ieee_overflow 0
		.amdhsa_exception_fp_ieee_underflow 0
		.amdhsa_exception_fp_ieee_inexact 0
		.amdhsa_exception_int_div_zero 0
	.end_amdhsa_kernel
	.section	.text._ZN9rocsparseL5csrsmILj64ELj64ELb1Eli21rocsparse_complex_numIdEEEv20rocsparse_operation_T3_S4_NS_24const_host_device_scalarIT4_EEPKT2_PKS4_PKS6_PS6_lPiSC_PS4_21rocsparse_index_base_20rocsparse_fill_mode_20rocsparse_diag_type_b,"axG",@progbits,_ZN9rocsparseL5csrsmILj64ELj64ELb1Eli21rocsparse_complex_numIdEEEv20rocsparse_operation_T3_S4_NS_24const_host_device_scalarIT4_EEPKT2_PKS4_PKS6_PS6_lPiSC_PS4_21rocsparse_index_base_20rocsparse_fill_mode_20rocsparse_diag_type_b,comdat
.Lfunc_end74:
	.size	_ZN9rocsparseL5csrsmILj64ELj64ELb1Eli21rocsparse_complex_numIdEEEv20rocsparse_operation_T3_S4_NS_24const_host_device_scalarIT4_EEPKT2_PKS4_PKS6_PS6_lPiSC_PS4_21rocsparse_index_base_20rocsparse_fill_mode_20rocsparse_diag_type_b, .Lfunc_end74-_ZN9rocsparseL5csrsmILj64ELj64ELb1Eli21rocsparse_complex_numIdEEEv20rocsparse_operation_T3_S4_NS_24const_host_device_scalarIT4_EEPKT2_PKS4_PKS6_PS6_lPiSC_PS4_21rocsparse_index_base_20rocsparse_fill_mode_20rocsparse_diag_type_b
                                        ; -- End function
	.section	.AMDGPU.csdata,"",@progbits
; Kernel info:
; codeLenInByte = 2572
; NumSgprs: 30
; NumVgprs: 32
; ScratchSize: 0
; MemoryBound: 1
; FloatMode: 240
; IeeeMode: 1
; LDSByteSize: 1792 bytes/workgroup (compile time only)
; SGPRBlocks: 3
; VGPRBlocks: 3
; NumSGPRsForWavesPerEU: 30
; NumVGPRsForWavesPerEU: 32
; Occupancy: 16
; WaveLimiterHint : 1
; COMPUTE_PGM_RSRC2:SCRATCH_EN: 0
; COMPUTE_PGM_RSRC2:USER_SGPR: 15
; COMPUTE_PGM_RSRC2:TRAP_HANDLER: 0
; COMPUTE_PGM_RSRC2:TGID_X_EN: 1
; COMPUTE_PGM_RSRC2:TGID_Y_EN: 0
; COMPUTE_PGM_RSRC2:TGID_Z_EN: 0
; COMPUTE_PGM_RSRC2:TIDIG_COMP_CNT: 2
	.section	.text._ZN9rocsparseL5csrsmILj64ELj64ELb0Eli21rocsparse_complex_numIdEEEv20rocsparse_operation_T3_S4_NS_24const_host_device_scalarIT4_EEPKT2_PKS4_PKS6_PS6_lPiSC_PS4_21rocsparse_index_base_20rocsparse_fill_mode_20rocsparse_diag_type_b,"axG",@progbits,_ZN9rocsparseL5csrsmILj64ELj64ELb0Eli21rocsparse_complex_numIdEEEv20rocsparse_operation_T3_S4_NS_24const_host_device_scalarIT4_EEPKT2_PKS4_PKS6_PS6_lPiSC_PS4_21rocsparse_index_base_20rocsparse_fill_mode_20rocsparse_diag_type_b,comdat
	.globl	_ZN9rocsparseL5csrsmILj64ELj64ELb0Eli21rocsparse_complex_numIdEEEv20rocsparse_operation_T3_S4_NS_24const_host_device_scalarIT4_EEPKT2_PKS4_PKS6_PS6_lPiSC_PS4_21rocsparse_index_base_20rocsparse_fill_mode_20rocsparse_diag_type_b ; -- Begin function _ZN9rocsparseL5csrsmILj64ELj64ELb0Eli21rocsparse_complex_numIdEEEv20rocsparse_operation_T3_S4_NS_24const_host_device_scalarIT4_EEPKT2_PKS4_PKS6_PS6_lPiSC_PS4_21rocsparse_index_base_20rocsparse_fill_mode_20rocsparse_diag_type_b
	.p2align	8
	.type	_ZN9rocsparseL5csrsmILj64ELj64ELb0Eli21rocsparse_complex_numIdEEEv20rocsparse_operation_T3_S4_NS_24const_host_device_scalarIT4_EEPKT2_PKS4_PKS6_PS6_lPiSC_PS4_21rocsparse_index_base_20rocsparse_fill_mode_20rocsparse_diag_type_b,@function
_ZN9rocsparseL5csrsmILj64ELj64ELb0Eli21rocsparse_complex_numIdEEEv20rocsparse_operation_T3_S4_NS_24const_host_device_scalarIT4_EEPKT2_PKS4_PKS6_PS6_lPiSC_PS4_21rocsparse_index_base_20rocsparse_fill_mode_20rocsparse_diag_type_b: ; @_ZN9rocsparseL5csrsmILj64ELj64ELb0Eli21rocsparse_complex_numIdEEEv20rocsparse_operation_T3_S4_NS_24const_host_device_scalarIT4_EEPKT2_PKS4_PKS6_PS6_lPiSC_PS4_21rocsparse_index_base_20rocsparse_fill_mode_20rocsparse_diag_type_b
; %bb.0:
	s_load_b64 s[0:1], s[0:1], 0x4
	s_load_b128 s[4:7], s[2:3], 0x60
	v_bfe_u32 v1, v0, 10, 10
	s_load_b128 s[8:11], s[2:3], 0x10
	v_and_b32_e32 v8, 0x3ff, v0
	v_bfe_u32 v0, v0, 20, 10
	s_mov_b64 s[12:13], src_shared_base
	s_waitcnt lgkmcnt(0)
	v_mul_u32_u24_e32 v1, s1, v1
	s_lshr_b32 s0, s0, 16
	s_delay_alu instid0(SALU_CYCLE_1)
	s_mul_i32 s0, s0, s1
	s_delay_alu instid0(VALU_DEP_1) | instid1(SALU_CYCLE_1)
	v_mad_u32_u24 v1, s0, v8, v1
	s_and_b32 s0, 1, s7
	s_delay_alu instid0(SALU_CYCLE_1) | instskip(SKIP_1) | instid1(VALU_DEP_1)
	s_cmp_eq_u32 s0, 1
	s_load_b64 s[0:1], s[2:3], 0x20
	v_add_lshl_u32 v4, v1, v0, 3
	s_cselect_b32 vcc_lo, -1, 0
	v_dual_mov_b32 v2, s8 :: v_dual_mov_b32 v3, s9
	v_dual_mov_b32 v6, s10 :: v_dual_mov_b32 v7, s11
	s_delay_alu instid0(VALU_DEP_3) | instskip(SKIP_4) | instid1(SALU_CYCLE_1)
	v_add_nc_u32_e32 v0, 0x500, v4
	ds_store_b64 v4, v[2:3] offset:1280
	v_cndmask_b32_e32 v0, s8, v0, vcc_lo
	s_and_b32 vcc_lo, vcc_lo, exec_lo
	s_cselect_b32 s7, s13, s9
	v_mov_b32_e32 v1, s7
	flat_load_b64 v[4:5], v[0:1]
	s_clause 0x1
	s_load_b64 s[12:13], s[2:3], 0x50
	s_load_b64 s[22:23], s[2:3], 0x38
	s_cbranch_vccnz .LBB75_2
; %bb.1:
	v_dual_mov_b32 v0, s8 :: v_dual_mov_b32 v1, s9
	flat_load_b64 v[6:7], v[0:1] offset:8
.LBB75_2:
	s_clause 0x1
	s_load_b128 s[16:19], s[2:3], 0x0
	s_load_b64 s[20:21], s[2:3], 0x40
	s_waitcnt lgkmcnt(0)
	v_cvt_f32_u32_e32 v0, s17
	s_sub_i32 s8, 0, s17
	s_delay_alu instid0(VALU_DEP_1) | instskip(SKIP_2) | instid1(VALU_DEP_1)
	v_rcp_iflag_f32_e32 v0, v0
	s_waitcnt_depctr 0xfff
	v_mul_f32_e32 v0, 0x4f7ffffe, v0
	v_cvt_u32_f32_e32 v0, v0
	s_delay_alu instid0(VALU_DEP_1) | instskip(NEXT) | instid1(VALU_DEP_1)
	v_readfirstlane_b32 s7, v0
	s_mul_i32 s8, s8, s7
	s_delay_alu instid0(SALU_CYCLE_1) | instskip(NEXT) | instid1(SALU_CYCLE_1)
	s_mul_hi_u32 s8, s7, s8
	s_add_i32 s7, s7, s8
	s_delay_alu instid0(SALU_CYCLE_1) | instskip(NEXT) | instid1(SALU_CYCLE_1)
	s_mul_hi_u32 s7, s15, s7
	s_mul_i32 s8, s7, s17
	s_add_i32 s9, s7, 1
	s_sub_i32 s8, s15, s8
	s_delay_alu instid0(SALU_CYCLE_1)
	s_sub_i32 s10, s8, s17
	s_cmp_ge_u32 s8, s17
	s_cselect_b32 s7, s9, s7
	s_cselect_b32 s8, s10, s8
	s_add_i32 s9, s7, 1
	s_cmp_ge_u32 s8, s17
	s_cselect_b32 s14, s9, s7
	s_delay_alu instid0(SALU_CYCLE_1) | instskip(SKIP_2) | instid1(SALU_CYCLE_1)
	s_mul_i32 s7, s14, s17
	v_lshl_or_b32 v9, s14, 6, v8
	s_sub_i32 s8, s15, s7
	s_ashr_i32 s9, s8, 31
	s_delay_alu instid0(VALU_DEP_1) | instskip(SKIP_1) | instid1(SALU_CYCLE_1)
	v_ashrrev_i32_e32 v10, 31, v9
	s_lshl_b64 s[8:9], s[8:9], 2
	s_add_u32 s8, s12, s8
	s_addc_u32 s9, s13, s9
	s_load_b32 s12, s[8:9], 0x0
	s_waitcnt lgkmcnt(0)
	s_ashr_i32 s13, s12, 31
	s_mul_i32 s14, s12, s20
	s_lshl_b64 s[8:9], s[12:13], 3
	v_add_co_u32 v11, vcc_lo, s14, v9
	s_add_u32 s0, s0, s8
	s_addc_u32 s1, s1, s9
	s_load_b128 s[8:11], s[0:1], 0x0
	s_mul_i32 s0, s12, s21
	s_mul_hi_u32 s1, s12, s20
	s_delay_alu instid0(SALU_CYCLE_1) | instskip(SKIP_1) | instid1(SALU_CYCLE_1)
	s_add_i32 s0, s1, s0
	s_mul_i32 s1, s13, s20
	s_add_i32 s15, s0, s1
	v_cmp_gt_i32_e64 s0, s18, v9
	v_add_co_ci_u32_e32 v12, vcc_lo, s15, v10, vcc_lo
	s_cmpk_lg_i32 s16, 0x71
	s_cbranch_scc0 .LBB75_6
; %bb.3:
	v_mov_b32_e32 v2, 0
	v_mov_b32_e32 v3, 0
	s_delay_alu instid0(VALU_DEP_1)
	v_dual_mov_b32 v0, v2 :: v_dual_mov_b32 v1, v3
	s_and_saveexec_b32 s1, s0
	s_cbranch_execz .LBB75_5
; %bb.4:
	v_lshlrev_b64 v[0:1], 4, v[11:12]
	s_delay_alu instid0(VALU_DEP_1) | instskip(NEXT) | instid1(VALU_DEP_2)
	v_add_co_u32 v0, vcc_lo, s22, v0
	v_add_co_ci_u32_e32 v1, vcc_lo, s23, v1, vcc_lo
	global_load_b128 v[13:16], v[0:1], off
	s_waitcnt vmcnt(0)
	v_mul_f64 v[0:1], v[15:16], -v[6:7]
	v_mul_f64 v[2:3], v[4:5], v[15:16]
	s_delay_alu instid0(VALU_DEP_2) | instskip(NEXT) | instid1(VALU_DEP_2)
	v_fma_f64 v[0:1], v[4:5], v[13:14], v[0:1]
	v_fma_f64 v[2:3], v[6:7], v[13:14], v[2:3]
.LBB75_5:
	s_or_b32 exec_lo, exec_lo, s1
	s_load_b64 s[16:17], s[2:3], 0x48
	s_cbranch_execz .LBB75_7
	s_branch .LBB75_10
.LBB75_6:
                                        ; implicit-def: $vgpr2_vgpr3
	s_load_b64 s[16:17], s[2:3], 0x48
.LBB75_7:
	v_mov_b32_e32 v2, 0
	v_mov_b32_e32 v3, 0
	s_delay_alu instid0(VALU_DEP_1)
	v_dual_mov_b32 v0, v2 :: v_dual_mov_b32 v1, v3
	s_and_saveexec_b32 s1, s0
	s_cbranch_execz .LBB75_9
; %bb.8:
	v_lshlrev_b64 v[0:1], 4, v[11:12]
	s_delay_alu instid0(VALU_DEP_1) | instskip(NEXT) | instid1(VALU_DEP_2)
	v_add_co_u32 v0, vcc_lo, s22, v0
	v_add_co_ci_u32_e32 v1, vcc_lo, s23, v1, vcc_lo
	global_load_b128 v[11:14], v[0:1], off
	s_waitcnt vmcnt(0)
	v_mul_f64 v[0:1], v[6:7], v[13:14]
	v_mul_f64 v[2:3], v[4:5], -v[13:14]
	s_delay_alu instid0(VALU_DEP_2) | instskip(NEXT) | instid1(VALU_DEP_2)
	v_fma_f64 v[0:1], v[4:5], v[11:12], v[0:1]
	v_fma_f64 v[2:3], v[6:7], v[11:12], v[2:3]
.LBB75_9:
	s_or_b32 exec_lo, exec_lo, s1
.LBB75_10:
	s_waitcnt vmcnt(0)
	v_lshlrev_b64 v[4:5], 4, v[9:10]
	s_waitcnt lgkmcnt(0)
	v_cmp_ge_i64_e64 s1, s[8:9], s[10:11]
	s_delay_alu instid0(VALU_DEP_2) | instskip(NEXT) | instid1(VALU_DEP_3)
	v_add_co_u32 v22, vcc_lo, s22, v4
	v_add_co_ci_u32_e32 v23, vcc_lo, s23, v5, vcc_lo
	s_delay_alu instid0(VALU_DEP_3)
	s_and_b32 vcc_lo, exec_lo, s1
	v_cmp_eq_u32_e64 s1, 0, v8
	s_cbranch_vccnz .LBB75_52
; %bb.11:
	s_clause 0x1
	s_load_b128 s[24:27], s[2:3], 0x28
	s_load_b64 s[18:19], s[2:3], 0x58
	v_dual_mov_b32 v9, 0 :: v_dual_lshlrev_b32 v4, 2, v8
	v_lshlrev_b32_e32 v24, 4, v8
	s_sub_u32 s8, s8, s4
	v_mov_b32_e32 v10, 0
	v_mov_b32_e32 v11, 0
	s_subb_u32 s9, s9, 0
	v_mov_b32_e32 v12, 0
	v_mov_b32_e32 v13, 0x3ff00000
	s_sub_u32 s10, s10, s4
	s_subb_u32 s11, s11, 0
	v_or_b32_e32 v25, 0x400, v4
	s_cmp_eq_u32 s6, 0
	s_mov_b64 s[22:23], s[8:9]
	s_cselect_b32 s13, -1, 0
	s_waitcnt lgkmcnt(0)
	v_add_co_u32 v26, s2, s24, v4
	s_delay_alu instid0(VALU_DEP_1) | instskip(SKIP_1) | instid1(VALU_DEP_1)
	v_add_co_ci_u32_e64 v27, null, s25, 0, s2
	v_add_co_u32 v28, s2, s26, v24
	v_add_co_ci_u32_e64 v29, null, s27, 0, s2
	s_add_i32 s24, s12, s4
	s_branch .LBB75_14
.LBB75_12:                              ;   in Loop: Header=BB75_14 Depth=1
	s_add_u32 s22, s22, 1
	s_addc_u32 s23, s23, 0
	s_delay_alu instid0(SALU_CYCLE_1)
	v_cmp_ge_i64_e64 s2, s[22:23], s[10:11]
.LBB75_13:                              ;   in Loop: Header=BB75_14 Depth=1
	s_delay_alu instid0(VALU_DEP_3) | instskip(NEXT) | instid1(VALU_DEP_4)
	v_dual_mov_b32 v2, v18 :: v_dual_mov_b32 v3, v19
	v_dual_mov_b32 v0, v20 :: v_dual_mov_b32 v1, v21
	s_delay_alu instid0(VALU_DEP_4) | instskip(NEXT) | instid1(VALU_DEP_4)
	v_dual_mov_b32 v10, v14 :: v_dual_mov_b32 v11, v15
	v_dual_mov_b32 v12, v16 :: v_dual_mov_b32 v13, v17
	s_and_not1_b32 vcc_lo, exec_lo, s2
	s_cbranch_vccz .LBB75_53
.LBB75_14:                              ; =>This Loop Header: Depth=1
                                        ;     Child Loop BB75_43 Depth 2
	s_sub_i32 s2, s22, s8
	s_delay_alu instid0(SALU_CYCLE_1) | instskip(NEXT) | instid1(SALU_CYCLE_1)
	s_and_b32 s3, s2, 63
	s_cmp_lg_u32 s3, 0
	s_cbranch_scc1 .LBB75_18
; %bb.15:                               ;   in Loop: Header=BB75_14 Depth=1
	v_mov_b32_e32 v6, 0
	v_dual_mov_b32 v7, 0 :: v_dual_mov_b32 v4, 0
	v_dual_mov_b32 v5, 0xbff00000 :: v_dual_mov_b32 v14, -1
	s_sub_u32 s26, s10, s22
	s_subb_u32 s27, s11, s23
	s_mov_b32 s2, exec_lo
	v_cmpx_gt_i64_e64 s[26:27], v[8:9]
	s_cbranch_execz .LBB75_17
; %bb.16:                               ;   in Loop: Header=BB75_14 Depth=1
	s_lshl_b64 s[26:27], s[22:23], 2
	s_delay_alu instid0(SALU_CYCLE_1)
	v_add_co_u32 v4, vcc_lo, v26, s26
	v_add_co_ci_u32_e32 v5, vcc_lo, s27, v27, vcc_lo
	s_lshl_b64 s[26:27], s[22:23], 4
	global_load_b32 v14, v[4:5], off
	v_add_co_u32 v4, vcc_lo, v28, s26
	v_add_co_ci_u32_e32 v5, vcc_lo, s27, v29, vcc_lo
	global_load_b128 v[4:7], v[4:5], off
	s_waitcnt vmcnt(1)
	v_subrev_nc_u32_e32 v14, s4, v14
.LBB75_17:                              ;   in Loop: Header=BB75_14 Depth=1
	s_or_b32 exec_lo, exec_lo, s2
	ds_store_b32 v25, v14
	s_waitcnt vmcnt(0)
	ds_store_b128 v24, v[4:7]
.LBB75_18:                              ;   in Loop: Header=BB75_14 Depth=1
	s_lshl_b32 s2, s3, 4
	s_waitcnt lgkmcnt(0)
	v_mov_b32_e32 v4, s2
	s_waitcnt_vscnt null, 0x0
	s_barrier
	buffer_gl0_inv
	s_lshl_b32 s3, s3, 2
	ds_load_b128 v[14:17], v4
	v_mov_b32_e32 v4, s3
	ds_load_b32 v4, v4 offset:1024
	s_waitcnt lgkmcnt(1)
	v_cmp_eq_f64_e32 vcc_lo, 0, v[14:15]
	v_cmp_eq_f64_e64 s2, 0, v[16:17]
	s_waitcnt lgkmcnt(0)
	v_readfirstlane_b32 s9, v4
	v_cmp_ne_u32_e64 s3, s12, v4
	s_delay_alu instid0(VALU_DEP_3) | instskip(NEXT) | instid1(VALU_DEP_2)
	s_and_b32 s2, vcc_lo, s2
	s_cmp_eq_u32 s9, s12
	s_cselect_b32 s26, -1, 0
	s_delay_alu instid0(SALU_CYCLE_1) | instskip(NEXT) | instid1(SALU_CYCLE_1)
	s_and_b32 s2, s2, s26
	s_and_b32 s2, s13, s2
	s_delay_alu instid0(SALU_CYCLE_1) | instskip(SKIP_4) | instid1(SALU_CYCLE_1)
	v_cndmask_b32_e64 v5, v17, 0, s2
	v_cndmask_b32_e64 v4, v16, 0, s2
	v_cndmask_b32_e64 v7, v15, 0x3ff00000, s2
	v_cndmask_b32_e64 v6, v14, 0, s2
	s_and_b32 s25, s1, s2
	s_and_saveexec_b32 s2, s25
	s_cbranch_execz .LBB75_22
; %bb.19:                               ;   in Loop: Header=BB75_14 Depth=1
	v_mbcnt_lo_u32_b32 v4, exec_lo, 0
	s_mov_b32 s25, exec_lo
	s_delay_alu instid0(VALU_DEP_1)
	v_cmpx_eq_u32_e32 0, v4
	s_cbranch_execz .LBB75_21
; %bb.20:                               ;   in Loop: Header=BB75_14 Depth=1
	v_mov_b32_e32 v4, s24
	global_atomic_min_i32 v9, v4, s[18:19]
.LBB75_21:                              ;   in Loop: Header=BB75_14 Depth=1
	s_or_b32 exec_lo, exec_lo, s25
	v_mov_b32_e32 v4, 0
	v_dual_mov_b32 v5, 0 :: v_dual_mov_b32 v6, 0
	v_mov_b32_e32 v7, 0x3ff00000
.LBB75_22:                              ;   in Loop: Header=BB75_14 Depth=1
	s_or_b32 exec_lo, exec_lo, s2
	s_cmp_lt_i32 s5, 1
	s_mov_b32 s2, 0
	s_cbranch_scc1 .LBB75_28
; %bb.23:                               ;   in Loop: Header=BB75_14 Depth=1
	s_cmp_eq_u32 s5, 1
	s_cbranch_scc0 .LBB75_29
; %bb.24:                               ;   in Loop: Header=BB75_14 Depth=1
	v_dual_mov_b32 v15, v11 :: v_dual_mov_b32 v14, v10
	v_dual_mov_b32 v17, v13 :: v_dual_mov_b32 v16, v12
	s_cmp_ge_i32 s9, s12
	s_mov_b32 s25, 0
	s_cbranch_scc0 .LBB75_31
; %bb.25:                               ;   in Loop: Header=BB75_14 Depth=1
	s_and_b32 vcc_lo, exec_lo, s26
	s_cbranch_vccz .LBB75_30
; %bb.26:                               ;   in Loop: Header=BB75_14 Depth=1
	v_dual_mov_b32 v15, v11 :: v_dual_mov_b32 v14, v10
	v_dual_mov_b32 v17, v13 :: v_dual_mov_b32 v16, v12
	s_and_not1_b32 vcc_lo, exec_lo, s13
	s_cbranch_vccnz .LBB75_31
; %bb.27:                               ;   in Loop: Header=BB75_14 Depth=1
	v_mul_f64 v[14:15], v[4:5], v[4:5]
	s_delay_alu instid0(VALU_DEP_1) | instskip(NEXT) | instid1(VALU_DEP_1)
	v_fma_f64 v[14:15], v[6:7], v[6:7], v[14:15]
	v_div_scale_f64 v[16:17], null, v[14:15], v[14:15], 1.0
	v_div_scale_f64 v[30:31], vcc_lo, 1.0, v[14:15], 1.0
	s_delay_alu instid0(VALU_DEP_2) | instskip(SKIP_2) | instid1(VALU_DEP_1)
	v_rcp_f64_e32 v[18:19], v[16:17]
	s_waitcnt_depctr 0xfff
	v_fma_f64 v[20:21], -v[16:17], v[18:19], 1.0
	v_fma_f64 v[18:19], v[18:19], v[20:21], v[18:19]
	s_delay_alu instid0(VALU_DEP_1) | instskip(NEXT) | instid1(VALU_DEP_1)
	v_fma_f64 v[20:21], -v[16:17], v[18:19], 1.0
	v_fma_f64 v[18:19], v[18:19], v[20:21], v[18:19]
	s_delay_alu instid0(VALU_DEP_1) | instskip(NEXT) | instid1(VALU_DEP_1)
	v_mul_f64 v[20:21], v[30:31], v[18:19]
	v_fma_f64 v[16:17], -v[16:17], v[20:21], v[30:31]
	s_delay_alu instid0(VALU_DEP_1) | instskip(SKIP_2) | instid1(VALU_DEP_3)
	v_div_fmas_f64 v[16:17], v[16:17], v[18:19], v[20:21]
	v_fma_f64 v[18:19], v[4:5], 0, v[6:7]
	v_fma_f64 v[20:21], v[6:7], 0, -v[4:5]
	v_div_fixup_f64 v[14:15], v[16:17], v[14:15], 1.0
	s_delay_alu instid0(VALU_DEP_1) | instskip(NEXT) | instid1(VALU_DEP_3)
	v_mul_f64 v[16:17], v[18:19], v[14:15]
	v_mul_f64 v[14:15], v[20:21], v[14:15]
	s_branch .LBB75_31
.LBB75_28:                              ;   in Loop: Header=BB75_14 Depth=1
	s_mov_b32 s25, 0
                                        ; implicit-def: $sgpr26
                                        ; implicit-def: $vgpr18_vgpr19
                                        ; implicit-def: $vgpr20_vgpr21
                                        ; implicit-def: $vgpr14_vgpr15
                                        ; implicit-def: $vgpr16_vgpr17
	s_cbranch_execnz .LBB75_32
	s_branch .LBB75_34
.LBB75_29:                              ;   in Loop: Header=BB75_14 Depth=1
	s_mov_b32 s25, -1
                                        ; implicit-def: $sgpr26
                                        ; implicit-def: $vgpr18_vgpr19
                                        ; implicit-def: $vgpr20_vgpr21
                                        ; implicit-def: $vgpr14_vgpr15
                                        ; implicit-def: $vgpr16_vgpr17
	s_branch .LBB75_34
.LBB75_30:                              ;   in Loop: Header=BB75_14 Depth=1
	s_mov_b32 s25, -1
                                        ; implicit-def: $vgpr14_vgpr15
                                        ; implicit-def: $vgpr16_vgpr17
.LBB75_31:                              ;   in Loop: Header=BB75_14 Depth=1
	v_dual_mov_b32 v19, v3 :: v_dual_mov_b32 v18, v2
	v_dual_mov_b32 v21, v1 :: v_dual_mov_b32 v20, v0
	s_mov_b32 s26, 4
	s_branch .LBB75_34
.LBB75_32:                              ;   in Loop: Header=BB75_14 Depth=1
	s_cmp_eq_u32 s5, 0
	s_cbranch_scc1 .LBB75_38
; %bb.33:                               ;   in Loop: Header=BB75_14 Depth=1
	s_mov_b32 s25, -1
                                        ; implicit-def: $sgpr26
                                        ; implicit-def: $vgpr18_vgpr19
                                        ; implicit-def: $vgpr20_vgpr21
                                        ; implicit-def: $vgpr14_vgpr15
                                        ; implicit-def: $vgpr16_vgpr17
.LBB75_34:                              ;   in Loop: Header=BB75_14 Depth=1
	s_delay_alu instid0(SALU_CYCLE_1)
	s_and_b32 vcc_lo, exec_lo, s25
	s_cbranch_vccnz .LBB75_41
.LBB75_35:                              ;   in Loop: Header=BB75_14 Depth=1
	s_and_b32 vcc_lo, exec_lo, s2
	s_cbranch_vccnz .LBB75_47
.LBB75_36:                              ;   in Loop: Header=BB75_14 Depth=1
	s_cmp_gt_i32 s26, 3
	s_mov_b32 s2, -1
	s_cbranch_scc1 .LBB75_50
.LBB75_37:                              ;   in Loop: Header=BB75_14 Depth=1
	s_cmp_eq_u32 s26, 0
	s_cselect_b32 s3, -1, 0
	s_delay_alu instid0(SALU_CYCLE_1)
	s_and_not1_b32 vcc_lo, exec_lo, s3
	s_cbranch_vccz .LBB75_12
	s_branch .LBB75_51
.LBB75_38:                              ;   in Loop: Header=BB75_14 Depth=1
	s_cmp_le_i32 s9, s12
	s_mov_b32 s25, 0
	s_cbranch_scc0 .LBB75_40
; %bb.39:                               ;   in Loop: Header=BB75_14 Depth=1
	s_mov_b32 s2, -1
	s_mov_b32 s25, s3
.LBB75_40:                              ;   in Loop: Header=BB75_14 Depth=1
	v_dual_mov_b32 v19, v3 :: v_dual_mov_b32 v18, v2
	v_dual_mov_b32 v21, v1 :: v_dual_mov_b32 v20, v0
	;; [unrolled: 1-line block ×4, first 2 shown]
	s_mov_b32 s26, 2
	s_and_b32 vcc_lo, exec_lo, s25
	s_cbranch_vccz .LBB75_35
.LBB75_41:                              ;   in Loop: Header=BB75_14 Depth=1
	s_and_saveexec_b32 s25, s1
	s_cbranch_execz .LBB75_44
; %bb.42:                               ;   in Loop: Header=BB75_14 Depth=1
	s_add_i32 s2, s9, s7
	s_delay_alu instid0(SALU_CYCLE_1) | instskip(NEXT) | instid1(SALU_CYCLE_1)
	s_ashr_i32 s3, s2, 31
	s_lshl_b64 s[2:3], s[2:3], 2
	s_delay_alu instid0(SALU_CYCLE_1)
	s_add_u32 s2, s16, s2
	s_addc_u32 s3, s17, s3
	global_load_b32 v14, v9, s[2:3] glc
	s_waitcnt vmcnt(0)
	v_cmp_ne_u32_e32 vcc_lo, 0, v14
	s_cbranch_vccnz .LBB75_44
.LBB75_43:                              ;   Parent Loop BB75_14 Depth=1
                                        ; =>  This Inner Loop Header: Depth=2
	global_load_b32 v14, v9, s[2:3] glc
	s_waitcnt vmcnt(0)
	v_cmp_eq_u32_e32 vcc_lo, 0, v14
	s_cbranch_vccnz .LBB75_43
.LBB75_44:                              ;   in Loop: Header=BB75_14 Depth=1
	s_or_b32 exec_lo, exec_lo, s25
	v_mov_b32_e32 v18, 0
	v_mov_b32_e32 v19, 0
	s_waitcnt_vscnt null, 0x0
	s_barrier
	buffer_gl0_inv
	buffer_gl1_inv
	buffer_gl0_inv
	v_dual_mov_b32 v21, v19 :: v_dual_mov_b32 v20, v18
	s_and_saveexec_b32 s2, s0
	s_cbranch_execz .LBB75_46
; %bb.45:                               ;   in Loop: Header=BB75_14 Depth=1
	s_mul_i32 s3, s9, s21
	s_mul_hi_u32 s25, s9, s20
	s_ashr_i32 s26, s9, 31
	s_add_i32 s3, s25, s3
	s_mul_i32 s26, s26, s20
	s_delay_alu instid0(SALU_CYCLE_1) | instskip(SKIP_1) | instid1(SALU_CYCLE_1)
	s_add_i32 s27, s3, s26
	s_mul_i32 s26, s9, s20
	s_lshl_b64 s[26:27], s[26:27], 4
	s_delay_alu instid0(SALU_CYCLE_1)
	v_add_co_u32 v14, vcc_lo, v22, s26
	v_add_co_ci_u32_e32 v15, vcc_lo, s27, v23, vcc_lo
	global_load_b128 v[14:17], v[14:15], off
	s_waitcnt vmcnt(0)
	v_fma_f64 v[18:19], -v[6:7], v[14:15], v[0:1]
	v_fma_f64 v[14:15], -v[4:5], v[14:15], v[2:3]
	s_delay_alu instid0(VALU_DEP_2) | instskip(NEXT) | instid1(VALU_DEP_2)
	v_fma_f64 v[20:21], v[4:5], v[16:17], v[18:19]
	v_fma_f64 v[18:19], -v[6:7], v[16:17], v[14:15]
.LBB75_46:                              ;   in Loop: Header=BB75_14 Depth=1
	s_or_b32 exec_lo, exec_lo, s2
	v_dual_mov_b32 v15, v11 :: v_dual_mov_b32 v14, v10
	v_dual_mov_b32 v17, v13 :: v_dual_mov_b32 v16, v12
	s_mov_b32 s26, 0
	s_branch .LBB75_36
.LBB75_47:                              ;   in Loop: Header=BB75_14 Depth=1
	s_and_not1_b32 vcc_lo, exec_lo, s13
	s_cbranch_vccnz .LBB75_49
; %bb.48:                               ;   in Loop: Header=BB75_14 Depth=1
	v_mul_f64 v[10:11], v[4:5], v[4:5]
	s_delay_alu instid0(VALU_DEP_1) | instskip(NEXT) | instid1(VALU_DEP_1)
	v_fma_f64 v[10:11], v[6:7], v[6:7], v[10:11]
	v_div_scale_f64 v[12:13], null, v[10:11], v[10:11], 1.0
	v_div_scale_f64 v[18:19], vcc_lo, 1.0, v[10:11], 1.0
	s_delay_alu instid0(VALU_DEP_2) | instskip(SKIP_2) | instid1(VALU_DEP_1)
	v_rcp_f64_e32 v[14:15], v[12:13]
	s_waitcnt_depctr 0xfff
	v_fma_f64 v[16:17], -v[12:13], v[14:15], 1.0
	v_fma_f64 v[14:15], v[14:15], v[16:17], v[14:15]
	s_delay_alu instid0(VALU_DEP_1) | instskip(NEXT) | instid1(VALU_DEP_1)
	v_fma_f64 v[16:17], -v[12:13], v[14:15], 1.0
	v_fma_f64 v[14:15], v[14:15], v[16:17], v[14:15]
	s_delay_alu instid0(VALU_DEP_1) | instskip(NEXT) | instid1(VALU_DEP_1)
	v_mul_f64 v[16:17], v[18:19], v[14:15]
	v_fma_f64 v[12:13], -v[12:13], v[16:17], v[18:19]
	s_delay_alu instid0(VALU_DEP_1) | instskip(SKIP_2) | instid1(VALU_DEP_3)
	v_div_fmas_f64 v[12:13], v[12:13], v[14:15], v[16:17]
	v_fma_f64 v[14:15], v[4:5], 0, v[6:7]
	v_fma_f64 v[4:5], v[6:7], 0, -v[4:5]
	v_div_fixup_f64 v[10:11], v[12:13], v[10:11], 1.0
	s_delay_alu instid0(VALU_DEP_1) | instskip(NEXT) | instid1(VALU_DEP_3)
	v_mul_f64 v[12:13], v[14:15], v[10:11]
	v_mul_f64 v[10:11], v[4:5], v[10:11]
.LBB75_49:                              ;   in Loop: Header=BB75_14 Depth=1
	s_delay_alu instid0(VALU_DEP_2) | instskip(NEXT) | instid1(VALU_DEP_2)
	v_dual_mov_b32 v17, v13 :: v_dual_mov_b32 v16, v12
	v_dual_mov_b32 v15, v11 :: v_dual_mov_b32 v14, v10
	;; [unrolled: 1-line block ×4, first 2 shown]
	s_mov_b32 s26, 2
	s_delay_alu instid0(SALU_CYCLE_1)
	s_cmp_gt_i32 s26, 3
	s_mov_b32 s2, -1
	s_cbranch_scc0 .LBB75_37
.LBB75_50:                              ;   in Loop: Header=BB75_14 Depth=1
	s_branch .LBB75_12
.LBB75_51:                              ;   in Loop: Header=BB75_14 Depth=1
                                        ; implicit-def: $sgpr22_sgpr23
	s_branch .LBB75_13
.LBB75_52:
	v_mov_b32_e32 v14, 0
	v_dual_mov_b32 v15, 0 :: v_dual_mov_b32 v16, 0
	v_mov_b32_e32 v17, 0x3ff00000
	s_cmp_lg_u32 s6, 0
	s_cbranch_scc1 .LBB75_55
	s_branch .LBB75_54
.LBB75_53:
	v_dual_mov_b32 v2, v18 :: v_dual_mov_b32 v3, v19
	v_dual_mov_b32 v0, v20 :: v_dual_mov_b32 v1, v21
	s_cmp_lg_u32 s6, 0
	s_cbranch_scc1 .LBB75_55
.LBB75_54:
	s_delay_alu instid0(VALU_DEP_2) | instskip(NEXT) | instid1(VALU_DEP_2)
	v_mul_f64 v[4:5], v[14:15], -v[2:3]
	v_mul_f64 v[6:7], v[14:15], v[0:1]
	s_delay_alu instid0(VALU_DEP_2) | instskip(NEXT) | instid1(VALU_DEP_2)
	v_fma_f64 v[0:1], v[0:1], v[16:17], v[4:5]
	v_fma_f64 v[2:3], v[2:3], v[16:17], v[6:7]
.LBB75_55:
	s_and_saveexec_b32 s1, s0
	s_cbranch_execz .LBB75_57
; %bb.56:
	s_lshl_b64 s[2:3], s[14:15], 4
	s_delay_alu instid0(SALU_CYCLE_1)
	v_add_co_u32 v4, vcc_lo, v22, s2
	v_add_co_ci_u32_e32 v5, vcc_lo, s3, v23, vcc_lo
	global_store_b128 v[4:5], v[0:3], off
.LBB75_57:
	s_or_b32 exec_lo, exec_lo, s1
	s_waitcnt_vscnt null, 0x0
	buffer_gl1_inv
	buffer_gl0_inv
	s_barrier
	buffer_gl0_inv
	s_mov_b32 s0, exec_lo
	v_cmpx_eq_u32_e32 0, v8
	s_cbranch_execz .LBB75_59
; %bb.58:
	s_add_i32 s0, s12, s7
	v_dual_mov_b32 v0, 0 :: v_dual_mov_b32 v1, 1
	s_ashr_i32 s1, s0, 31
	s_delay_alu instid0(SALU_CYCLE_1) | instskip(NEXT) | instid1(SALU_CYCLE_1)
	s_lshl_b64 s[0:1], s[0:1], 2
	s_add_u32 s0, s16, s0
	s_addc_u32 s1, s17, s1
	global_store_b32 v0, v1, s[0:1]
.LBB75_59:
	s_nop 0
	s_sendmsg sendmsg(MSG_DEALLOC_VGPRS)
	s_endpgm
	.section	.rodata,"a",@progbits
	.p2align	6, 0x0
	.amdhsa_kernel _ZN9rocsparseL5csrsmILj64ELj64ELb0Eli21rocsparse_complex_numIdEEEv20rocsparse_operation_T3_S4_NS_24const_host_device_scalarIT4_EEPKT2_PKS4_PKS6_PS6_lPiSC_PS4_21rocsparse_index_base_20rocsparse_fill_mode_20rocsparse_diag_type_b
		.amdhsa_group_segment_fixed_size 1792
		.amdhsa_private_segment_fixed_size 0
		.amdhsa_kernarg_size 112
		.amdhsa_user_sgpr_count 15
		.amdhsa_user_sgpr_dispatch_ptr 1
		.amdhsa_user_sgpr_queue_ptr 0
		.amdhsa_user_sgpr_kernarg_segment_ptr 1
		.amdhsa_user_sgpr_dispatch_id 0
		.amdhsa_user_sgpr_private_segment_size 0
		.amdhsa_wavefront_size32 1
		.amdhsa_uses_dynamic_stack 0
		.amdhsa_enable_private_segment 0
		.amdhsa_system_sgpr_workgroup_id_x 1
		.amdhsa_system_sgpr_workgroup_id_y 0
		.amdhsa_system_sgpr_workgroup_id_z 0
		.amdhsa_system_sgpr_workgroup_info 0
		.amdhsa_system_vgpr_workitem_id 2
		.amdhsa_next_free_vgpr 32
		.amdhsa_next_free_sgpr 28
		.amdhsa_reserve_vcc 1
		.amdhsa_float_round_mode_32 0
		.amdhsa_float_round_mode_16_64 0
		.amdhsa_float_denorm_mode_32 3
		.amdhsa_float_denorm_mode_16_64 3
		.amdhsa_dx10_clamp 1
		.amdhsa_ieee_mode 1
		.amdhsa_fp16_overflow 0
		.amdhsa_workgroup_processor_mode 1
		.amdhsa_memory_ordered 1
		.amdhsa_forward_progress 0
		.amdhsa_shared_vgpr_count 0
		.amdhsa_exception_fp_ieee_invalid_op 0
		.amdhsa_exception_fp_denorm_src 0
		.amdhsa_exception_fp_ieee_div_zero 0
		.amdhsa_exception_fp_ieee_overflow 0
		.amdhsa_exception_fp_ieee_underflow 0
		.amdhsa_exception_fp_ieee_inexact 0
		.amdhsa_exception_int_div_zero 0
	.end_amdhsa_kernel
	.section	.text._ZN9rocsparseL5csrsmILj64ELj64ELb0Eli21rocsparse_complex_numIdEEEv20rocsparse_operation_T3_S4_NS_24const_host_device_scalarIT4_EEPKT2_PKS4_PKS6_PS6_lPiSC_PS4_21rocsparse_index_base_20rocsparse_fill_mode_20rocsparse_diag_type_b,"axG",@progbits,_ZN9rocsparseL5csrsmILj64ELj64ELb0Eli21rocsparse_complex_numIdEEEv20rocsparse_operation_T3_S4_NS_24const_host_device_scalarIT4_EEPKT2_PKS4_PKS6_PS6_lPiSC_PS4_21rocsparse_index_base_20rocsparse_fill_mode_20rocsparse_diag_type_b,comdat
.Lfunc_end75:
	.size	_ZN9rocsparseL5csrsmILj64ELj64ELb0Eli21rocsparse_complex_numIdEEEv20rocsparse_operation_T3_S4_NS_24const_host_device_scalarIT4_EEPKT2_PKS4_PKS6_PS6_lPiSC_PS4_21rocsparse_index_base_20rocsparse_fill_mode_20rocsparse_diag_type_b, .Lfunc_end75-_ZN9rocsparseL5csrsmILj64ELj64ELb0Eli21rocsparse_complex_numIdEEEv20rocsparse_operation_T3_S4_NS_24const_host_device_scalarIT4_EEPKT2_PKS4_PKS6_PS6_lPiSC_PS4_21rocsparse_index_base_20rocsparse_fill_mode_20rocsparse_diag_type_b
                                        ; -- End function
	.section	.AMDGPU.csdata,"",@progbits
; Kernel info:
; codeLenInByte = 2512
; NumSgprs: 30
; NumVgprs: 32
; ScratchSize: 0
; MemoryBound: 1
; FloatMode: 240
; IeeeMode: 1
; LDSByteSize: 1792 bytes/workgroup (compile time only)
; SGPRBlocks: 3
; VGPRBlocks: 3
; NumSGPRsForWavesPerEU: 30
; NumVGPRsForWavesPerEU: 32
; Occupancy: 16
; WaveLimiterHint : 1
; COMPUTE_PGM_RSRC2:SCRATCH_EN: 0
; COMPUTE_PGM_RSRC2:USER_SGPR: 15
; COMPUTE_PGM_RSRC2:TRAP_HANDLER: 0
; COMPUTE_PGM_RSRC2:TGID_X_EN: 1
; COMPUTE_PGM_RSRC2:TGID_Y_EN: 0
; COMPUTE_PGM_RSRC2:TGID_Z_EN: 0
; COMPUTE_PGM_RSRC2:TIDIG_COMP_CNT: 2
	.section	.text._ZN9rocsparseL5csrsmILj128ELj64ELb1Eli21rocsparse_complex_numIdEEEv20rocsparse_operation_T3_S4_NS_24const_host_device_scalarIT4_EEPKT2_PKS4_PKS6_PS6_lPiSC_PS4_21rocsparse_index_base_20rocsparse_fill_mode_20rocsparse_diag_type_b,"axG",@progbits,_ZN9rocsparseL5csrsmILj128ELj64ELb1Eli21rocsparse_complex_numIdEEEv20rocsparse_operation_T3_S4_NS_24const_host_device_scalarIT4_EEPKT2_PKS4_PKS6_PS6_lPiSC_PS4_21rocsparse_index_base_20rocsparse_fill_mode_20rocsparse_diag_type_b,comdat
	.globl	_ZN9rocsparseL5csrsmILj128ELj64ELb1Eli21rocsparse_complex_numIdEEEv20rocsparse_operation_T3_S4_NS_24const_host_device_scalarIT4_EEPKT2_PKS4_PKS6_PS6_lPiSC_PS4_21rocsparse_index_base_20rocsparse_fill_mode_20rocsparse_diag_type_b ; -- Begin function _ZN9rocsparseL5csrsmILj128ELj64ELb1Eli21rocsparse_complex_numIdEEEv20rocsparse_operation_T3_S4_NS_24const_host_device_scalarIT4_EEPKT2_PKS4_PKS6_PS6_lPiSC_PS4_21rocsparse_index_base_20rocsparse_fill_mode_20rocsparse_diag_type_b
	.p2align	8
	.type	_ZN9rocsparseL5csrsmILj128ELj64ELb1Eli21rocsparse_complex_numIdEEEv20rocsparse_operation_T3_S4_NS_24const_host_device_scalarIT4_EEPKT2_PKS4_PKS6_PS6_lPiSC_PS4_21rocsparse_index_base_20rocsparse_fill_mode_20rocsparse_diag_type_b,@function
_ZN9rocsparseL5csrsmILj128ELj64ELb1Eli21rocsparse_complex_numIdEEEv20rocsparse_operation_T3_S4_NS_24const_host_device_scalarIT4_EEPKT2_PKS4_PKS6_PS6_lPiSC_PS4_21rocsparse_index_base_20rocsparse_fill_mode_20rocsparse_diag_type_b: ; @_ZN9rocsparseL5csrsmILj128ELj64ELb1Eli21rocsparse_complex_numIdEEEv20rocsparse_operation_T3_S4_NS_24const_host_device_scalarIT4_EEPKT2_PKS4_PKS6_PS6_lPiSC_PS4_21rocsparse_index_base_20rocsparse_fill_mode_20rocsparse_diag_type_b
; %bb.0:
	s_load_b64 s[0:1], s[0:1], 0x4
	s_load_b128 s[4:7], s[2:3], 0x60
	v_bfe_u32 v1, v0, 10, 10
	s_load_b128 s[8:11], s[2:3], 0x10
	v_and_b32_e32 v8, 0x3ff, v0
	v_bfe_u32 v0, v0, 20, 10
	s_mov_b64 s[12:13], src_shared_base
	s_waitcnt lgkmcnt(0)
	v_mul_u32_u24_e32 v1, s1, v1
	s_lshr_b32 s0, s0, 16
	s_delay_alu instid0(SALU_CYCLE_1)
	s_mul_i32 s0, s0, s1
	s_delay_alu instid0(VALU_DEP_1) | instid1(SALU_CYCLE_1)
	v_mad_u32_u24 v1, s0, v8, v1
	s_and_b32 s0, 1, s7
	s_delay_alu instid0(SALU_CYCLE_1) | instskip(SKIP_1) | instid1(VALU_DEP_1)
	s_cmp_eq_u32 s0, 1
	s_load_b64 s[0:1], s[2:3], 0x20
	v_add_lshl_u32 v4, v1, v0, 3
	s_cselect_b32 vcc_lo, -1, 0
	v_dual_mov_b32 v2, s8 :: v_dual_mov_b32 v3, s9
	v_dual_mov_b32 v6, s10 :: v_dual_mov_b32 v7, s11
	s_delay_alu instid0(VALU_DEP_3) | instskip(SKIP_4) | instid1(SALU_CYCLE_1)
	v_add_nc_u32_e32 v0, 0xa00, v4
	ds_store_b64 v4, v[2:3] offset:2560
	v_cndmask_b32_e32 v0, s8, v0, vcc_lo
	s_and_b32 vcc_lo, vcc_lo, exec_lo
	s_cselect_b32 s7, s13, s9
	v_mov_b32_e32 v1, s7
	flat_load_b64 v[4:5], v[0:1]
	s_clause 0x1
	s_load_b64 s[12:13], s[2:3], 0x50
	s_load_b64 s[22:23], s[2:3], 0x38
	s_cbranch_vccnz .LBB76_2
; %bb.1:
	v_dual_mov_b32 v0, s8 :: v_dual_mov_b32 v1, s9
	flat_load_b64 v[6:7], v[0:1] offset:8
.LBB76_2:
	s_clause 0x1
	s_load_b128 s[16:19], s[2:3], 0x0
	s_load_b64 s[20:21], s[2:3], 0x40
	s_waitcnt lgkmcnt(0)
	v_cvt_f32_u32_e32 v0, s17
	s_sub_i32 s8, 0, s17
	s_delay_alu instid0(VALU_DEP_1) | instskip(SKIP_2) | instid1(VALU_DEP_1)
	v_rcp_iflag_f32_e32 v0, v0
	s_waitcnt_depctr 0xfff
	v_mul_f32_e32 v0, 0x4f7ffffe, v0
	v_cvt_u32_f32_e32 v0, v0
	s_delay_alu instid0(VALU_DEP_1) | instskip(NEXT) | instid1(VALU_DEP_1)
	v_readfirstlane_b32 s7, v0
	s_mul_i32 s8, s8, s7
	s_delay_alu instid0(SALU_CYCLE_1) | instskip(NEXT) | instid1(SALU_CYCLE_1)
	s_mul_hi_u32 s8, s7, s8
	s_add_i32 s7, s7, s8
	s_delay_alu instid0(SALU_CYCLE_1) | instskip(NEXT) | instid1(SALU_CYCLE_1)
	s_mul_hi_u32 s7, s15, s7
	s_mul_i32 s8, s7, s17
	s_add_i32 s9, s7, 1
	s_sub_i32 s8, s15, s8
	s_delay_alu instid0(SALU_CYCLE_1)
	s_sub_i32 s10, s8, s17
	s_cmp_ge_u32 s8, s17
	s_cselect_b32 s7, s9, s7
	s_cselect_b32 s8, s10, s8
	s_add_i32 s9, s7, 1
	s_cmp_ge_u32 s8, s17
	s_cselect_b32 s14, s9, s7
	s_delay_alu instid0(SALU_CYCLE_1) | instskip(SKIP_2) | instid1(SALU_CYCLE_1)
	s_mul_i32 s7, s14, s17
	v_lshl_or_b32 v9, s14, 7, v8
	s_sub_i32 s8, s15, s7
	s_ashr_i32 s9, s8, 31
	s_delay_alu instid0(VALU_DEP_1) | instskip(SKIP_1) | instid1(SALU_CYCLE_1)
	v_ashrrev_i32_e32 v10, 31, v9
	s_lshl_b64 s[8:9], s[8:9], 2
	s_add_u32 s8, s12, s8
	s_addc_u32 s9, s13, s9
	s_load_b32 s12, s[8:9], 0x0
	s_waitcnt lgkmcnt(0)
	s_ashr_i32 s13, s12, 31
	s_mul_i32 s14, s12, s20
	s_lshl_b64 s[8:9], s[12:13], 3
	v_add_co_u32 v11, vcc_lo, s14, v9
	s_add_u32 s0, s0, s8
	s_addc_u32 s1, s1, s9
	s_load_b128 s[8:11], s[0:1], 0x0
	s_mul_i32 s0, s12, s21
	s_mul_hi_u32 s1, s12, s20
	s_delay_alu instid0(SALU_CYCLE_1) | instskip(SKIP_1) | instid1(SALU_CYCLE_1)
	s_add_i32 s0, s1, s0
	s_mul_i32 s1, s13, s20
	s_add_i32 s15, s0, s1
	v_cmp_gt_i32_e64 s0, s18, v9
	v_add_co_ci_u32_e32 v12, vcc_lo, s15, v10, vcc_lo
	s_cmpk_lg_i32 s16, 0x71
	s_cbranch_scc0 .LBB76_6
; %bb.3:
	v_mov_b32_e32 v2, 0
	v_mov_b32_e32 v3, 0
	s_delay_alu instid0(VALU_DEP_1)
	v_dual_mov_b32 v0, v2 :: v_dual_mov_b32 v1, v3
	s_and_saveexec_b32 s1, s0
	s_cbranch_execz .LBB76_5
; %bb.4:
	v_lshlrev_b64 v[0:1], 4, v[11:12]
	s_delay_alu instid0(VALU_DEP_1) | instskip(NEXT) | instid1(VALU_DEP_2)
	v_add_co_u32 v0, vcc_lo, s22, v0
	v_add_co_ci_u32_e32 v1, vcc_lo, s23, v1, vcc_lo
	global_load_b128 v[13:16], v[0:1], off
	s_waitcnt vmcnt(0)
	v_mul_f64 v[0:1], v[15:16], -v[6:7]
	v_mul_f64 v[2:3], v[4:5], v[15:16]
	s_delay_alu instid0(VALU_DEP_2) | instskip(NEXT) | instid1(VALU_DEP_2)
	v_fma_f64 v[0:1], v[4:5], v[13:14], v[0:1]
	v_fma_f64 v[2:3], v[6:7], v[13:14], v[2:3]
.LBB76_5:
	s_or_b32 exec_lo, exec_lo, s1
	s_load_b64 s[16:17], s[2:3], 0x48
	s_cbranch_execz .LBB76_7
	s_branch .LBB76_10
.LBB76_6:
                                        ; implicit-def: $vgpr2_vgpr3
	s_load_b64 s[16:17], s[2:3], 0x48
.LBB76_7:
	v_mov_b32_e32 v2, 0
	v_mov_b32_e32 v3, 0
	s_delay_alu instid0(VALU_DEP_1)
	v_dual_mov_b32 v0, v2 :: v_dual_mov_b32 v1, v3
	s_and_saveexec_b32 s1, s0
	s_cbranch_execz .LBB76_9
; %bb.8:
	v_lshlrev_b64 v[0:1], 4, v[11:12]
	s_delay_alu instid0(VALU_DEP_1) | instskip(NEXT) | instid1(VALU_DEP_2)
	v_add_co_u32 v0, vcc_lo, s22, v0
	v_add_co_ci_u32_e32 v1, vcc_lo, s23, v1, vcc_lo
	global_load_b128 v[11:14], v[0:1], off
	s_waitcnt vmcnt(0)
	v_mul_f64 v[0:1], v[6:7], v[13:14]
	v_mul_f64 v[2:3], v[4:5], -v[13:14]
	s_delay_alu instid0(VALU_DEP_2) | instskip(NEXT) | instid1(VALU_DEP_2)
	v_fma_f64 v[0:1], v[4:5], v[11:12], v[0:1]
	v_fma_f64 v[2:3], v[6:7], v[11:12], v[2:3]
.LBB76_9:
	s_or_b32 exec_lo, exec_lo, s1
.LBB76_10:
	s_waitcnt vmcnt(0)
	v_lshlrev_b64 v[4:5], 4, v[9:10]
	s_waitcnt lgkmcnt(0)
	v_cmp_ge_i64_e64 s1, s[8:9], s[10:11]
	s_delay_alu instid0(VALU_DEP_2) | instskip(NEXT) | instid1(VALU_DEP_3)
	v_add_co_u32 v22, vcc_lo, s22, v4
	v_add_co_ci_u32_e32 v23, vcc_lo, s23, v5, vcc_lo
	s_delay_alu instid0(VALU_DEP_3)
	s_and_b32 vcc_lo, exec_lo, s1
	v_cmp_eq_u32_e64 s1, 0, v8
	s_cbranch_vccnz .LBB76_55
; %bb.11:
	s_clause 0x1
	s_load_b128 s[24:27], s[2:3], 0x28
	s_load_b64 s[18:19], s[2:3], 0x58
	v_dual_mov_b32 v9, 0 :: v_dual_lshlrev_b32 v4, 2, v8
	v_lshlrev_b32_e32 v24, 4, v8
	s_sub_u32 s8, s8, s4
	v_mov_b32_e32 v10, 0
	v_mov_b32_e32 v11, 0
	s_subb_u32 s9, s9, 0
	v_mov_b32_e32 v12, 0
	v_mov_b32_e32 v13, 0x3ff00000
	s_sub_u32 s10, s10, s4
	s_subb_u32 s11, s11, 0
	v_or_b32_e32 v25, 0x800, v4
	s_cmp_eq_u32 s6, 0
	s_mov_b64 s[22:23], s[8:9]
	s_cselect_b32 s13, -1, 0
	s_waitcnt lgkmcnt(0)
	v_add_co_u32 v26, s2, s24, v4
	s_delay_alu instid0(VALU_DEP_1) | instskip(SKIP_1) | instid1(VALU_DEP_1)
	v_add_co_ci_u32_e64 v27, null, s25, 0, s2
	v_add_co_u32 v28, s2, s26, v24
	v_add_co_ci_u32_e64 v29, null, s27, 0, s2
	s_add_i32 s24, s12, s4
	s_branch .LBB76_14
.LBB76_12:                              ;   in Loop: Header=BB76_14 Depth=1
	s_add_u32 s22, s22, 1
	s_addc_u32 s23, s23, 0
	s_delay_alu instid0(SALU_CYCLE_1)
	v_cmp_ge_i64_e64 s2, s[22:23], s[10:11]
.LBB76_13:                              ;   in Loop: Header=BB76_14 Depth=1
	s_delay_alu instid0(VALU_DEP_3) | instskip(NEXT) | instid1(VALU_DEP_4)
	v_dual_mov_b32 v2, v18 :: v_dual_mov_b32 v3, v19
	v_dual_mov_b32 v0, v20 :: v_dual_mov_b32 v1, v21
	s_delay_alu instid0(VALU_DEP_4) | instskip(NEXT) | instid1(VALU_DEP_4)
	v_dual_mov_b32 v10, v14 :: v_dual_mov_b32 v11, v15
	v_dual_mov_b32 v12, v16 :: v_dual_mov_b32 v13, v17
	s_and_not1_b32 vcc_lo, exec_lo, s2
	s_cbranch_vccz .LBB76_56
.LBB76_14:                              ; =>This Loop Header: Depth=1
                                        ;     Child Loop BB76_53 Depth 2
                                        ;       Child Loop BB76_54 Depth 3
	s_sub_i32 s2, s22, s8
	s_delay_alu instid0(SALU_CYCLE_1) | instskip(NEXT) | instid1(SALU_CYCLE_1)
	s_and_b32 s3, s2, 0x7f
	s_cmp_lg_u32 s3, 0
	s_cbranch_scc1 .LBB76_18
; %bb.15:                               ;   in Loop: Header=BB76_14 Depth=1
	v_mov_b32_e32 v6, 0
	v_dual_mov_b32 v7, 0 :: v_dual_mov_b32 v4, 0
	v_dual_mov_b32 v5, 0xbff00000 :: v_dual_mov_b32 v14, -1
	s_sub_u32 s26, s10, s22
	s_subb_u32 s27, s11, s23
	s_mov_b32 s2, exec_lo
	v_cmpx_gt_i64_e64 s[26:27], v[8:9]
	s_cbranch_execz .LBB76_17
; %bb.16:                               ;   in Loop: Header=BB76_14 Depth=1
	s_lshl_b64 s[26:27], s[22:23], 2
	s_delay_alu instid0(SALU_CYCLE_1)
	v_add_co_u32 v4, vcc_lo, v26, s26
	v_add_co_ci_u32_e32 v5, vcc_lo, s27, v27, vcc_lo
	s_lshl_b64 s[26:27], s[22:23], 4
	global_load_b32 v14, v[4:5], off
	v_add_co_u32 v4, vcc_lo, v28, s26
	v_add_co_ci_u32_e32 v5, vcc_lo, s27, v29, vcc_lo
	global_load_b128 v[4:7], v[4:5], off
	s_waitcnt vmcnt(1)
	v_subrev_nc_u32_e32 v14, s4, v14
.LBB76_17:                              ;   in Loop: Header=BB76_14 Depth=1
	s_or_b32 exec_lo, exec_lo, s2
	ds_store_b32 v25, v14
	s_waitcnt vmcnt(0)
	ds_store_b128 v24, v[4:7]
.LBB76_18:                              ;   in Loop: Header=BB76_14 Depth=1
	s_lshl_b32 s2, s3, 4
	s_waitcnt lgkmcnt(0)
	v_mov_b32_e32 v4, s2
	s_waitcnt_vscnt null, 0x0
	s_barrier
	buffer_gl0_inv
	s_lshl_b32 s3, s3, 2
	ds_load_b128 v[14:17], v4
	v_mov_b32_e32 v4, s3
	ds_load_b32 v4, v4 offset:2048
	s_waitcnt lgkmcnt(1)
	v_cmp_eq_f64_e32 vcc_lo, 0, v[14:15]
	v_cmp_eq_f64_e64 s2, 0, v[16:17]
	s_waitcnt lgkmcnt(0)
	v_readfirstlane_b32 s9, v4
	v_cmp_ne_u32_e64 s3, s12, v4
	s_delay_alu instid0(VALU_DEP_3) | instskip(NEXT) | instid1(VALU_DEP_2)
	s_and_b32 s2, vcc_lo, s2
	s_cmp_eq_u32 s9, s12
	s_cselect_b32 s26, -1, 0
	s_delay_alu instid0(SALU_CYCLE_1) | instskip(NEXT) | instid1(SALU_CYCLE_1)
	s_and_b32 s2, s2, s26
	s_and_b32 s2, s13, s2
	s_delay_alu instid0(SALU_CYCLE_1) | instskip(SKIP_4) | instid1(SALU_CYCLE_1)
	v_cndmask_b32_e64 v5, v17, 0, s2
	v_cndmask_b32_e64 v4, v16, 0, s2
	;; [unrolled: 1-line block ×4, first 2 shown]
	s_and_b32 s25, s1, s2
	s_and_saveexec_b32 s2, s25
	s_cbranch_execz .LBB76_22
; %bb.19:                               ;   in Loop: Header=BB76_14 Depth=1
	v_mbcnt_lo_u32_b32 v4, exec_lo, 0
	s_mov_b32 s25, exec_lo
	s_delay_alu instid0(VALU_DEP_1)
	v_cmpx_eq_u32_e32 0, v4
	s_cbranch_execz .LBB76_21
; %bb.20:                               ;   in Loop: Header=BB76_14 Depth=1
	v_mov_b32_e32 v4, s24
	global_atomic_min_i32 v9, v4, s[18:19]
.LBB76_21:                              ;   in Loop: Header=BB76_14 Depth=1
	s_or_b32 exec_lo, exec_lo, s25
	v_mov_b32_e32 v4, 0
	v_dual_mov_b32 v5, 0 :: v_dual_mov_b32 v6, 0
	v_mov_b32_e32 v7, 0x3ff00000
.LBB76_22:                              ;   in Loop: Header=BB76_14 Depth=1
	s_or_b32 exec_lo, exec_lo, s2
	s_cmp_lt_i32 s5, 1
	s_mov_b32 s2, 0
	s_cbranch_scc1 .LBB76_28
; %bb.23:                               ;   in Loop: Header=BB76_14 Depth=1
	s_cmp_eq_u32 s5, 1
	s_cbranch_scc0 .LBB76_29
; %bb.24:                               ;   in Loop: Header=BB76_14 Depth=1
	v_dual_mov_b32 v15, v11 :: v_dual_mov_b32 v14, v10
	v_dual_mov_b32 v17, v13 :: v_dual_mov_b32 v16, v12
	s_cmp_ge_i32 s9, s12
	s_mov_b32 s25, 0
	s_cbranch_scc0 .LBB76_31
; %bb.25:                               ;   in Loop: Header=BB76_14 Depth=1
	s_and_b32 vcc_lo, exec_lo, s26
	s_cbranch_vccz .LBB76_30
; %bb.26:                               ;   in Loop: Header=BB76_14 Depth=1
	v_dual_mov_b32 v15, v11 :: v_dual_mov_b32 v14, v10
	v_dual_mov_b32 v17, v13 :: v_dual_mov_b32 v16, v12
	s_and_not1_b32 vcc_lo, exec_lo, s13
	s_cbranch_vccnz .LBB76_31
; %bb.27:                               ;   in Loop: Header=BB76_14 Depth=1
	v_mul_f64 v[14:15], v[4:5], v[4:5]
	s_delay_alu instid0(VALU_DEP_1) | instskip(NEXT) | instid1(VALU_DEP_1)
	v_fma_f64 v[14:15], v[6:7], v[6:7], v[14:15]
	v_div_scale_f64 v[16:17], null, v[14:15], v[14:15], 1.0
	v_div_scale_f64 v[30:31], vcc_lo, 1.0, v[14:15], 1.0
	s_delay_alu instid0(VALU_DEP_2) | instskip(SKIP_2) | instid1(VALU_DEP_1)
	v_rcp_f64_e32 v[18:19], v[16:17]
	s_waitcnt_depctr 0xfff
	v_fma_f64 v[20:21], -v[16:17], v[18:19], 1.0
	v_fma_f64 v[18:19], v[18:19], v[20:21], v[18:19]
	s_delay_alu instid0(VALU_DEP_1) | instskip(NEXT) | instid1(VALU_DEP_1)
	v_fma_f64 v[20:21], -v[16:17], v[18:19], 1.0
	v_fma_f64 v[18:19], v[18:19], v[20:21], v[18:19]
	s_delay_alu instid0(VALU_DEP_1) | instskip(NEXT) | instid1(VALU_DEP_1)
	v_mul_f64 v[20:21], v[30:31], v[18:19]
	v_fma_f64 v[16:17], -v[16:17], v[20:21], v[30:31]
	s_delay_alu instid0(VALU_DEP_1) | instskip(SKIP_2) | instid1(VALU_DEP_3)
	v_div_fmas_f64 v[16:17], v[16:17], v[18:19], v[20:21]
	v_fma_f64 v[18:19], v[4:5], 0, v[6:7]
	v_fma_f64 v[20:21], v[6:7], 0, -v[4:5]
	v_div_fixup_f64 v[14:15], v[16:17], v[14:15], 1.0
	s_delay_alu instid0(VALU_DEP_1) | instskip(NEXT) | instid1(VALU_DEP_3)
	v_mul_f64 v[16:17], v[18:19], v[14:15]
	v_mul_f64 v[14:15], v[20:21], v[14:15]
	s_branch .LBB76_31
.LBB76_28:                              ;   in Loop: Header=BB76_14 Depth=1
	s_mov_b32 s25, 0
                                        ; implicit-def: $sgpr26
                                        ; implicit-def: $vgpr18_vgpr19
                                        ; implicit-def: $vgpr20_vgpr21
                                        ; implicit-def: $vgpr14_vgpr15
                                        ; implicit-def: $vgpr16_vgpr17
	s_cbranch_execnz .LBB76_32
	s_branch .LBB76_34
.LBB76_29:                              ;   in Loop: Header=BB76_14 Depth=1
	s_mov_b32 s25, -1
                                        ; implicit-def: $sgpr26
                                        ; implicit-def: $vgpr18_vgpr19
                                        ; implicit-def: $vgpr20_vgpr21
                                        ; implicit-def: $vgpr14_vgpr15
                                        ; implicit-def: $vgpr16_vgpr17
	s_branch .LBB76_34
.LBB76_30:                              ;   in Loop: Header=BB76_14 Depth=1
	s_mov_b32 s25, -1
                                        ; implicit-def: $vgpr14_vgpr15
                                        ; implicit-def: $vgpr16_vgpr17
.LBB76_31:                              ;   in Loop: Header=BB76_14 Depth=1
	v_dual_mov_b32 v19, v3 :: v_dual_mov_b32 v18, v2
	v_dual_mov_b32 v21, v1 :: v_dual_mov_b32 v20, v0
	s_mov_b32 s26, 4
	s_branch .LBB76_34
.LBB76_32:                              ;   in Loop: Header=BB76_14 Depth=1
	s_cmp_eq_u32 s5, 0
	s_cbranch_scc1 .LBB76_38
; %bb.33:                               ;   in Loop: Header=BB76_14 Depth=1
	s_mov_b32 s25, -1
                                        ; implicit-def: $sgpr26
                                        ; implicit-def: $vgpr18_vgpr19
                                        ; implicit-def: $vgpr20_vgpr21
                                        ; implicit-def: $vgpr14_vgpr15
                                        ; implicit-def: $vgpr16_vgpr17
.LBB76_34:                              ;   in Loop: Header=BB76_14 Depth=1
	s_delay_alu instid0(SALU_CYCLE_1)
	s_and_b32 vcc_lo, exec_lo, s25
	s_cbranch_vccnz .LBB76_41
.LBB76_35:                              ;   in Loop: Header=BB76_14 Depth=1
	s_and_b32 vcc_lo, exec_lo, s2
	s_cbranch_vccnz .LBB76_46
.LBB76_36:                              ;   in Loop: Header=BB76_14 Depth=1
	s_cmp_gt_i32 s26, 3
	s_mov_b32 s2, -1
	s_cbranch_scc1 .LBB76_49
.LBB76_37:                              ;   in Loop: Header=BB76_14 Depth=1
	s_cmp_eq_u32 s26, 0
	s_cselect_b32 s3, -1, 0
	s_delay_alu instid0(SALU_CYCLE_1)
	s_and_not1_b32 vcc_lo, exec_lo, s3
	s_cbranch_vccz .LBB76_12
	s_branch .LBB76_50
.LBB76_38:                              ;   in Loop: Header=BB76_14 Depth=1
	s_cmp_le_i32 s9, s12
	s_mov_b32 s25, 0
	s_cbranch_scc0 .LBB76_40
; %bb.39:                               ;   in Loop: Header=BB76_14 Depth=1
	s_mov_b32 s2, -1
	s_mov_b32 s25, s3
.LBB76_40:                              ;   in Loop: Header=BB76_14 Depth=1
	v_dual_mov_b32 v19, v3 :: v_dual_mov_b32 v18, v2
	v_dual_mov_b32 v21, v1 :: v_dual_mov_b32 v20, v0
	;; [unrolled: 1-line block ×4, first 2 shown]
	s_mov_b32 s26, 2
	s_and_b32 vcc_lo, exec_lo, s25
	s_cbranch_vccz .LBB76_35
.LBB76_41:                              ;   in Loop: Header=BB76_14 Depth=1
	s_and_saveexec_b32 s25, s1
	s_cbranch_execz .LBB76_43
; %bb.42:                               ;   in Loop: Header=BB76_14 Depth=1
	s_add_i32 s2, s9, s7
	s_delay_alu instid0(SALU_CYCLE_1) | instskip(NEXT) | instid1(SALU_CYCLE_1)
	s_ashr_i32 s3, s2, 31
	s_lshl_b64 s[2:3], s[2:3], 2
	s_delay_alu instid0(SALU_CYCLE_1)
	s_add_u32 s2, s16, s2
	s_addc_u32 s3, s17, s3
	global_load_b32 v14, v9, s[2:3] glc
	s_waitcnt vmcnt(0)
	v_cmp_ne_u32_e32 vcc_lo, 0, v14
	s_cbranch_vccz .LBB76_51
.LBB76_43:                              ;   in Loop: Header=BB76_14 Depth=1
	s_or_b32 exec_lo, exec_lo, s25
	v_mov_b32_e32 v18, 0
	v_mov_b32_e32 v19, 0
	s_waitcnt_vscnt null, 0x0
	s_barrier
	buffer_gl0_inv
	buffer_gl1_inv
	buffer_gl0_inv
	v_dual_mov_b32 v21, v19 :: v_dual_mov_b32 v20, v18
	s_and_saveexec_b32 s2, s0
	s_cbranch_execz .LBB76_45
; %bb.44:                               ;   in Loop: Header=BB76_14 Depth=1
	s_mul_i32 s3, s9, s21
	s_mul_hi_u32 s25, s9, s20
	s_ashr_i32 s26, s9, 31
	s_add_i32 s3, s25, s3
	s_mul_i32 s26, s26, s20
	s_delay_alu instid0(SALU_CYCLE_1) | instskip(SKIP_1) | instid1(SALU_CYCLE_1)
	s_add_i32 s27, s3, s26
	s_mul_i32 s26, s9, s20
	s_lshl_b64 s[26:27], s[26:27], 4
	s_delay_alu instid0(SALU_CYCLE_1)
	v_add_co_u32 v14, vcc_lo, v22, s26
	v_add_co_ci_u32_e32 v15, vcc_lo, s27, v23, vcc_lo
	global_load_b128 v[14:17], v[14:15], off
	s_waitcnt vmcnt(0)
	v_fma_f64 v[18:19], -v[6:7], v[14:15], v[0:1]
	v_fma_f64 v[14:15], -v[4:5], v[14:15], v[2:3]
	s_delay_alu instid0(VALU_DEP_2) | instskip(NEXT) | instid1(VALU_DEP_2)
	v_fma_f64 v[20:21], v[4:5], v[16:17], v[18:19]
	v_fma_f64 v[18:19], -v[6:7], v[16:17], v[14:15]
.LBB76_45:                              ;   in Loop: Header=BB76_14 Depth=1
	s_or_b32 exec_lo, exec_lo, s2
	v_dual_mov_b32 v15, v11 :: v_dual_mov_b32 v14, v10
	v_dual_mov_b32 v17, v13 :: v_dual_mov_b32 v16, v12
	s_mov_b32 s26, 0
	s_branch .LBB76_36
.LBB76_46:                              ;   in Loop: Header=BB76_14 Depth=1
	s_and_not1_b32 vcc_lo, exec_lo, s13
	s_cbranch_vccnz .LBB76_48
; %bb.47:                               ;   in Loop: Header=BB76_14 Depth=1
	v_mul_f64 v[10:11], v[4:5], v[4:5]
	s_delay_alu instid0(VALU_DEP_1) | instskip(NEXT) | instid1(VALU_DEP_1)
	v_fma_f64 v[10:11], v[6:7], v[6:7], v[10:11]
	v_div_scale_f64 v[12:13], null, v[10:11], v[10:11], 1.0
	v_div_scale_f64 v[18:19], vcc_lo, 1.0, v[10:11], 1.0
	s_delay_alu instid0(VALU_DEP_2) | instskip(SKIP_2) | instid1(VALU_DEP_1)
	v_rcp_f64_e32 v[14:15], v[12:13]
	s_waitcnt_depctr 0xfff
	v_fma_f64 v[16:17], -v[12:13], v[14:15], 1.0
	v_fma_f64 v[14:15], v[14:15], v[16:17], v[14:15]
	s_delay_alu instid0(VALU_DEP_1) | instskip(NEXT) | instid1(VALU_DEP_1)
	v_fma_f64 v[16:17], -v[12:13], v[14:15], 1.0
	v_fma_f64 v[14:15], v[14:15], v[16:17], v[14:15]
	s_delay_alu instid0(VALU_DEP_1) | instskip(NEXT) | instid1(VALU_DEP_1)
	v_mul_f64 v[16:17], v[18:19], v[14:15]
	v_fma_f64 v[12:13], -v[12:13], v[16:17], v[18:19]
	s_delay_alu instid0(VALU_DEP_1) | instskip(SKIP_2) | instid1(VALU_DEP_3)
	v_div_fmas_f64 v[12:13], v[12:13], v[14:15], v[16:17]
	v_fma_f64 v[14:15], v[4:5], 0, v[6:7]
	v_fma_f64 v[4:5], v[6:7], 0, -v[4:5]
	v_div_fixup_f64 v[10:11], v[12:13], v[10:11], 1.0
	s_delay_alu instid0(VALU_DEP_1) | instskip(NEXT) | instid1(VALU_DEP_3)
	v_mul_f64 v[12:13], v[14:15], v[10:11]
	v_mul_f64 v[10:11], v[4:5], v[10:11]
.LBB76_48:                              ;   in Loop: Header=BB76_14 Depth=1
	s_delay_alu instid0(VALU_DEP_2) | instskip(NEXT) | instid1(VALU_DEP_2)
	v_dual_mov_b32 v17, v13 :: v_dual_mov_b32 v16, v12
	v_dual_mov_b32 v15, v11 :: v_dual_mov_b32 v14, v10
	;; [unrolled: 1-line block ×4, first 2 shown]
	s_mov_b32 s26, 2
	s_delay_alu instid0(SALU_CYCLE_1)
	s_cmp_gt_i32 s26, 3
	s_mov_b32 s2, -1
	s_cbranch_scc0 .LBB76_37
.LBB76_49:                              ;   in Loop: Header=BB76_14 Depth=1
	s_branch .LBB76_12
.LBB76_50:                              ;   in Loop: Header=BB76_14 Depth=1
                                        ; implicit-def: $sgpr22_sgpr23
	s_branch .LBB76_13
.LBB76_51:                              ;   in Loop: Header=BB76_14 Depth=1
	s_mov_b32 s26, 0
	s_branch .LBB76_53
	.p2align	6
.LBB76_52:                              ;   in Loop: Header=BB76_53 Depth=2
	global_load_b32 v14, v9, s[2:3] glc
	s_cmpk_lt_u32 s26, 0xf43
	s_cselect_b32 s27, -1, 0
	s_delay_alu instid0(SALU_CYCLE_1)
	s_cmp_lg_u32 s27, 0
	s_addc_u32 s26, s26, 0
	s_waitcnt vmcnt(0)
	v_cmp_ne_u32_e32 vcc_lo, 0, v14
	s_cbranch_vccnz .LBB76_43
.LBB76_53:                              ;   Parent Loop BB76_14 Depth=1
                                        ; =>  This Loop Header: Depth=2
                                        ;       Child Loop BB76_54 Depth 3
	s_cmp_eq_u32 s26, 0
	s_mov_b32 s27, s26
	s_cbranch_scc1 .LBB76_52
.LBB76_54:                              ;   Parent Loop BB76_14 Depth=1
                                        ;     Parent Loop BB76_53 Depth=2
                                        ; =>    This Inner Loop Header: Depth=3
	s_add_i32 s27, s27, -1
	s_sleep 1
	s_cmp_eq_u32 s27, 0
	s_cbranch_scc0 .LBB76_54
	s_branch .LBB76_52
.LBB76_55:
	v_mov_b32_e32 v14, 0
	v_dual_mov_b32 v15, 0 :: v_dual_mov_b32 v16, 0
	v_mov_b32_e32 v17, 0x3ff00000
	s_cmp_lg_u32 s6, 0
	s_cbranch_scc1 .LBB76_58
	s_branch .LBB76_57
.LBB76_56:
	v_dual_mov_b32 v2, v18 :: v_dual_mov_b32 v3, v19
	v_dual_mov_b32 v0, v20 :: v_dual_mov_b32 v1, v21
	s_cmp_lg_u32 s6, 0
	s_cbranch_scc1 .LBB76_58
.LBB76_57:
	s_delay_alu instid0(VALU_DEP_2) | instskip(NEXT) | instid1(VALU_DEP_2)
	v_mul_f64 v[4:5], v[14:15], -v[2:3]
	v_mul_f64 v[6:7], v[14:15], v[0:1]
	s_delay_alu instid0(VALU_DEP_2) | instskip(NEXT) | instid1(VALU_DEP_2)
	v_fma_f64 v[0:1], v[0:1], v[16:17], v[4:5]
	v_fma_f64 v[2:3], v[2:3], v[16:17], v[6:7]
.LBB76_58:
	s_and_saveexec_b32 s1, s0
	s_cbranch_execz .LBB76_60
; %bb.59:
	s_lshl_b64 s[2:3], s[14:15], 4
	s_delay_alu instid0(SALU_CYCLE_1)
	v_add_co_u32 v4, vcc_lo, v22, s2
	v_add_co_ci_u32_e32 v5, vcc_lo, s3, v23, vcc_lo
	global_store_b128 v[4:5], v[0:3], off
.LBB76_60:
	s_or_b32 exec_lo, exec_lo, s1
	s_waitcnt_vscnt null, 0x0
	buffer_gl1_inv
	buffer_gl0_inv
	s_barrier
	buffer_gl0_inv
	s_mov_b32 s0, exec_lo
	v_cmpx_eq_u32_e32 0, v8
	s_cbranch_execz .LBB76_62
; %bb.61:
	s_add_i32 s0, s12, s7
	v_dual_mov_b32 v0, 0 :: v_dual_mov_b32 v1, 1
	s_ashr_i32 s1, s0, 31
	s_delay_alu instid0(SALU_CYCLE_1) | instskip(NEXT) | instid1(SALU_CYCLE_1)
	s_lshl_b64 s[0:1], s[0:1], 2
	s_add_u32 s0, s16, s0
	s_addc_u32 s1, s17, s1
	global_store_b32 v0, v1, s[0:1]
.LBB76_62:
	s_nop 0
	s_sendmsg sendmsg(MSG_DEALLOC_VGPRS)
	s_endpgm
	.section	.rodata,"a",@progbits
	.p2align	6, 0x0
	.amdhsa_kernel _ZN9rocsparseL5csrsmILj128ELj64ELb1Eli21rocsparse_complex_numIdEEEv20rocsparse_operation_T3_S4_NS_24const_host_device_scalarIT4_EEPKT2_PKS4_PKS6_PS6_lPiSC_PS4_21rocsparse_index_base_20rocsparse_fill_mode_20rocsparse_diag_type_b
		.amdhsa_group_segment_fixed_size 3584
		.amdhsa_private_segment_fixed_size 0
		.amdhsa_kernarg_size 112
		.amdhsa_user_sgpr_count 15
		.amdhsa_user_sgpr_dispatch_ptr 1
		.amdhsa_user_sgpr_queue_ptr 0
		.amdhsa_user_sgpr_kernarg_segment_ptr 1
		.amdhsa_user_sgpr_dispatch_id 0
		.amdhsa_user_sgpr_private_segment_size 0
		.amdhsa_wavefront_size32 1
		.amdhsa_uses_dynamic_stack 0
		.amdhsa_enable_private_segment 0
		.amdhsa_system_sgpr_workgroup_id_x 1
		.amdhsa_system_sgpr_workgroup_id_y 0
		.amdhsa_system_sgpr_workgroup_id_z 0
		.amdhsa_system_sgpr_workgroup_info 0
		.amdhsa_system_vgpr_workitem_id 2
		.amdhsa_next_free_vgpr 32
		.amdhsa_next_free_sgpr 28
		.amdhsa_reserve_vcc 1
		.amdhsa_float_round_mode_32 0
		.amdhsa_float_round_mode_16_64 0
		.amdhsa_float_denorm_mode_32 3
		.amdhsa_float_denorm_mode_16_64 3
		.amdhsa_dx10_clamp 1
		.amdhsa_ieee_mode 1
		.amdhsa_fp16_overflow 0
		.amdhsa_workgroup_processor_mode 1
		.amdhsa_memory_ordered 1
		.amdhsa_forward_progress 0
		.amdhsa_shared_vgpr_count 0
		.amdhsa_exception_fp_ieee_invalid_op 0
		.amdhsa_exception_fp_denorm_src 0
		.amdhsa_exception_fp_ieee_div_zero 0
		.amdhsa_exception_fp_ieee_overflow 0
		.amdhsa_exception_fp_ieee_underflow 0
		.amdhsa_exception_fp_ieee_inexact 0
		.amdhsa_exception_int_div_zero 0
	.end_amdhsa_kernel
	.section	.text._ZN9rocsparseL5csrsmILj128ELj64ELb1Eli21rocsparse_complex_numIdEEEv20rocsparse_operation_T3_S4_NS_24const_host_device_scalarIT4_EEPKT2_PKS4_PKS6_PS6_lPiSC_PS4_21rocsparse_index_base_20rocsparse_fill_mode_20rocsparse_diag_type_b,"axG",@progbits,_ZN9rocsparseL5csrsmILj128ELj64ELb1Eli21rocsparse_complex_numIdEEEv20rocsparse_operation_T3_S4_NS_24const_host_device_scalarIT4_EEPKT2_PKS4_PKS6_PS6_lPiSC_PS4_21rocsparse_index_base_20rocsparse_fill_mode_20rocsparse_diag_type_b,comdat
.Lfunc_end76:
	.size	_ZN9rocsparseL5csrsmILj128ELj64ELb1Eli21rocsparse_complex_numIdEEEv20rocsparse_operation_T3_S4_NS_24const_host_device_scalarIT4_EEPKT2_PKS4_PKS6_PS6_lPiSC_PS4_21rocsparse_index_base_20rocsparse_fill_mode_20rocsparse_diag_type_b, .Lfunc_end76-_ZN9rocsparseL5csrsmILj128ELj64ELb1Eli21rocsparse_complex_numIdEEEv20rocsparse_operation_T3_S4_NS_24const_host_device_scalarIT4_EEPKT2_PKS4_PKS6_PS6_lPiSC_PS4_21rocsparse_index_base_20rocsparse_fill_mode_20rocsparse_diag_type_b
                                        ; -- End function
	.section	.AMDGPU.csdata,"",@progbits
; Kernel info:
; codeLenInByte = 2576
; NumSgprs: 30
; NumVgprs: 32
; ScratchSize: 0
; MemoryBound: 1
; FloatMode: 240
; IeeeMode: 1
; LDSByteSize: 3584 bytes/workgroup (compile time only)
; SGPRBlocks: 3
; VGPRBlocks: 3
; NumSGPRsForWavesPerEU: 30
; NumVGPRsForWavesPerEU: 32
; Occupancy: 16
; WaveLimiterHint : 1
; COMPUTE_PGM_RSRC2:SCRATCH_EN: 0
; COMPUTE_PGM_RSRC2:USER_SGPR: 15
; COMPUTE_PGM_RSRC2:TRAP_HANDLER: 0
; COMPUTE_PGM_RSRC2:TGID_X_EN: 1
; COMPUTE_PGM_RSRC2:TGID_Y_EN: 0
; COMPUTE_PGM_RSRC2:TGID_Z_EN: 0
; COMPUTE_PGM_RSRC2:TIDIG_COMP_CNT: 2
	.section	.text._ZN9rocsparseL5csrsmILj128ELj64ELb0Eli21rocsparse_complex_numIdEEEv20rocsparse_operation_T3_S4_NS_24const_host_device_scalarIT4_EEPKT2_PKS4_PKS6_PS6_lPiSC_PS4_21rocsparse_index_base_20rocsparse_fill_mode_20rocsparse_diag_type_b,"axG",@progbits,_ZN9rocsparseL5csrsmILj128ELj64ELb0Eli21rocsparse_complex_numIdEEEv20rocsparse_operation_T3_S4_NS_24const_host_device_scalarIT4_EEPKT2_PKS4_PKS6_PS6_lPiSC_PS4_21rocsparse_index_base_20rocsparse_fill_mode_20rocsparse_diag_type_b,comdat
	.globl	_ZN9rocsparseL5csrsmILj128ELj64ELb0Eli21rocsparse_complex_numIdEEEv20rocsparse_operation_T3_S4_NS_24const_host_device_scalarIT4_EEPKT2_PKS4_PKS6_PS6_lPiSC_PS4_21rocsparse_index_base_20rocsparse_fill_mode_20rocsparse_diag_type_b ; -- Begin function _ZN9rocsparseL5csrsmILj128ELj64ELb0Eli21rocsparse_complex_numIdEEEv20rocsparse_operation_T3_S4_NS_24const_host_device_scalarIT4_EEPKT2_PKS4_PKS6_PS6_lPiSC_PS4_21rocsparse_index_base_20rocsparse_fill_mode_20rocsparse_diag_type_b
	.p2align	8
	.type	_ZN9rocsparseL5csrsmILj128ELj64ELb0Eli21rocsparse_complex_numIdEEEv20rocsparse_operation_T3_S4_NS_24const_host_device_scalarIT4_EEPKT2_PKS4_PKS6_PS6_lPiSC_PS4_21rocsparse_index_base_20rocsparse_fill_mode_20rocsparse_diag_type_b,@function
_ZN9rocsparseL5csrsmILj128ELj64ELb0Eli21rocsparse_complex_numIdEEEv20rocsparse_operation_T3_S4_NS_24const_host_device_scalarIT4_EEPKT2_PKS4_PKS6_PS6_lPiSC_PS4_21rocsparse_index_base_20rocsparse_fill_mode_20rocsparse_diag_type_b: ; @_ZN9rocsparseL5csrsmILj128ELj64ELb0Eli21rocsparse_complex_numIdEEEv20rocsparse_operation_T3_S4_NS_24const_host_device_scalarIT4_EEPKT2_PKS4_PKS6_PS6_lPiSC_PS4_21rocsparse_index_base_20rocsparse_fill_mode_20rocsparse_diag_type_b
; %bb.0:
	s_load_b64 s[0:1], s[0:1], 0x4
	s_load_b128 s[4:7], s[2:3], 0x60
	v_bfe_u32 v1, v0, 10, 10
	s_load_b128 s[8:11], s[2:3], 0x10
	v_and_b32_e32 v8, 0x3ff, v0
	v_bfe_u32 v0, v0, 20, 10
	s_mov_b64 s[12:13], src_shared_base
	s_waitcnt lgkmcnt(0)
	v_mul_u32_u24_e32 v1, s1, v1
	s_lshr_b32 s0, s0, 16
	s_delay_alu instid0(SALU_CYCLE_1)
	s_mul_i32 s0, s0, s1
	s_delay_alu instid0(VALU_DEP_1) | instid1(SALU_CYCLE_1)
	v_mad_u32_u24 v1, s0, v8, v1
	s_and_b32 s0, 1, s7
	s_delay_alu instid0(SALU_CYCLE_1) | instskip(SKIP_1) | instid1(VALU_DEP_1)
	s_cmp_eq_u32 s0, 1
	s_load_b64 s[0:1], s[2:3], 0x20
	v_add_lshl_u32 v4, v1, v0, 3
	s_cselect_b32 vcc_lo, -1, 0
	v_dual_mov_b32 v2, s8 :: v_dual_mov_b32 v3, s9
	v_dual_mov_b32 v6, s10 :: v_dual_mov_b32 v7, s11
	s_delay_alu instid0(VALU_DEP_3) | instskip(SKIP_4) | instid1(SALU_CYCLE_1)
	v_add_nc_u32_e32 v0, 0xa00, v4
	ds_store_b64 v4, v[2:3] offset:2560
	v_cndmask_b32_e32 v0, s8, v0, vcc_lo
	s_and_b32 vcc_lo, vcc_lo, exec_lo
	s_cselect_b32 s7, s13, s9
	v_mov_b32_e32 v1, s7
	flat_load_b64 v[4:5], v[0:1]
	s_clause 0x1
	s_load_b64 s[12:13], s[2:3], 0x50
	s_load_b64 s[22:23], s[2:3], 0x38
	s_cbranch_vccnz .LBB77_2
; %bb.1:
	v_dual_mov_b32 v0, s8 :: v_dual_mov_b32 v1, s9
	flat_load_b64 v[6:7], v[0:1] offset:8
.LBB77_2:
	s_clause 0x1
	s_load_b128 s[16:19], s[2:3], 0x0
	s_load_b64 s[20:21], s[2:3], 0x40
	s_waitcnt lgkmcnt(0)
	v_cvt_f32_u32_e32 v0, s17
	s_sub_i32 s8, 0, s17
	s_delay_alu instid0(VALU_DEP_1) | instskip(SKIP_2) | instid1(VALU_DEP_1)
	v_rcp_iflag_f32_e32 v0, v0
	s_waitcnt_depctr 0xfff
	v_mul_f32_e32 v0, 0x4f7ffffe, v0
	v_cvt_u32_f32_e32 v0, v0
	s_delay_alu instid0(VALU_DEP_1) | instskip(NEXT) | instid1(VALU_DEP_1)
	v_readfirstlane_b32 s7, v0
	s_mul_i32 s8, s8, s7
	s_delay_alu instid0(SALU_CYCLE_1) | instskip(NEXT) | instid1(SALU_CYCLE_1)
	s_mul_hi_u32 s8, s7, s8
	s_add_i32 s7, s7, s8
	s_delay_alu instid0(SALU_CYCLE_1) | instskip(NEXT) | instid1(SALU_CYCLE_1)
	s_mul_hi_u32 s7, s15, s7
	s_mul_i32 s8, s7, s17
	s_add_i32 s9, s7, 1
	s_sub_i32 s8, s15, s8
	s_delay_alu instid0(SALU_CYCLE_1)
	s_sub_i32 s10, s8, s17
	s_cmp_ge_u32 s8, s17
	s_cselect_b32 s7, s9, s7
	s_cselect_b32 s8, s10, s8
	s_add_i32 s9, s7, 1
	s_cmp_ge_u32 s8, s17
	s_cselect_b32 s14, s9, s7
	s_delay_alu instid0(SALU_CYCLE_1) | instskip(SKIP_2) | instid1(SALU_CYCLE_1)
	s_mul_i32 s7, s14, s17
	v_lshl_or_b32 v9, s14, 7, v8
	s_sub_i32 s8, s15, s7
	s_ashr_i32 s9, s8, 31
	s_delay_alu instid0(VALU_DEP_1) | instskip(SKIP_1) | instid1(SALU_CYCLE_1)
	v_ashrrev_i32_e32 v10, 31, v9
	s_lshl_b64 s[8:9], s[8:9], 2
	s_add_u32 s8, s12, s8
	s_addc_u32 s9, s13, s9
	s_load_b32 s12, s[8:9], 0x0
	s_waitcnt lgkmcnt(0)
	s_ashr_i32 s13, s12, 31
	s_mul_i32 s14, s12, s20
	s_lshl_b64 s[8:9], s[12:13], 3
	v_add_co_u32 v11, vcc_lo, s14, v9
	s_add_u32 s0, s0, s8
	s_addc_u32 s1, s1, s9
	s_load_b128 s[8:11], s[0:1], 0x0
	s_mul_i32 s0, s12, s21
	s_mul_hi_u32 s1, s12, s20
	s_delay_alu instid0(SALU_CYCLE_1) | instskip(SKIP_1) | instid1(SALU_CYCLE_1)
	s_add_i32 s0, s1, s0
	s_mul_i32 s1, s13, s20
	s_add_i32 s15, s0, s1
	v_cmp_gt_i32_e64 s0, s18, v9
	v_add_co_ci_u32_e32 v12, vcc_lo, s15, v10, vcc_lo
	s_cmpk_lg_i32 s16, 0x71
	s_cbranch_scc0 .LBB77_6
; %bb.3:
	v_mov_b32_e32 v2, 0
	v_mov_b32_e32 v3, 0
	s_delay_alu instid0(VALU_DEP_1)
	v_dual_mov_b32 v0, v2 :: v_dual_mov_b32 v1, v3
	s_and_saveexec_b32 s1, s0
	s_cbranch_execz .LBB77_5
; %bb.4:
	v_lshlrev_b64 v[0:1], 4, v[11:12]
	s_delay_alu instid0(VALU_DEP_1) | instskip(NEXT) | instid1(VALU_DEP_2)
	v_add_co_u32 v0, vcc_lo, s22, v0
	v_add_co_ci_u32_e32 v1, vcc_lo, s23, v1, vcc_lo
	global_load_b128 v[13:16], v[0:1], off
	s_waitcnt vmcnt(0)
	v_mul_f64 v[0:1], v[15:16], -v[6:7]
	v_mul_f64 v[2:3], v[4:5], v[15:16]
	s_delay_alu instid0(VALU_DEP_2) | instskip(NEXT) | instid1(VALU_DEP_2)
	v_fma_f64 v[0:1], v[4:5], v[13:14], v[0:1]
	v_fma_f64 v[2:3], v[6:7], v[13:14], v[2:3]
.LBB77_5:
	s_or_b32 exec_lo, exec_lo, s1
	s_load_b64 s[16:17], s[2:3], 0x48
	s_cbranch_execz .LBB77_7
	s_branch .LBB77_10
.LBB77_6:
                                        ; implicit-def: $vgpr2_vgpr3
	s_load_b64 s[16:17], s[2:3], 0x48
.LBB77_7:
	v_mov_b32_e32 v2, 0
	v_mov_b32_e32 v3, 0
	s_delay_alu instid0(VALU_DEP_1)
	v_dual_mov_b32 v0, v2 :: v_dual_mov_b32 v1, v3
	s_and_saveexec_b32 s1, s0
	s_cbranch_execz .LBB77_9
; %bb.8:
	v_lshlrev_b64 v[0:1], 4, v[11:12]
	s_delay_alu instid0(VALU_DEP_1) | instskip(NEXT) | instid1(VALU_DEP_2)
	v_add_co_u32 v0, vcc_lo, s22, v0
	v_add_co_ci_u32_e32 v1, vcc_lo, s23, v1, vcc_lo
	global_load_b128 v[11:14], v[0:1], off
	s_waitcnt vmcnt(0)
	v_mul_f64 v[0:1], v[6:7], v[13:14]
	v_mul_f64 v[2:3], v[4:5], -v[13:14]
	s_delay_alu instid0(VALU_DEP_2) | instskip(NEXT) | instid1(VALU_DEP_2)
	v_fma_f64 v[0:1], v[4:5], v[11:12], v[0:1]
	v_fma_f64 v[2:3], v[6:7], v[11:12], v[2:3]
.LBB77_9:
	s_or_b32 exec_lo, exec_lo, s1
.LBB77_10:
	s_waitcnt vmcnt(0)
	v_lshlrev_b64 v[4:5], 4, v[9:10]
	s_waitcnt lgkmcnt(0)
	v_cmp_ge_i64_e64 s1, s[8:9], s[10:11]
	s_delay_alu instid0(VALU_DEP_2) | instskip(NEXT) | instid1(VALU_DEP_3)
	v_add_co_u32 v22, vcc_lo, s22, v4
	v_add_co_ci_u32_e32 v23, vcc_lo, s23, v5, vcc_lo
	s_delay_alu instid0(VALU_DEP_3)
	s_and_b32 vcc_lo, exec_lo, s1
	v_cmp_eq_u32_e64 s1, 0, v8
	s_cbranch_vccnz .LBB77_52
; %bb.11:
	s_clause 0x1
	s_load_b128 s[24:27], s[2:3], 0x28
	s_load_b64 s[18:19], s[2:3], 0x58
	v_dual_mov_b32 v9, 0 :: v_dual_lshlrev_b32 v4, 2, v8
	v_lshlrev_b32_e32 v24, 4, v8
	s_sub_u32 s8, s8, s4
	v_mov_b32_e32 v10, 0
	v_mov_b32_e32 v11, 0
	s_subb_u32 s9, s9, 0
	v_mov_b32_e32 v12, 0
	v_mov_b32_e32 v13, 0x3ff00000
	s_sub_u32 s10, s10, s4
	s_subb_u32 s11, s11, 0
	v_or_b32_e32 v25, 0x800, v4
	s_cmp_eq_u32 s6, 0
	s_mov_b64 s[22:23], s[8:9]
	s_cselect_b32 s13, -1, 0
	s_waitcnt lgkmcnt(0)
	v_add_co_u32 v26, s2, s24, v4
	s_delay_alu instid0(VALU_DEP_1) | instskip(SKIP_1) | instid1(VALU_DEP_1)
	v_add_co_ci_u32_e64 v27, null, s25, 0, s2
	v_add_co_u32 v28, s2, s26, v24
	v_add_co_ci_u32_e64 v29, null, s27, 0, s2
	s_add_i32 s24, s12, s4
	s_branch .LBB77_14
.LBB77_12:                              ;   in Loop: Header=BB77_14 Depth=1
	s_add_u32 s22, s22, 1
	s_addc_u32 s23, s23, 0
	s_delay_alu instid0(SALU_CYCLE_1)
	v_cmp_ge_i64_e64 s2, s[22:23], s[10:11]
.LBB77_13:                              ;   in Loop: Header=BB77_14 Depth=1
	s_delay_alu instid0(VALU_DEP_3) | instskip(NEXT) | instid1(VALU_DEP_4)
	v_dual_mov_b32 v2, v18 :: v_dual_mov_b32 v3, v19
	v_dual_mov_b32 v0, v20 :: v_dual_mov_b32 v1, v21
	s_delay_alu instid0(VALU_DEP_4) | instskip(NEXT) | instid1(VALU_DEP_4)
	v_dual_mov_b32 v10, v14 :: v_dual_mov_b32 v11, v15
	v_dual_mov_b32 v12, v16 :: v_dual_mov_b32 v13, v17
	s_and_not1_b32 vcc_lo, exec_lo, s2
	s_cbranch_vccz .LBB77_53
.LBB77_14:                              ; =>This Loop Header: Depth=1
                                        ;     Child Loop BB77_43 Depth 2
	s_sub_i32 s2, s22, s8
	s_delay_alu instid0(SALU_CYCLE_1) | instskip(NEXT) | instid1(SALU_CYCLE_1)
	s_and_b32 s3, s2, 0x7f
	s_cmp_lg_u32 s3, 0
	s_cbranch_scc1 .LBB77_18
; %bb.15:                               ;   in Loop: Header=BB77_14 Depth=1
	v_mov_b32_e32 v6, 0
	v_dual_mov_b32 v7, 0 :: v_dual_mov_b32 v4, 0
	v_dual_mov_b32 v5, 0xbff00000 :: v_dual_mov_b32 v14, -1
	s_sub_u32 s26, s10, s22
	s_subb_u32 s27, s11, s23
	s_mov_b32 s2, exec_lo
	v_cmpx_gt_i64_e64 s[26:27], v[8:9]
	s_cbranch_execz .LBB77_17
; %bb.16:                               ;   in Loop: Header=BB77_14 Depth=1
	s_lshl_b64 s[26:27], s[22:23], 2
	s_delay_alu instid0(SALU_CYCLE_1)
	v_add_co_u32 v4, vcc_lo, v26, s26
	v_add_co_ci_u32_e32 v5, vcc_lo, s27, v27, vcc_lo
	s_lshl_b64 s[26:27], s[22:23], 4
	global_load_b32 v14, v[4:5], off
	v_add_co_u32 v4, vcc_lo, v28, s26
	v_add_co_ci_u32_e32 v5, vcc_lo, s27, v29, vcc_lo
	global_load_b128 v[4:7], v[4:5], off
	s_waitcnt vmcnt(1)
	v_subrev_nc_u32_e32 v14, s4, v14
.LBB77_17:                              ;   in Loop: Header=BB77_14 Depth=1
	s_or_b32 exec_lo, exec_lo, s2
	ds_store_b32 v25, v14
	s_waitcnt vmcnt(0)
	ds_store_b128 v24, v[4:7]
.LBB77_18:                              ;   in Loop: Header=BB77_14 Depth=1
	s_lshl_b32 s2, s3, 4
	s_waitcnt lgkmcnt(0)
	v_mov_b32_e32 v4, s2
	s_waitcnt_vscnt null, 0x0
	s_barrier
	buffer_gl0_inv
	s_lshl_b32 s3, s3, 2
	ds_load_b128 v[14:17], v4
	v_mov_b32_e32 v4, s3
	ds_load_b32 v4, v4 offset:2048
	s_waitcnt lgkmcnt(1)
	v_cmp_eq_f64_e32 vcc_lo, 0, v[14:15]
	v_cmp_eq_f64_e64 s2, 0, v[16:17]
	s_waitcnt lgkmcnt(0)
	v_readfirstlane_b32 s9, v4
	v_cmp_ne_u32_e64 s3, s12, v4
	s_delay_alu instid0(VALU_DEP_3) | instskip(NEXT) | instid1(VALU_DEP_2)
	s_and_b32 s2, vcc_lo, s2
	s_cmp_eq_u32 s9, s12
	s_cselect_b32 s26, -1, 0
	s_delay_alu instid0(SALU_CYCLE_1) | instskip(NEXT) | instid1(SALU_CYCLE_1)
	s_and_b32 s2, s2, s26
	s_and_b32 s2, s13, s2
	s_delay_alu instid0(SALU_CYCLE_1) | instskip(SKIP_4) | instid1(SALU_CYCLE_1)
	v_cndmask_b32_e64 v5, v17, 0, s2
	v_cndmask_b32_e64 v4, v16, 0, s2
	;; [unrolled: 1-line block ×4, first 2 shown]
	s_and_b32 s25, s1, s2
	s_and_saveexec_b32 s2, s25
	s_cbranch_execz .LBB77_22
; %bb.19:                               ;   in Loop: Header=BB77_14 Depth=1
	v_mbcnt_lo_u32_b32 v4, exec_lo, 0
	s_mov_b32 s25, exec_lo
	s_delay_alu instid0(VALU_DEP_1)
	v_cmpx_eq_u32_e32 0, v4
	s_cbranch_execz .LBB77_21
; %bb.20:                               ;   in Loop: Header=BB77_14 Depth=1
	v_mov_b32_e32 v4, s24
	global_atomic_min_i32 v9, v4, s[18:19]
.LBB77_21:                              ;   in Loop: Header=BB77_14 Depth=1
	s_or_b32 exec_lo, exec_lo, s25
	v_mov_b32_e32 v4, 0
	v_dual_mov_b32 v5, 0 :: v_dual_mov_b32 v6, 0
	v_mov_b32_e32 v7, 0x3ff00000
.LBB77_22:                              ;   in Loop: Header=BB77_14 Depth=1
	s_or_b32 exec_lo, exec_lo, s2
	s_cmp_lt_i32 s5, 1
	s_mov_b32 s2, 0
	s_cbranch_scc1 .LBB77_28
; %bb.23:                               ;   in Loop: Header=BB77_14 Depth=1
	s_cmp_eq_u32 s5, 1
	s_cbranch_scc0 .LBB77_29
; %bb.24:                               ;   in Loop: Header=BB77_14 Depth=1
	v_dual_mov_b32 v15, v11 :: v_dual_mov_b32 v14, v10
	v_dual_mov_b32 v17, v13 :: v_dual_mov_b32 v16, v12
	s_cmp_ge_i32 s9, s12
	s_mov_b32 s25, 0
	s_cbranch_scc0 .LBB77_31
; %bb.25:                               ;   in Loop: Header=BB77_14 Depth=1
	s_and_b32 vcc_lo, exec_lo, s26
	s_cbranch_vccz .LBB77_30
; %bb.26:                               ;   in Loop: Header=BB77_14 Depth=1
	v_dual_mov_b32 v15, v11 :: v_dual_mov_b32 v14, v10
	v_dual_mov_b32 v17, v13 :: v_dual_mov_b32 v16, v12
	s_and_not1_b32 vcc_lo, exec_lo, s13
	s_cbranch_vccnz .LBB77_31
; %bb.27:                               ;   in Loop: Header=BB77_14 Depth=1
	v_mul_f64 v[14:15], v[4:5], v[4:5]
	s_delay_alu instid0(VALU_DEP_1) | instskip(NEXT) | instid1(VALU_DEP_1)
	v_fma_f64 v[14:15], v[6:7], v[6:7], v[14:15]
	v_div_scale_f64 v[16:17], null, v[14:15], v[14:15], 1.0
	v_div_scale_f64 v[30:31], vcc_lo, 1.0, v[14:15], 1.0
	s_delay_alu instid0(VALU_DEP_2) | instskip(SKIP_2) | instid1(VALU_DEP_1)
	v_rcp_f64_e32 v[18:19], v[16:17]
	s_waitcnt_depctr 0xfff
	v_fma_f64 v[20:21], -v[16:17], v[18:19], 1.0
	v_fma_f64 v[18:19], v[18:19], v[20:21], v[18:19]
	s_delay_alu instid0(VALU_DEP_1) | instskip(NEXT) | instid1(VALU_DEP_1)
	v_fma_f64 v[20:21], -v[16:17], v[18:19], 1.0
	v_fma_f64 v[18:19], v[18:19], v[20:21], v[18:19]
	s_delay_alu instid0(VALU_DEP_1) | instskip(NEXT) | instid1(VALU_DEP_1)
	v_mul_f64 v[20:21], v[30:31], v[18:19]
	v_fma_f64 v[16:17], -v[16:17], v[20:21], v[30:31]
	s_delay_alu instid0(VALU_DEP_1) | instskip(SKIP_2) | instid1(VALU_DEP_3)
	v_div_fmas_f64 v[16:17], v[16:17], v[18:19], v[20:21]
	v_fma_f64 v[18:19], v[4:5], 0, v[6:7]
	v_fma_f64 v[20:21], v[6:7], 0, -v[4:5]
	v_div_fixup_f64 v[14:15], v[16:17], v[14:15], 1.0
	s_delay_alu instid0(VALU_DEP_1) | instskip(NEXT) | instid1(VALU_DEP_3)
	v_mul_f64 v[16:17], v[18:19], v[14:15]
	v_mul_f64 v[14:15], v[20:21], v[14:15]
	s_branch .LBB77_31
.LBB77_28:                              ;   in Loop: Header=BB77_14 Depth=1
	s_mov_b32 s25, 0
                                        ; implicit-def: $sgpr26
                                        ; implicit-def: $vgpr18_vgpr19
                                        ; implicit-def: $vgpr20_vgpr21
                                        ; implicit-def: $vgpr14_vgpr15
                                        ; implicit-def: $vgpr16_vgpr17
	s_cbranch_execnz .LBB77_32
	s_branch .LBB77_34
.LBB77_29:                              ;   in Loop: Header=BB77_14 Depth=1
	s_mov_b32 s25, -1
                                        ; implicit-def: $sgpr26
                                        ; implicit-def: $vgpr18_vgpr19
                                        ; implicit-def: $vgpr20_vgpr21
                                        ; implicit-def: $vgpr14_vgpr15
                                        ; implicit-def: $vgpr16_vgpr17
	s_branch .LBB77_34
.LBB77_30:                              ;   in Loop: Header=BB77_14 Depth=1
	s_mov_b32 s25, -1
                                        ; implicit-def: $vgpr14_vgpr15
                                        ; implicit-def: $vgpr16_vgpr17
.LBB77_31:                              ;   in Loop: Header=BB77_14 Depth=1
	v_dual_mov_b32 v19, v3 :: v_dual_mov_b32 v18, v2
	v_dual_mov_b32 v21, v1 :: v_dual_mov_b32 v20, v0
	s_mov_b32 s26, 4
	s_branch .LBB77_34
.LBB77_32:                              ;   in Loop: Header=BB77_14 Depth=1
	s_cmp_eq_u32 s5, 0
	s_cbranch_scc1 .LBB77_38
; %bb.33:                               ;   in Loop: Header=BB77_14 Depth=1
	s_mov_b32 s25, -1
                                        ; implicit-def: $sgpr26
                                        ; implicit-def: $vgpr18_vgpr19
                                        ; implicit-def: $vgpr20_vgpr21
                                        ; implicit-def: $vgpr14_vgpr15
                                        ; implicit-def: $vgpr16_vgpr17
.LBB77_34:                              ;   in Loop: Header=BB77_14 Depth=1
	s_delay_alu instid0(SALU_CYCLE_1)
	s_and_b32 vcc_lo, exec_lo, s25
	s_cbranch_vccnz .LBB77_41
.LBB77_35:                              ;   in Loop: Header=BB77_14 Depth=1
	s_and_b32 vcc_lo, exec_lo, s2
	s_cbranch_vccnz .LBB77_47
.LBB77_36:                              ;   in Loop: Header=BB77_14 Depth=1
	s_cmp_gt_i32 s26, 3
	s_mov_b32 s2, -1
	s_cbranch_scc1 .LBB77_50
.LBB77_37:                              ;   in Loop: Header=BB77_14 Depth=1
	s_cmp_eq_u32 s26, 0
	s_cselect_b32 s3, -1, 0
	s_delay_alu instid0(SALU_CYCLE_1)
	s_and_not1_b32 vcc_lo, exec_lo, s3
	s_cbranch_vccz .LBB77_12
	s_branch .LBB77_51
.LBB77_38:                              ;   in Loop: Header=BB77_14 Depth=1
	s_cmp_le_i32 s9, s12
	s_mov_b32 s25, 0
	s_cbranch_scc0 .LBB77_40
; %bb.39:                               ;   in Loop: Header=BB77_14 Depth=1
	s_mov_b32 s2, -1
	s_mov_b32 s25, s3
.LBB77_40:                              ;   in Loop: Header=BB77_14 Depth=1
	v_dual_mov_b32 v19, v3 :: v_dual_mov_b32 v18, v2
	v_dual_mov_b32 v21, v1 :: v_dual_mov_b32 v20, v0
	;; [unrolled: 1-line block ×4, first 2 shown]
	s_mov_b32 s26, 2
	s_and_b32 vcc_lo, exec_lo, s25
	s_cbranch_vccz .LBB77_35
.LBB77_41:                              ;   in Loop: Header=BB77_14 Depth=1
	s_and_saveexec_b32 s25, s1
	s_cbranch_execz .LBB77_44
; %bb.42:                               ;   in Loop: Header=BB77_14 Depth=1
	s_add_i32 s2, s9, s7
	s_delay_alu instid0(SALU_CYCLE_1) | instskip(NEXT) | instid1(SALU_CYCLE_1)
	s_ashr_i32 s3, s2, 31
	s_lshl_b64 s[2:3], s[2:3], 2
	s_delay_alu instid0(SALU_CYCLE_1)
	s_add_u32 s2, s16, s2
	s_addc_u32 s3, s17, s3
	global_load_b32 v14, v9, s[2:3] glc
	s_waitcnt vmcnt(0)
	v_cmp_ne_u32_e32 vcc_lo, 0, v14
	s_cbranch_vccnz .LBB77_44
.LBB77_43:                              ;   Parent Loop BB77_14 Depth=1
                                        ; =>  This Inner Loop Header: Depth=2
	global_load_b32 v14, v9, s[2:3] glc
	s_waitcnt vmcnt(0)
	v_cmp_eq_u32_e32 vcc_lo, 0, v14
	s_cbranch_vccnz .LBB77_43
.LBB77_44:                              ;   in Loop: Header=BB77_14 Depth=1
	s_or_b32 exec_lo, exec_lo, s25
	v_mov_b32_e32 v18, 0
	v_mov_b32_e32 v19, 0
	s_waitcnt_vscnt null, 0x0
	s_barrier
	buffer_gl0_inv
	buffer_gl1_inv
	buffer_gl0_inv
	v_dual_mov_b32 v21, v19 :: v_dual_mov_b32 v20, v18
	s_and_saveexec_b32 s2, s0
	s_cbranch_execz .LBB77_46
; %bb.45:                               ;   in Loop: Header=BB77_14 Depth=1
	s_mul_i32 s3, s9, s21
	s_mul_hi_u32 s25, s9, s20
	s_ashr_i32 s26, s9, 31
	s_add_i32 s3, s25, s3
	s_mul_i32 s26, s26, s20
	s_delay_alu instid0(SALU_CYCLE_1) | instskip(SKIP_1) | instid1(SALU_CYCLE_1)
	s_add_i32 s27, s3, s26
	s_mul_i32 s26, s9, s20
	s_lshl_b64 s[26:27], s[26:27], 4
	s_delay_alu instid0(SALU_CYCLE_1)
	v_add_co_u32 v14, vcc_lo, v22, s26
	v_add_co_ci_u32_e32 v15, vcc_lo, s27, v23, vcc_lo
	global_load_b128 v[14:17], v[14:15], off
	s_waitcnt vmcnt(0)
	v_fma_f64 v[18:19], -v[6:7], v[14:15], v[0:1]
	v_fma_f64 v[14:15], -v[4:5], v[14:15], v[2:3]
	s_delay_alu instid0(VALU_DEP_2) | instskip(NEXT) | instid1(VALU_DEP_2)
	v_fma_f64 v[20:21], v[4:5], v[16:17], v[18:19]
	v_fma_f64 v[18:19], -v[6:7], v[16:17], v[14:15]
.LBB77_46:                              ;   in Loop: Header=BB77_14 Depth=1
	s_or_b32 exec_lo, exec_lo, s2
	v_dual_mov_b32 v15, v11 :: v_dual_mov_b32 v14, v10
	v_dual_mov_b32 v17, v13 :: v_dual_mov_b32 v16, v12
	s_mov_b32 s26, 0
	s_branch .LBB77_36
.LBB77_47:                              ;   in Loop: Header=BB77_14 Depth=1
	s_and_not1_b32 vcc_lo, exec_lo, s13
	s_cbranch_vccnz .LBB77_49
; %bb.48:                               ;   in Loop: Header=BB77_14 Depth=1
	v_mul_f64 v[10:11], v[4:5], v[4:5]
	s_delay_alu instid0(VALU_DEP_1) | instskip(NEXT) | instid1(VALU_DEP_1)
	v_fma_f64 v[10:11], v[6:7], v[6:7], v[10:11]
	v_div_scale_f64 v[12:13], null, v[10:11], v[10:11], 1.0
	v_div_scale_f64 v[18:19], vcc_lo, 1.0, v[10:11], 1.0
	s_delay_alu instid0(VALU_DEP_2) | instskip(SKIP_2) | instid1(VALU_DEP_1)
	v_rcp_f64_e32 v[14:15], v[12:13]
	s_waitcnt_depctr 0xfff
	v_fma_f64 v[16:17], -v[12:13], v[14:15], 1.0
	v_fma_f64 v[14:15], v[14:15], v[16:17], v[14:15]
	s_delay_alu instid0(VALU_DEP_1) | instskip(NEXT) | instid1(VALU_DEP_1)
	v_fma_f64 v[16:17], -v[12:13], v[14:15], 1.0
	v_fma_f64 v[14:15], v[14:15], v[16:17], v[14:15]
	s_delay_alu instid0(VALU_DEP_1) | instskip(NEXT) | instid1(VALU_DEP_1)
	v_mul_f64 v[16:17], v[18:19], v[14:15]
	v_fma_f64 v[12:13], -v[12:13], v[16:17], v[18:19]
	s_delay_alu instid0(VALU_DEP_1) | instskip(SKIP_2) | instid1(VALU_DEP_3)
	v_div_fmas_f64 v[12:13], v[12:13], v[14:15], v[16:17]
	v_fma_f64 v[14:15], v[4:5], 0, v[6:7]
	v_fma_f64 v[4:5], v[6:7], 0, -v[4:5]
	v_div_fixup_f64 v[10:11], v[12:13], v[10:11], 1.0
	s_delay_alu instid0(VALU_DEP_1) | instskip(NEXT) | instid1(VALU_DEP_3)
	v_mul_f64 v[12:13], v[14:15], v[10:11]
	v_mul_f64 v[10:11], v[4:5], v[10:11]
.LBB77_49:                              ;   in Loop: Header=BB77_14 Depth=1
	s_delay_alu instid0(VALU_DEP_2) | instskip(NEXT) | instid1(VALU_DEP_2)
	v_dual_mov_b32 v17, v13 :: v_dual_mov_b32 v16, v12
	v_dual_mov_b32 v15, v11 :: v_dual_mov_b32 v14, v10
	v_dual_mov_b32 v21, v1 :: v_dual_mov_b32 v20, v0
	v_dual_mov_b32 v19, v3 :: v_dual_mov_b32 v18, v2
	s_mov_b32 s26, 2
	s_delay_alu instid0(SALU_CYCLE_1)
	s_cmp_gt_i32 s26, 3
	s_mov_b32 s2, -1
	s_cbranch_scc0 .LBB77_37
.LBB77_50:                              ;   in Loop: Header=BB77_14 Depth=1
	s_branch .LBB77_12
.LBB77_51:                              ;   in Loop: Header=BB77_14 Depth=1
                                        ; implicit-def: $sgpr22_sgpr23
	s_branch .LBB77_13
.LBB77_52:
	v_mov_b32_e32 v14, 0
	v_dual_mov_b32 v15, 0 :: v_dual_mov_b32 v16, 0
	v_mov_b32_e32 v17, 0x3ff00000
	s_cmp_lg_u32 s6, 0
	s_cbranch_scc1 .LBB77_55
	s_branch .LBB77_54
.LBB77_53:
	v_dual_mov_b32 v2, v18 :: v_dual_mov_b32 v3, v19
	v_dual_mov_b32 v0, v20 :: v_dual_mov_b32 v1, v21
	s_cmp_lg_u32 s6, 0
	s_cbranch_scc1 .LBB77_55
.LBB77_54:
	s_delay_alu instid0(VALU_DEP_2) | instskip(NEXT) | instid1(VALU_DEP_2)
	v_mul_f64 v[4:5], v[14:15], -v[2:3]
	v_mul_f64 v[6:7], v[14:15], v[0:1]
	s_delay_alu instid0(VALU_DEP_2) | instskip(NEXT) | instid1(VALU_DEP_2)
	v_fma_f64 v[0:1], v[0:1], v[16:17], v[4:5]
	v_fma_f64 v[2:3], v[2:3], v[16:17], v[6:7]
.LBB77_55:
	s_and_saveexec_b32 s1, s0
	s_cbranch_execz .LBB77_57
; %bb.56:
	s_lshl_b64 s[2:3], s[14:15], 4
	s_delay_alu instid0(SALU_CYCLE_1)
	v_add_co_u32 v4, vcc_lo, v22, s2
	v_add_co_ci_u32_e32 v5, vcc_lo, s3, v23, vcc_lo
	global_store_b128 v[4:5], v[0:3], off
.LBB77_57:
	s_or_b32 exec_lo, exec_lo, s1
	s_waitcnt_vscnt null, 0x0
	buffer_gl1_inv
	buffer_gl0_inv
	s_barrier
	buffer_gl0_inv
	s_mov_b32 s0, exec_lo
	v_cmpx_eq_u32_e32 0, v8
	s_cbranch_execz .LBB77_59
; %bb.58:
	s_add_i32 s0, s12, s7
	v_dual_mov_b32 v0, 0 :: v_dual_mov_b32 v1, 1
	s_ashr_i32 s1, s0, 31
	s_delay_alu instid0(SALU_CYCLE_1) | instskip(NEXT) | instid1(SALU_CYCLE_1)
	s_lshl_b64 s[0:1], s[0:1], 2
	s_add_u32 s0, s16, s0
	s_addc_u32 s1, s17, s1
	global_store_b32 v0, v1, s[0:1]
.LBB77_59:
	s_nop 0
	s_sendmsg sendmsg(MSG_DEALLOC_VGPRS)
	s_endpgm
	.section	.rodata,"a",@progbits
	.p2align	6, 0x0
	.amdhsa_kernel _ZN9rocsparseL5csrsmILj128ELj64ELb0Eli21rocsparse_complex_numIdEEEv20rocsparse_operation_T3_S4_NS_24const_host_device_scalarIT4_EEPKT2_PKS4_PKS6_PS6_lPiSC_PS4_21rocsparse_index_base_20rocsparse_fill_mode_20rocsparse_diag_type_b
		.amdhsa_group_segment_fixed_size 3584
		.amdhsa_private_segment_fixed_size 0
		.amdhsa_kernarg_size 112
		.amdhsa_user_sgpr_count 15
		.amdhsa_user_sgpr_dispatch_ptr 1
		.amdhsa_user_sgpr_queue_ptr 0
		.amdhsa_user_sgpr_kernarg_segment_ptr 1
		.amdhsa_user_sgpr_dispatch_id 0
		.amdhsa_user_sgpr_private_segment_size 0
		.amdhsa_wavefront_size32 1
		.amdhsa_uses_dynamic_stack 0
		.amdhsa_enable_private_segment 0
		.amdhsa_system_sgpr_workgroup_id_x 1
		.amdhsa_system_sgpr_workgroup_id_y 0
		.amdhsa_system_sgpr_workgroup_id_z 0
		.amdhsa_system_sgpr_workgroup_info 0
		.amdhsa_system_vgpr_workitem_id 2
		.amdhsa_next_free_vgpr 32
		.amdhsa_next_free_sgpr 28
		.amdhsa_reserve_vcc 1
		.amdhsa_float_round_mode_32 0
		.amdhsa_float_round_mode_16_64 0
		.amdhsa_float_denorm_mode_32 3
		.amdhsa_float_denorm_mode_16_64 3
		.amdhsa_dx10_clamp 1
		.amdhsa_ieee_mode 1
		.amdhsa_fp16_overflow 0
		.amdhsa_workgroup_processor_mode 1
		.amdhsa_memory_ordered 1
		.amdhsa_forward_progress 0
		.amdhsa_shared_vgpr_count 0
		.amdhsa_exception_fp_ieee_invalid_op 0
		.amdhsa_exception_fp_denorm_src 0
		.amdhsa_exception_fp_ieee_div_zero 0
		.amdhsa_exception_fp_ieee_overflow 0
		.amdhsa_exception_fp_ieee_underflow 0
		.amdhsa_exception_fp_ieee_inexact 0
		.amdhsa_exception_int_div_zero 0
	.end_amdhsa_kernel
	.section	.text._ZN9rocsparseL5csrsmILj128ELj64ELb0Eli21rocsparse_complex_numIdEEEv20rocsparse_operation_T3_S4_NS_24const_host_device_scalarIT4_EEPKT2_PKS4_PKS6_PS6_lPiSC_PS4_21rocsparse_index_base_20rocsparse_fill_mode_20rocsparse_diag_type_b,"axG",@progbits,_ZN9rocsparseL5csrsmILj128ELj64ELb0Eli21rocsparse_complex_numIdEEEv20rocsparse_operation_T3_S4_NS_24const_host_device_scalarIT4_EEPKT2_PKS4_PKS6_PS6_lPiSC_PS4_21rocsparse_index_base_20rocsparse_fill_mode_20rocsparse_diag_type_b,comdat
.Lfunc_end77:
	.size	_ZN9rocsparseL5csrsmILj128ELj64ELb0Eli21rocsparse_complex_numIdEEEv20rocsparse_operation_T3_S4_NS_24const_host_device_scalarIT4_EEPKT2_PKS4_PKS6_PS6_lPiSC_PS4_21rocsparse_index_base_20rocsparse_fill_mode_20rocsparse_diag_type_b, .Lfunc_end77-_ZN9rocsparseL5csrsmILj128ELj64ELb0Eli21rocsparse_complex_numIdEEEv20rocsparse_operation_T3_S4_NS_24const_host_device_scalarIT4_EEPKT2_PKS4_PKS6_PS6_lPiSC_PS4_21rocsparse_index_base_20rocsparse_fill_mode_20rocsparse_diag_type_b
                                        ; -- End function
	.section	.AMDGPU.csdata,"",@progbits
; Kernel info:
; codeLenInByte = 2516
; NumSgprs: 30
; NumVgprs: 32
; ScratchSize: 0
; MemoryBound: 1
; FloatMode: 240
; IeeeMode: 1
; LDSByteSize: 3584 bytes/workgroup (compile time only)
; SGPRBlocks: 3
; VGPRBlocks: 3
; NumSGPRsForWavesPerEU: 30
; NumVGPRsForWavesPerEU: 32
; Occupancy: 16
; WaveLimiterHint : 1
; COMPUTE_PGM_RSRC2:SCRATCH_EN: 0
; COMPUTE_PGM_RSRC2:USER_SGPR: 15
; COMPUTE_PGM_RSRC2:TRAP_HANDLER: 0
; COMPUTE_PGM_RSRC2:TGID_X_EN: 1
; COMPUTE_PGM_RSRC2:TGID_Y_EN: 0
; COMPUTE_PGM_RSRC2:TGID_Z_EN: 0
; COMPUTE_PGM_RSRC2:TIDIG_COMP_CNT: 2
	.section	.text._ZN9rocsparseL5csrsmILj256ELj64ELb1Eli21rocsparse_complex_numIdEEEv20rocsparse_operation_T3_S4_NS_24const_host_device_scalarIT4_EEPKT2_PKS4_PKS6_PS6_lPiSC_PS4_21rocsparse_index_base_20rocsparse_fill_mode_20rocsparse_diag_type_b,"axG",@progbits,_ZN9rocsparseL5csrsmILj256ELj64ELb1Eli21rocsparse_complex_numIdEEEv20rocsparse_operation_T3_S4_NS_24const_host_device_scalarIT4_EEPKT2_PKS4_PKS6_PS6_lPiSC_PS4_21rocsparse_index_base_20rocsparse_fill_mode_20rocsparse_diag_type_b,comdat
	.globl	_ZN9rocsparseL5csrsmILj256ELj64ELb1Eli21rocsparse_complex_numIdEEEv20rocsparse_operation_T3_S4_NS_24const_host_device_scalarIT4_EEPKT2_PKS4_PKS6_PS6_lPiSC_PS4_21rocsparse_index_base_20rocsparse_fill_mode_20rocsparse_diag_type_b ; -- Begin function _ZN9rocsparseL5csrsmILj256ELj64ELb1Eli21rocsparse_complex_numIdEEEv20rocsparse_operation_T3_S4_NS_24const_host_device_scalarIT4_EEPKT2_PKS4_PKS6_PS6_lPiSC_PS4_21rocsparse_index_base_20rocsparse_fill_mode_20rocsparse_diag_type_b
	.p2align	8
	.type	_ZN9rocsparseL5csrsmILj256ELj64ELb1Eli21rocsparse_complex_numIdEEEv20rocsparse_operation_T3_S4_NS_24const_host_device_scalarIT4_EEPKT2_PKS4_PKS6_PS6_lPiSC_PS4_21rocsparse_index_base_20rocsparse_fill_mode_20rocsparse_diag_type_b,@function
_ZN9rocsparseL5csrsmILj256ELj64ELb1Eli21rocsparse_complex_numIdEEEv20rocsparse_operation_T3_S4_NS_24const_host_device_scalarIT4_EEPKT2_PKS4_PKS6_PS6_lPiSC_PS4_21rocsparse_index_base_20rocsparse_fill_mode_20rocsparse_diag_type_b: ; @_ZN9rocsparseL5csrsmILj256ELj64ELb1Eli21rocsparse_complex_numIdEEEv20rocsparse_operation_T3_S4_NS_24const_host_device_scalarIT4_EEPKT2_PKS4_PKS6_PS6_lPiSC_PS4_21rocsparse_index_base_20rocsparse_fill_mode_20rocsparse_diag_type_b
; %bb.0:
	s_load_b64 s[0:1], s[0:1], 0x4
	s_load_b128 s[8:11], s[2:3], 0x10
	v_and_b32_e32 v8, 0x3ff, v0
	s_load_b128 s[4:7], s[2:3], 0x60
	v_bfe_u32 v2, v0, 10, 10
	v_bfe_u32 v0, v0, 20, 10
	s_mov_b64 s[12:13], src_shared_base
	s_waitcnt lgkmcnt(0)
	s_lshr_b32 s0, s0, 16
	s_delay_alu instid0(SALU_CYCLE_1) | instskip(NEXT) | instid1(SALU_CYCLE_1)
	s_mul_i32 s0, s0, s1
	v_mul_lo_u32 v1, s0, v8
	s_and_b32 s0, 1, s7
	s_delay_alu instid0(SALU_CYCLE_1) | instskip(SKIP_1) | instid1(VALU_DEP_1)
	s_cmp_eq_u32 s0, 1
	s_cselect_b32 vcc_lo, -1, 0
	v_mad_u32_u24 v1, v2, s1, v1
	s_load_b64 s[0:1], s[2:3], 0x20
	v_dual_mov_b32 v2, s8 :: v_dual_mov_b32 v3, s9
	v_dual_mov_b32 v6, s10 :: v_dual_mov_b32 v7, s11
	s_delay_alu instid0(VALU_DEP_3) | instskip(NEXT) | instid1(VALU_DEP_1)
	v_add_lshl_u32 v4, v1, v0, 3
	v_add_nc_u32_e32 v0, 0x1400, v4
	ds_store_b64 v4, v[2:3] offset:5120
	v_cndmask_b32_e32 v0, s8, v0, vcc_lo
	s_and_b32 vcc_lo, vcc_lo, exec_lo
	s_cselect_b32 s7, s13, s9
	s_delay_alu instid0(SALU_CYCLE_1)
	v_mov_b32_e32 v1, s7
	flat_load_b64 v[4:5], v[0:1]
	s_clause 0x1
	s_load_b64 s[12:13], s[2:3], 0x50
	s_load_b64 s[22:23], s[2:3], 0x38
	s_cbranch_vccnz .LBB78_2
; %bb.1:
	v_dual_mov_b32 v0, s8 :: v_dual_mov_b32 v1, s9
	flat_load_b64 v[6:7], v[0:1] offset:8
.LBB78_2:
	s_clause 0x1
	s_load_b128 s[16:19], s[2:3], 0x0
	s_load_b64 s[20:21], s[2:3], 0x40
	s_waitcnt lgkmcnt(0)
	v_cvt_f32_u32_e32 v0, s17
	s_sub_i32 s8, 0, s17
	s_delay_alu instid0(VALU_DEP_1) | instskip(SKIP_2) | instid1(VALU_DEP_1)
	v_rcp_iflag_f32_e32 v0, v0
	s_waitcnt_depctr 0xfff
	v_mul_f32_e32 v0, 0x4f7ffffe, v0
	v_cvt_u32_f32_e32 v0, v0
	s_delay_alu instid0(VALU_DEP_1) | instskip(NEXT) | instid1(VALU_DEP_1)
	v_readfirstlane_b32 s7, v0
	s_mul_i32 s8, s8, s7
	s_delay_alu instid0(SALU_CYCLE_1) | instskip(NEXT) | instid1(SALU_CYCLE_1)
	s_mul_hi_u32 s8, s7, s8
	s_add_i32 s7, s7, s8
	s_delay_alu instid0(SALU_CYCLE_1) | instskip(NEXT) | instid1(SALU_CYCLE_1)
	s_mul_hi_u32 s7, s15, s7
	s_mul_i32 s8, s7, s17
	s_add_i32 s9, s7, 1
	s_sub_i32 s8, s15, s8
	s_delay_alu instid0(SALU_CYCLE_1)
	s_sub_i32 s10, s8, s17
	s_cmp_ge_u32 s8, s17
	s_cselect_b32 s7, s9, s7
	s_cselect_b32 s8, s10, s8
	s_add_i32 s9, s7, 1
	s_cmp_ge_u32 s8, s17
	s_cselect_b32 s14, s9, s7
	s_delay_alu instid0(SALU_CYCLE_1) | instskip(SKIP_2) | instid1(SALU_CYCLE_1)
	s_mul_i32 s7, s14, s17
	v_lshl_or_b32 v9, s14, 8, v8
	s_sub_i32 s8, s15, s7
	s_ashr_i32 s9, s8, 31
	s_delay_alu instid0(VALU_DEP_1) | instskip(SKIP_1) | instid1(SALU_CYCLE_1)
	v_ashrrev_i32_e32 v10, 31, v9
	s_lshl_b64 s[8:9], s[8:9], 2
	s_add_u32 s8, s12, s8
	s_addc_u32 s9, s13, s9
	s_load_b32 s12, s[8:9], 0x0
	s_waitcnt lgkmcnt(0)
	s_ashr_i32 s13, s12, 31
	s_mul_i32 s14, s12, s20
	s_lshl_b64 s[8:9], s[12:13], 3
	v_add_co_u32 v11, vcc_lo, s14, v9
	s_add_u32 s0, s0, s8
	s_addc_u32 s1, s1, s9
	s_load_b128 s[8:11], s[0:1], 0x0
	s_mul_i32 s0, s12, s21
	s_mul_hi_u32 s1, s12, s20
	s_delay_alu instid0(SALU_CYCLE_1) | instskip(SKIP_1) | instid1(SALU_CYCLE_1)
	s_add_i32 s0, s1, s0
	s_mul_i32 s1, s13, s20
	s_add_i32 s15, s0, s1
	v_cmp_gt_i32_e64 s0, s18, v9
	v_add_co_ci_u32_e32 v12, vcc_lo, s15, v10, vcc_lo
	s_cmpk_lg_i32 s16, 0x71
	s_cbranch_scc0 .LBB78_6
; %bb.3:
	v_mov_b32_e32 v2, 0
	v_mov_b32_e32 v3, 0
	s_delay_alu instid0(VALU_DEP_1)
	v_dual_mov_b32 v0, v2 :: v_dual_mov_b32 v1, v3
	s_and_saveexec_b32 s1, s0
	s_cbranch_execz .LBB78_5
; %bb.4:
	v_lshlrev_b64 v[0:1], 4, v[11:12]
	s_delay_alu instid0(VALU_DEP_1) | instskip(NEXT) | instid1(VALU_DEP_2)
	v_add_co_u32 v0, vcc_lo, s22, v0
	v_add_co_ci_u32_e32 v1, vcc_lo, s23, v1, vcc_lo
	global_load_b128 v[13:16], v[0:1], off
	s_waitcnt vmcnt(0)
	v_mul_f64 v[0:1], v[15:16], -v[6:7]
	v_mul_f64 v[2:3], v[4:5], v[15:16]
	s_delay_alu instid0(VALU_DEP_2) | instskip(NEXT) | instid1(VALU_DEP_2)
	v_fma_f64 v[0:1], v[4:5], v[13:14], v[0:1]
	v_fma_f64 v[2:3], v[6:7], v[13:14], v[2:3]
.LBB78_5:
	s_or_b32 exec_lo, exec_lo, s1
	s_load_b64 s[16:17], s[2:3], 0x48
	s_cbranch_execz .LBB78_7
	s_branch .LBB78_10
.LBB78_6:
                                        ; implicit-def: $vgpr2_vgpr3
	s_load_b64 s[16:17], s[2:3], 0x48
.LBB78_7:
	v_mov_b32_e32 v2, 0
	v_mov_b32_e32 v3, 0
	s_delay_alu instid0(VALU_DEP_1)
	v_dual_mov_b32 v0, v2 :: v_dual_mov_b32 v1, v3
	s_and_saveexec_b32 s1, s0
	s_cbranch_execz .LBB78_9
; %bb.8:
	v_lshlrev_b64 v[0:1], 4, v[11:12]
	s_delay_alu instid0(VALU_DEP_1) | instskip(NEXT) | instid1(VALU_DEP_2)
	v_add_co_u32 v0, vcc_lo, s22, v0
	v_add_co_ci_u32_e32 v1, vcc_lo, s23, v1, vcc_lo
	global_load_b128 v[11:14], v[0:1], off
	s_waitcnt vmcnt(0)
	v_mul_f64 v[0:1], v[6:7], v[13:14]
	v_mul_f64 v[2:3], v[4:5], -v[13:14]
	s_delay_alu instid0(VALU_DEP_2) | instskip(NEXT) | instid1(VALU_DEP_2)
	v_fma_f64 v[0:1], v[4:5], v[11:12], v[0:1]
	v_fma_f64 v[2:3], v[6:7], v[11:12], v[2:3]
.LBB78_9:
	s_or_b32 exec_lo, exec_lo, s1
.LBB78_10:
	s_waitcnt vmcnt(0)
	v_lshlrev_b64 v[4:5], 4, v[9:10]
	s_waitcnt lgkmcnt(0)
	v_cmp_ge_i64_e64 s1, s[8:9], s[10:11]
	s_delay_alu instid0(VALU_DEP_2) | instskip(NEXT) | instid1(VALU_DEP_3)
	v_add_co_u32 v22, vcc_lo, s22, v4
	v_add_co_ci_u32_e32 v23, vcc_lo, s23, v5, vcc_lo
	s_delay_alu instid0(VALU_DEP_3)
	s_and_b32 vcc_lo, exec_lo, s1
	v_cmp_eq_u32_e64 s1, 0, v8
	s_cbranch_vccnz .LBB78_55
; %bb.11:
	s_clause 0x1
	s_load_b128 s[24:27], s[2:3], 0x28
	s_load_b64 s[18:19], s[2:3], 0x58
	v_dual_mov_b32 v9, 0 :: v_dual_lshlrev_b32 v4, 2, v8
	v_lshlrev_b32_e32 v24, 4, v8
	s_sub_u32 s8, s8, s4
	v_mov_b32_e32 v10, 0
	v_mov_b32_e32 v11, 0
	s_subb_u32 s9, s9, 0
	v_mov_b32_e32 v12, 0
	v_mov_b32_e32 v13, 0x3ff00000
	s_sub_u32 s10, s10, s4
	s_subb_u32 s11, s11, 0
	v_or_b32_e32 v25, 0x1000, v4
	s_cmp_eq_u32 s6, 0
	s_mov_b64 s[22:23], s[8:9]
	s_cselect_b32 s13, -1, 0
	s_waitcnt lgkmcnt(0)
	v_add_co_u32 v26, s2, s24, v4
	s_delay_alu instid0(VALU_DEP_1) | instskip(SKIP_1) | instid1(VALU_DEP_1)
	v_add_co_ci_u32_e64 v27, null, s25, 0, s2
	v_add_co_u32 v28, s2, s26, v24
	v_add_co_ci_u32_e64 v29, null, s27, 0, s2
	s_add_i32 s24, s12, s4
	s_branch .LBB78_14
.LBB78_12:                              ;   in Loop: Header=BB78_14 Depth=1
	s_add_u32 s22, s22, 1
	s_addc_u32 s23, s23, 0
	s_delay_alu instid0(SALU_CYCLE_1)
	v_cmp_ge_i64_e64 s2, s[22:23], s[10:11]
.LBB78_13:                              ;   in Loop: Header=BB78_14 Depth=1
	s_delay_alu instid0(VALU_DEP_3) | instskip(NEXT) | instid1(VALU_DEP_4)
	v_dual_mov_b32 v2, v18 :: v_dual_mov_b32 v3, v19
	v_dual_mov_b32 v0, v20 :: v_dual_mov_b32 v1, v21
	s_delay_alu instid0(VALU_DEP_4) | instskip(NEXT) | instid1(VALU_DEP_4)
	v_dual_mov_b32 v10, v14 :: v_dual_mov_b32 v11, v15
	v_dual_mov_b32 v12, v16 :: v_dual_mov_b32 v13, v17
	s_and_not1_b32 vcc_lo, exec_lo, s2
	s_cbranch_vccz .LBB78_56
.LBB78_14:                              ; =>This Loop Header: Depth=1
                                        ;     Child Loop BB78_53 Depth 2
                                        ;       Child Loop BB78_54 Depth 3
	s_sub_i32 s2, s22, s8
	s_delay_alu instid0(SALU_CYCLE_1) | instskip(NEXT) | instid1(SALU_CYCLE_1)
	s_and_b32 s3, s2, 0xff
	s_cmp_lg_u32 s3, 0
	s_cbranch_scc1 .LBB78_18
; %bb.15:                               ;   in Loop: Header=BB78_14 Depth=1
	v_mov_b32_e32 v6, 0
	v_dual_mov_b32 v7, 0 :: v_dual_mov_b32 v4, 0
	v_dual_mov_b32 v5, 0xbff00000 :: v_dual_mov_b32 v14, -1
	s_sub_u32 s26, s10, s22
	s_subb_u32 s27, s11, s23
	s_mov_b32 s2, exec_lo
	v_cmpx_gt_i64_e64 s[26:27], v[8:9]
	s_cbranch_execz .LBB78_17
; %bb.16:                               ;   in Loop: Header=BB78_14 Depth=1
	s_lshl_b64 s[26:27], s[22:23], 2
	s_delay_alu instid0(SALU_CYCLE_1)
	v_add_co_u32 v4, vcc_lo, v26, s26
	v_add_co_ci_u32_e32 v5, vcc_lo, s27, v27, vcc_lo
	s_lshl_b64 s[26:27], s[22:23], 4
	global_load_b32 v14, v[4:5], off
	v_add_co_u32 v4, vcc_lo, v28, s26
	v_add_co_ci_u32_e32 v5, vcc_lo, s27, v29, vcc_lo
	global_load_b128 v[4:7], v[4:5], off
	s_waitcnt vmcnt(1)
	v_subrev_nc_u32_e32 v14, s4, v14
.LBB78_17:                              ;   in Loop: Header=BB78_14 Depth=1
	s_or_b32 exec_lo, exec_lo, s2
	ds_store_b32 v25, v14
	s_waitcnt vmcnt(0)
	ds_store_b128 v24, v[4:7]
.LBB78_18:                              ;   in Loop: Header=BB78_14 Depth=1
	s_lshl_b32 s2, s3, 4
	s_waitcnt lgkmcnt(0)
	v_mov_b32_e32 v4, s2
	s_waitcnt_vscnt null, 0x0
	s_barrier
	buffer_gl0_inv
	s_lshl_b32 s3, s3, 2
	ds_load_b128 v[14:17], v4
	v_mov_b32_e32 v4, s3
	ds_load_b32 v4, v4 offset:4096
	s_waitcnt lgkmcnt(1)
	v_cmp_eq_f64_e32 vcc_lo, 0, v[14:15]
	v_cmp_eq_f64_e64 s2, 0, v[16:17]
	s_waitcnt lgkmcnt(0)
	v_readfirstlane_b32 s9, v4
	v_cmp_ne_u32_e64 s3, s12, v4
	s_delay_alu instid0(VALU_DEP_3) | instskip(NEXT) | instid1(VALU_DEP_2)
	s_and_b32 s2, vcc_lo, s2
	s_cmp_eq_u32 s9, s12
	s_cselect_b32 s26, -1, 0
	s_delay_alu instid0(SALU_CYCLE_1) | instskip(NEXT) | instid1(SALU_CYCLE_1)
	s_and_b32 s2, s2, s26
	s_and_b32 s2, s13, s2
	s_delay_alu instid0(SALU_CYCLE_1) | instskip(SKIP_4) | instid1(SALU_CYCLE_1)
	v_cndmask_b32_e64 v5, v17, 0, s2
	v_cndmask_b32_e64 v4, v16, 0, s2
	v_cndmask_b32_e64 v7, v15, 0x3ff00000, s2
	v_cndmask_b32_e64 v6, v14, 0, s2
	s_and_b32 s25, s1, s2
	s_and_saveexec_b32 s2, s25
	s_cbranch_execz .LBB78_22
; %bb.19:                               ;   in Loop: Header=BB78_14 Depth=1
	v_mbcnt_lo_u32_b32 v4, exec_lo, 0
	s_mov_b32 s25, exec_lo
	s_delay_alu instid0(VALU_DEP_1)
	v_cmpx_eq_u32_e32 0, v4
	s_cbranch_execz .LBB78_21
; %bb.20:                               ;   in Loop: Header=BB78_14 Depth=1
	v_mov_b32_e32 v4, s24
	global_atomic_min_i32 v9, v4, s[18:19]
.LBB78_21:                              ;   in Loop: Header=BB78_14 Depth=1
	s_or_b32 exec_lo, exec_lo, s25
	v_mov_b32_e32 v4, 0
	v_dual_mov_b32 v5, 0 :: v_dual_mov_b32 v6, 0
	v_mov_b32_e32 v7, 0x3ff00000
.LBB78_22:                              ;   in Loop: Header=BB78_14 Depth=1
	s_or_b32 exec_lo, exec_lo, s2
	s_cmp_lt_i32 s5, 1
	s_mov_b32 s2, 0
	s_cbranch_scc1 .LBB78_28
; %bb.23:                               ;   in Loop: Header=BB78_14 Depth=1
	s_cmp_eq_u32 s5, 1
	s_cbranch_scc0 .LBB78_29
; %bb.24:                               ;   in Loop: Header=BB78_14 Depth=1
	v_dual_mov_b32 v15, v11 :: v_dual_mov_b32 v14, v10
	v_dual_mov_b32 v17, v13 :: v_dual_mov_b32 v16, v12
	s_cmp_ge_i32 s9, s12
	s_mov_b32 s25, 0
	s_cbranch_scc0 .LBB78_31
; %bb.25:                               ;   in Loop: Header=BB78_14 Depth=1
	s_and_b32 vcc_lo, exec_lo, s26
	s_cbranch_vccz .LBB78_30
; %bb.26:                               ;   in Loop: Header=BB78_14 Depth=1
	v_dual_mov_b32 v15, v11 :: v_dual_mov_b32 v14, v10
	v_dual_mov_b32 v17, v13 :: v_dual_mov_b32 v16, v12
	s_and_not1_b32 vcc_lo, exec_lo, s13
	s_cbranch_vccnz .LBB78_31
; %bb.27:                               ;   in Loop: Header=BB78_14 Depth=1
	v_mul_f64 v[14:15], v[4:5], v[4:5]
	s_delay_alu instid0(VALU_DEP_1) | instskip(NEXT) | instid1(VALU_DEP_1)
	v_fma_f64 v[14:15], v[6:7], v[6:7], v[14:15]
	v_div_scale_f64 v[16:17], null, v[14:15], v[14:15], 1.0
	v_div_scale_f64 v[30:31], vcc_lo, 1.0, v[14:15], 1.0
	s_delay_alu instid0(VALU_DEP_2) | instskip(SKIP_2) | instid1(VALU_DEP_1)
	v_rcp_f64_e32 v[18:19], v[16:17]
	s_waitcnt_depctr 0xfff
	v_fma_f64 v[20:21], -v[16:17], v[18:19], 1.0
	v_fma_f64 v[18:19], v[18:19], v[20:21], v[18:19]
	s_delay_alu instid0(VALU_DEP_1) | instskip(NEXT) | instid1(VALU_DEP_1)
	v_fma_f64 v[20:21], -v[16:17], v[18:19], 1.0
	v_fma_f64 v[18:19], v[18:19], v[20:21], v[18:19]
	s_delay_alu instid0(VALU_DEP_1) | instskip(NEXT) | instid1(VALU_DEP_1)
	v_mul_f64 v[20:21], v[30:31], v[18:19]
	v_fma_f64 v[16:17], -v[16:17], v[20:21], v[30:31]
	s_delay_alu instid0(VALU_DEP_1) | instskip(SKIP_2) | instid1(VALU_DEP_3)
	v_div_fmas_f64 v[16:17], v[16:17], v[18:19], v[20:21]
	v_fma_f64 v[18:19], v[4:5], 0, v[6:7]
	v_fma_f64 v[20:21], v[6:7], 0, -v[4:5]
	v_div_fixup_f64 v[14:15], v[16:17], v[14:15], 1.0
	s_delay_alu instid0(VALU_DEP_1) | instskip(NEXT) | instid1(VALU_DEP_3)
	v_mul_f64 v[16:17], v[18:19], v[14:15]
	v_mul_f64 v[14:15], v[20:21], v[14:15]
	s_branch .LBB78_31
.LBB78_28:                              ;   in Loop: Header=BB78_14 Depth=1
	s_mov_b32 s25, 0
                                        ; implicit-def: $sgpr26
                                        ; implicit-def: $vgpr18_vgpr19
                                        ; implicit-def: $vgpr20_vgpr21
                                        ; implicit-def: $vgpr14_vgpr15
                                        ; implicit-def: $vgpr16_vgpr17
	s_cbranch_execnz .LBB78_32
	s_branch .LBB78_34
.LBB78_29:                              ;   in Loop: Header=BB78_14 Depth=1
	s_mov_b32 s25, -1
                                        ; implicit-def: $sgpr26
                                        ; implicit-def: $vgpr18_vgpr19
                                        ; implicit-def: $vgpr20_vgpr21
                                        ; implicit-def: $vgpr14_vgpr15
                                        ; implicit-def: $vgpr16_vgpr17
	s_branch .LBB78_34
.LBB78_30:                              ;   in Loop: Header=BB78_14 Depth=1
	s_mov_b32 s25, -1
                                        ; implicit-def: $vgpr14_vgpr15
                                        ; implicit-def: $vgpr16_vgpr17
.LBB78_31:                              ;   in Loop: Header=BB78_14 Depth=1
	v_dual_mov_b32 v19, v3 :: v_dual_mov_b32 v18, v2
	v_dual_mov_b32 v21, v1 :: v_dual_mov_b32 v20, v0
	s_mov_b32 s26, 4
	s_branch .LBB78_34
.LBB78_32:                              ;   in Loop: Header=BB78_14 Depth=1
	s_cmp_eq_u32 s5, 0
	s_cbranch_scc1 .LBB78_38
; %bb.33:                               ;   in Loop: Header=BB78_14 Depth=1
	s_mov_b32 s25, -1
                                        ; implicit-def: $sgpr26
                                        ; implicit-def: $vgpr18_vgpr19
                                        ; implicit-def: $vgpr20_vgpr21
                                        ; implicit-def: $vgpr14_vgpr15
                                        ; implicit-def: $vgpr16_vgpr17
.LBB78_34:                              ;   in Loop: Header=BB78_14 Depth=1
	s_delay_alu instid0(SALU_CYCLE_1)
	s_and_b32 vcc_lo, exec_lo, s25
	s_cbranch_vccnz .LBB78_41
.LBB78_35:                              ;   in Loop: Header=BB78_14 Depth=1
	s_and_b32 vcc_lo, exec_lo, s2
	s_cbranch_vccnz .LBB78_46
.LBB78_36:                              ;   in Loop: Header=BB78_14 Depth=1
	s_cmp_gt_i32 s26, 3
	s_mov_b32 s2, -1
	s_cbranch_scc1 .LBB78_49
.LBB78_37:                              ;   in Loop: Header=BB78_14 Depth=1
	s_cmp_eq_u32 s26, 0
	s_cselect_b32 s3, -1, 0
	s_delay_alu instid0(SALU_CYCLE_1)
	s_and_not1_b32 vcc_lo, exec_lo, s3
	s_cbranch_vccz .LBB78_12
	s_branch .LBB78_50
.LBB78_38:                              ;   in Loop: Header=BB78_14 Depth=1
	s_cmp_le_i32 s9, s12
	s_mov_b32 s25, 0
	s_cbranch_scc0 .LBB78_40
; %bb.39:                               ;   in Loop: Header=BB78_14 Depth=1
	s_mov_b32 s2, -1
	s_mov_b32 s25, s3
.LBB78_40:                              ;   in Loop: Header=BB78_14 Depth=1
	v_dual_mov_b32 v19, v3 :: v_dual_mov_b32 v18, v2
	v_dual_mov_b32 v21, v1 :: v_dual_mov_b32 v20, v0
	;; [unrolled: 1-line block ×4, first 2 shown]
	s_mov_b32 s26, 2
	s_and_b32 vcc_lo, exec_lo, s25
	s_cbranch_vccz .LBB78_35
.LBB78_41:                              ;   in Loop: Header=BB78_14 Depth=1
	s_and_saveexec_b32 s25, s1
	s_cbranch_execz .LBB78_43
; %bb.42:                               ;   in Loop: Header=BB78_14 Depth=1
	s_add_i32 s2, s9, s7
	s_delay_alu instid0(SALU_CYCLE_1) | instskip(NEXT) | instid1(SALU_CYCLE_1)
	s_ashr_i32 s3, s2, 31
	s_lshl_b64 s[2:3], s[2:3], 2
	s_delay_alu instid0(SALU_CYCLE_1)
	s_add_u32 s2, s16, s2
	s_addc_u32 s3, s17, s3
	global_load_b32 v14, v9, s[2:3] glc
	s_waitcnt vmcnt(0)
	v_cmp_ne_u32_e32 vcc_lo, 0, v14
	s_cbranch_vccz .LBB78_51
.LBB78_43:                              ;   in Loop: Header=BB78_14 Depth=1
	s_or_b32 exec_lo, exec_lo, s25
	v_mov_b32_e32 v18, 0
	v_mov_b32_e32 v19, 0
	s_waitcnt_vscnt null, 0x0
	s_barrier
	buffer_gl0_inv
	buffer_gl1_inv
	buffer_gl0_inv
	v_dual_mov_b32 v21, v19 :: v_dual_mov_b32 v20, v18
	s_and_saveexec_b32 s2, s0
	s_cbranch_execz .LBB78_45
; %bb.44:                               ;   in Loop: Header=BB78_14 Depth=1
	s_mul_i32 s3, s9, s21
	s_mul_hi_u32 s25, s9, s20
	s_ashr_i32 s26, s9, 31
	s_add_i32 s3, s25, s3
	s_mul_i32 s26, s26, s20
	s_delay_alu instid0(SALU_CYCLE_1) | instskip(SKIP_1) | instid1(SALU_CYCLE_1)
	s_add_i32 s27, s3, s26
	s_mul_i32 s26, s9, s20
	s_lshl_b64 s[26:27], s[26:27], 4
	s_delay_alu instid0(SALU_CYCLE_1)
	v_add_co_u32 v14, vcc_lo, v22, s26
	v_add_co_ci_u32_e32 v15, vcc_lo, s27, v23, vcc_lo
	global_load_b128 v[14:17], v[14:15], off
	s_waitcnt vmcnt(0)
	v_fma_f64 v[18:19], -v[6:7], v[14:15], v[0:1]
	v_fma_f64 v[14:15], -v[4:5], v[14:15], v[2:3]
	s_delay_alu instid0(VALU_DEP_2) | instskip(NEXT) | instid1(VALU_DEP_2)
	v_fma_f64 v[20:21], v[4:5], v[16:17], v[18:19]
	v_fma_f64 v[18:19], -v[6:7], v[16:17], v[14:15]
.LBB78_45:                              ;   in Loop: Header=BB78_14 Depth=1
	s_or_b32 exec_lo, exec_lo, s2
	v_dual_mov_b32 v15, v11 :: v_dual_mov_b32 v14, v10
	v_dual_mov_b32 v17, v13 :: v_dual_mov_b32 v16, v12
	s_mov_b32 s26, 0
	s_branch .LBB78_36
.LBB78_46:                              ;   in Loop: Header=BB78_14 Depth=1
	s_and_not1_b32 vcc_lo, exec_lo, s13
	s_cbranch_vccnz .LBB78_48
; %bb.47:                               ;   in Loop: Header=BB78_14 Depth=1
	v_mul_f64 v[10:11], v[4:5], v[4:5]
	s_delay_alu instid0(VALU_DEP_1) | instskip(NEXT) | instid1(VALU_DEP_1)
	v_fma_f64 v[10:11], v[6:7], v[6:7], v[10:11]
	v_div_scale_f64 v[12:13], null, v[10:11], v[10:11], 1.0
	v_div_scale_f64 v[18:19], vcc_lo, 1.0, v[10:11], 1.0
	s_delay_alu instid0(VALU_DEP_2) | instskip(SKIP_2) | instid1(VALU_DEP_1)
	v_rcp_f64_e32 v[14:15], v[12:13]
	s_waitcnt_depctr 0xfff
	v_fma_f64 v[16:17], -v[12:13], v[14:15], 1.0
	v_fma_f64 v[14:15], v[14:15], v[16:17], v[14:15]
	s_delay_alu instid0(VALU_DEP_1) | instskip(NEXT) | instid1(VALU_DEP_1)
	v_fma_f64 v[16:17], -v[12:13], v[14:15], 1.0
	v_fma_f64 v[14:15], v[14:15], v[16:17], v[14:15]
	s_delay_alu instid0(VALU_DEP_1) | instskip(NEXT) | instid1(VALU_DEP_1)
	v_mul_f64 v[16:17], v[18:19], v[14:15]
	v_fma_f64 v[12:13], -v[12:13], v[16:17], v[18:19]
	s_delay_alu instid0(VALU_DEP_1) | instskip(SKIP_2) | instid1(VALU_DEP_3)
	v_div_fmas_f64 v[12:13], v[12:13], v[14:15], v[16:17]
	v_fma_f64 v[14:15], v[4:5], 0, v[6:7]
	v_fma_f64 v[4:5], v[6:7], 0, -v[4:5]
	v_div_fixup_f64 v[10:11], v[12:13], v[10:11], 1.0
	s_delay_alu instid0(VALU_DEP_1) | instskip(NEXT) | instid1(VALU_DEP_3)
	v_mul_f64 v[12:13], v[14:15], v[10:11]
	v_mul_f64 v[10:11], v[4:5], v[10:11]
.LBB78_48:                              ;   in Loop: Header=BB78_14 Depth=1
	s_delay_alu instid0(VALU_DEP_2) | instskip(NEXT) | instid1(VALU_DEP_2)
	v_dual_mov_b32 v17, v13 :: v_dual_mov_b32 v16, v12
	v_dual_mov_b32 v15, v11 :: v_dual_mov_b32 v14, v10
	;; [unrolled: 1-line block ×4, first 2 shown]
	s_mov_b32 s26, 2
	s_delay_alu instid0(SALU_CYCLE_1)
	s_cmp_gt_i32 s26, 3
	s_mov_b32 s2, -1
	s_cbranch_scc0 .LBB78_37
.LBB78_49:                              ;   in Loop: Header=BB78_14 Depth=1
	s_branch .LBB78_12
.LBB78_50:                              ;   in Loop: Header=BB78_14 Depth=1
                                        ; implicit-def: $sgpr22_sgpr23
	s_branch .LBB78_13
.LBB78_51:                              ;   in Loop: Header=BB78_14 Depth=1
	s_mov_b32 s26, 0
	s_branch .LBB78_53
	.p2align	6
.LBB78_52:                              ;   in Loop: Header=BB78_53 Depth=2
	global_load_b32 v14, v9, s[2:3] glc
	s_cmpk_lt_u32 s26, 0xf43
	s_cselect_b32 s27, -1, 0
	s_delay_alu instid0(SALU_CYCLE_1)
	s_cmp_lg_u32 s27, 0
	s_addc_u32 s26, s26, 0
	s_waitcnt vmcnt(0)
	v_cmp_ne_u32_e32 vcc_lo, 0, v14
	s_cbranch_vccnz .LBB78_43
.LBB78_53:                              ;   Parent Loop BB78_14 Depth=1
                                        ; =>  This Loop Header: Depth=2
                                        ;       Child Loop BB78_54 Depth 3
	s_cmp_eq_u32 s26, 0
	s_mov_b32 s27, s26
	s_cbranch_scc1 .LBB78_52
.LBB78_54:                              ;   Parent Loop BB78_14 Depth=1
                                        ;     Parent Loop BB78_53 Depth=2
                                        ; =>    This Inner Loop Header: Depth=3
	s_add_i32 s27, s27, -1
	s_sleep 1
	s_cmp_eq_u32 s27, 0
	s_cbranch_scc0 .LBB78_54
	s_branch .LBB78_52
.LBB78_55:
	v_mov_b32_e32 v14, 0
	v_dual_mov_b32 v15, 0 :: v_dual_mov_b32 v16, 0
	v_mov_b32_e32 v17, 0x3ff00000
	s_cmp_lg_u32 s6, 0
	s_cbranch_scc1 .LBB78_58
	s_branch .LBB78_57
.LBB78_56:
	v_dual_mov_b32 v2, v18 :: v_dual_mov_b32 v3, v19
	v_dual_mov_b32 v0, v20 :: v_dual_mov_b32 v1, v21
	s_cmp_lg_u32 s6, 0
	s_cbranch_scc1 .LBB78_58
.LBB78_57:
	s_delay_alu instid0(VALU_DEP_2) | instskip(NEXT) | instid1(VALU_DEP_2)
	v_mul_f64 v[4:5], v[14:15], -v[2:3]
	v_mul_f64 v[6:7], v[14:15], v[0:1]
	s_delay_alu instid0(VALU_DEP_2) | instskip(NEXT) | instid1(VALU_DEP_2)
	v_fma_f64 v[0:1], v[0:1], v[16:17], v[4:5]
	v_fma_f64 v[2:3], v[2:3], v[16:17], v[6:7]
.LBB78_58:
	s_and_saveexec_b32 s1, s0
	s_cbranch_execz .LBB78_60
; %bb.59:
	s_lshl_b64 s[2:3], s[14:15], 4
	s_delay_alu instid0(SALU_CYCLE_1)
	v_add_co_u32 v4, vcc_lo, v22, s2
	v_add_co_ci_u32_e32 v5, vcc_lo, s3, v23, vcc_lo
	global_store_b128 v[4:5], v[0:3], off
.LBB78_60:
	s_or_b32 exec_lo, exec_lo, s1
	s_waitcnt_vscnt null, 0x0
	buffer_gl1_inv
	buffer_gl0_inv
	s_barrier
	buffer_gl0_inv
	s_mov_b32 s0, exec_lo
	v_cmpx_eq_u32_e32 0, v8
	s_cbranch_execz .LBB78_62
; %bb.61:
	s_add_i32 s0, s12, s7
	v_dual_mov_b32 v0, 0 :: v_dual_mov_b32 v1, 1
	s_ashr_i32 s1, s0, 31
	s_delay_alu instid0(SALU_CYCLE_1) | instskip(NEXT) | instid1(SALU_CYCLE_1)
	s_lshl_b64 s[0:1], s[0:1], 2
	s_add_u32 s0, s16, s0
	s_addc_u32 s1, s17, s1
	global_store_b32 v0, v1, s[0:1]
.LBB78_62:
	s_nop 0
	s_sendmsg sendmsg(MSG_DEALLOC_VGPRS)
	s_endpgm
	.section	.rodata,"a",@progbits
	.p2align	6, 0x0
	.amdhsa_kernel _ZN9rocsparseL5csrsmILj256ELj64ELb1Eli21rocsparse_complex_numIdEEEv20rocsparse_operation_T3_S4_NS_24const_host_device_scalarIT4_EEPKT2_PKS4_PKS6_PS6_lPiSC_PS4_21rocsparse_index_base_20rocsparse_fill_mode_20rocsparse_diag_type_b
		.amdhsa_group_segment_fixed_size 7168
		.amdhsa_private_segment_fixed_size 0
		.amdhsa_kernarg_size 112
		.amdhsa_user_sgpr_count 15
		.amdhsa_user_sgpr_dispatch_ptr 1
		.amdhsa_user_sgpr_queue_ptr 0
		.amdhsa_user_sgpr_kernarg_segment_ptr 1
		.amdhsa_user_sgpr_dispatch_id 0
		.amdhsa_user_sgpr_private_segment_size 0
		.amdhsa_wavefront_size32 1
		.amdhsa_uses_dynamic_stack 0
		.amdhsa_enable_private_segment 0
		.amdhsa_system_sgpr_workgroup_id_x 1
		.amdhsa_system_sgpr_workgroup_id_y 0
		.amdhsa_system_sgpr_workgroup_id_z 0
		.amdhsa_system_sgpr_workgroup_info 0
		.amdhsa_system_vgpr_workitem_id 2
		.amdhsa_next_free_vgpr 32
		.amdhsa_next_free_sgpr 28
		.amdhsa_reserve_vcc 1
		.amdhsa_float_round_mode_32 0
		.amdhsa_float_round_mode_16_64 0
		.amdhsa_float_denorm_mode_32 3
		.amdhsa_float_denorm_mode_16_64 3
		.amdhsa_dx10_clamp 1
		.amdhsa_ieee_mode 1
		.amdhsa_fp16_overflow 0
		.amdhsa_workgroup_processor_mode 1
		.amdhsa_memory_ordered 1
		.amdhsa_forward_progress 0
		.amdhsa_shared_vgpr_count 0
		.amdhsa_exception_fp_ieee_invalid_op 0
		.amdhsa_exception_fp_denorm_src 0
		.amdhsa_exception_fp_ieee_div_zero 0
		.amdhsa_exception_fp_ieee_overflow 0
		.amdhsa_exception_fp_ieee_underflow 0
		.amdhsa_exception_fp_ieee_inexact 0
		.amdhsa_exception_int_div_zero 0
	.end_amdhsa_kernel
	.section	.text._ZN9rocsparseL5csrsmILj256ELj64ELb1Eli21rocsparse_complex_numIdEEEv20rocsparse_operation_T3_S4_NS_24const_host_device_scalarIT4_EEPKT2_PKS4_PKS6_PS6_lPiSC_PS4_21rocsparse_index_base_20rocsparse_fill_mode_20rocsparse_diag_type_b,"axG",@progbits,_ZN9rocsparseL5csrsmILj256ELj64ELb1Eli21rocsparse_complex_numIdEEEv20rocsparse_operation_T3_S4_NS_24const_host_device_scalarIT4_EEPKT2_PKS4_PKS6_PS6_lPiSC_PS4_21rocsparse_index_base_20rocsparse_fill_mode_20rocsparse_diag_type_b,comdat
.Lfunc_end78:
	.size	_ZN9rocsparseL5csrsmILj256ELj64ELb1Eli21rocsparse_complex_numIdEEEv20rocsparse_operation_T3_S4_NS_24const_host_device_scalarIT4_EEPKT2_PKS4_PKS6_PS6_lPiSC_PS4_21rocsparse_index_base_20rocsparse_fill_mode_20rocsparse_diag_type_b, .Lfunc_end78-_ZN9rocsparseL5csrsmILj256ELj64ELb1Eli21rocsparse_complex_numIdEEEv20rocsparse_operation_T3_S4_NS_24const_host_device_scalarIT4_EEPKT2_PKS4_PKS6_PS6_lPiSC_PS4_21rocsparse_index_base_20rocsparse_fill_mode_20rocsparse_diag_type_b
                                        ; -- End function
	.section	.AMDGPU.csdata,"",@progbits
; Kernel info:
; codeLenInByte = 2580
; NumSgprs: 30
; NumVgprs: 32
; ScratchSize: 0
; MemoryBound: 1
; FloatMode: 240
; IeeeMode: 1
; LDSByteSize: 7168 bytes/workgroup (compile time only)
; SGPRBlocks: 3
; VGPRBlocks: 3
; NumSGPRsForWavesPerEU: 30
; NumVGPRsForWavesPerEU: 32
; Occupancy: 16
; WaveLimiterHint : 1
; COMPUTE_PGM_RSRC2:SCRATCH_EN: 0
; COMPUTE_PGM_RSRC2:USER_SGPR: 15
; COMPUTE_PGM_RSRC2:TRAP_HANDLER: 0
; COMPUTE_PGM_RSRC2:TGID_X_EN: 1
; COMPUTE_PGM_RSRC2:TGID_Y_EN: 0
; COMPUTE_PGM_RSRC2:TGID_Z_EN: 0
; COMPUTE_PGM_RSRC2:TIDIG_COMP_CNT: 2
	.section	.text._ZN9rocsparseL5csrsmILj256ELj64ELb0Eli21rocsparse_complex_numIdEEEv20rocsparse_operation_T3_S4_NS_24const_host_device_scalarIT4_EEPKT2_PKS4_PKS6_PS6_lPiSC_PS4_21rocsparse_index_base_20rocsparse_fill_mode_20rocsparse_diag_type_b,"axG",@progbits,_ZN9rocsparseL5csrsmILj256ELj64ELb0Eli21rocsparse_complex_numIdEEEv20rocsparse_operation_T3_S4_NS_24const_host_device_scalarIT4_EEPKT2_PKS4_PKS6_PS6_lPiSC_PS4_21rocsparse_index_base_20rocsparse_fill_mode_20rocsparse_diag_type_b,comdat
	.globl	_ZN9rocsparseL5csrsmILj256ELj64ELb0Eli21rocsparse_complex_numIdEEEv20rocsparse_operation_T3_S4_NS_24const_host_device_scalarIT4_EEPKT2_PKS4_PKS6_PS6_lPiSC_PS4_21rocsparse_index_base_20rocsparse_fill_mode_20rocsparse_diag_type_b ; -- Begin function _ZN9rocsparseL5csrsmILj256ELj64ELb0Eli21rocsparse_complex_numIdEEEv20rocsparse_operation_T3_S4_NS_24const_host_device_scalarIT4_EEPKT2_PKS4_PKS6_PS6_lPiSC_PS4_21rocsparse_index_base_20rocsparse_fill_mode_20rocsparse_diag_type_b
	.p2align	8
	.type	_ZN9rocsparseL5csrsmILj256ELj64ELb0Eli21rocsparse_complex_numIdEEEv20rocsparse_operation_T3_S4_NS_24const_host_device_scalarIT4_EEPKT2_PKS4_PKS6_PS6_lPiSC_PS4_21rocsparse_index_base_20rocsparse_fill_mode_20rocsparse_diag_type_b,@function
_ZN9rocsparseL5csrsmILj256ELj64ELb0Eli21rocsparse_complex_numIdEEEv20rocsparse_operation_T3_S4_NS_24const_host_device_scalarIT4_EEPKT2_PKS4_PKS6_PS6_lPiSC_PS4_21rocsparse_index_base_20rocsparse_fill_mode_20rocsparse_diag_type_b: ; @_ZN9rocsparseL5csrsmILj256ELj64ELb0Eli21rocsparse_complex_numIdEEEv20rocsparse_operation_T3_S4_NS_24const_host_device_scalarIT4_EEPKT2_PKS4_PKS6_PS6_lPiSC_PS4_21rocsparse_index_base_20rocsparse_fill_mode_20rocsparse_diag_type_b
; %bb.0:
	s_load_b64 s[0:1], s[0:1], 0x4
	s_load_b128 s[8:11], s[2:3], 0x10
	v_and_b32_e32 v8, 0x3ff, v0
	s_load_b128 s[4:7], s[2:3], 0x60
	v_bfe_u32 v2, v0, 10, 10
	v_bfe_u32 v0, v0, 20, 10
	s_mov_b64 s[12:13], src_shared_base
	s_waitcnt lgkmcnt(0)
	s_lshr_b32 s0, s0, 16
	s_delay_alu instid0(SALU_CYCLE_1) | instskip(NEXT) | instid1(SALU_CYCLE_1)
	s_mul_i32 s0, s0, s1
	v_mul_lo_u32 v1, s0, v8
	s_and_b32 s0, 1, s7
	s_delay_alu instid0(SALU_CYCLE_1) | instskip(SKIP_1) | instid1(VALU_DEP_1)
	s_cmp_eq_u32 s0, 1
	s_cselect_b32 vcc_lo, -1, 0
	v_mad_u32_u24 v1, v2, s1, v1
	s_load_b64 s[0:1], s[2:3], 0x20
	v_dual_mov_b32 v2, s8 :: v_dual_mov_b32 v3, s9
	v_dual_mov_b32 v6, s10 :: v_dual_mov_b32 v7, s11
	s_delay_alu instid0(VALU_DEP_3) | instskip(NEXT) | instid1(VALU_DEP_1)
	v_add_lshl_u32 v4, v1, v0, 3
	v_add_nc_u32_e32 v0, 0x1400, v4
	ds_store_b64 v4, v[2:3] offset:5120
	v_cndmask_b32_e32 v0, s8, v0, vcc_lo
	s_and_b32 vcc_lo, vcc_lo, exec_lo
	s_cselect_b32 s7, s13, s9
	s_delay_alu instid0(SALU_CYCLE_1)
	v_mov_b32_e32 v1, s7
	flat_load_b64 v[4:5], v[0:1]
	s_clause 0x1
	s_load_b64 s[12:13], s[2:3], 0x50
	s_load_b64 s[22:23], s[2:3], 0x38
	s_cbranch_vccnz .LBB79_2
; %bb.1:
	v_dual_mov_b32 v0, s8 :: v_dual_mov_b32 v1, s9
	flat_load_b64 v[6:7], v[0:1] offset:8
.LBB79_2:
	s_clause 0x1
	s_load_b128 s[16:19], s[2:3], 0x0
	s_load_b64 s[20:21], s[2:3], 0x40
	s_waitcnt lgkmcnt(0)
	v_cvt_f32_u32_e32 v0, s17
	s_sub_i32 s8, 0, s17
	s_delay_alu instid0(VALU_DEP_1) | instskip(SKIP_2) | instid1(VALU_DEP_1)
	v_rcp_iflag_f32_e32 v0, v0
	s_waitcnt_depctr 0xfff
	v_mul_f32_e32 v0, 0x4f7ffffe, v0
	v_cvt_u32_f32_e32 v0, v0
	s_delay_alu instid0(VALU_DEP_1) | instskip(NEXT) | instid1(VALU_DEP_1)
	v_readfirstlane_b32 s7, v0
	s_mul_i32 s8, s8, s7
	s_delay_alu instid0(SALU_CYCLE_1) | instskip(NEXT) | instid1(SALU_CYCLE_1)
	s_mul_hi_u32 s8, s7, s8
	s_add_i32 s7, s7, s8
	s_delay_alu instid0(SALU_CYCLE_1) | instskip(NEXT) | instid1(SALU_CYCLE_1)
	s_mul_hi_u32 s7, s15, s7
	s_mul_i32 s8, s7, s17
	s_add_i32 s9, s7, 1
	s_sub_i32 s8, s15, s8
	s_delay_alu instid0(SALU_CYCLE_1)
	s_sub_i32 s10, s8, s17
	s_cmp_ge_u32 s8, s17
	s_cselect_b32 s7, s9, s7
	s_cselect_b32 s8, s10, s8
	s_add_i32 s9, s7, 1
	s_cmp_ge_u32 s8, s17
	s_cselect_b32 s14, s9, s7
	s_delay_alu instid0(SALU_CYCLE_1) | instskip(SKIP_2) | instid1(SALU_CYCLE_1)
	s_mul_i32 s7, s14, s17
	v_lshl_or_b32 v9, s14, 8, v8
	s_sub_i32 s8, s15, s7
	s_ashr_i32 s9, s8, 31
	s_delay_alu instid0(VALU_DEP_1) | instskip(SKIP_1) | instid1(SALU_CYCLE_1)
	v_ashrrev_i32_e32 v10, 31, v9
	s_lshl_b64 s[8:9], s[8:9], 2
	s_add_u32 s8, s12, s8
	s_addc_u32 s9, s13, s9
	s_load_b32 s12, s[8:9], 0x0
	s_waitcnt lgkmcnt(0)
	s_ashr_i32 s13, s12, 31
	s_mul_i32 s14, s12, s20
	s_lshl_b64 s[8:9], s[12:13], 3
	v_add_co_u32 v11, vcc_lo, s14, v9
	s_add_u32 s0, s0, s8
	s_addc_u32 s1, s1, s9
	s_load_b128 s[8:11], s[0:1], 0x0
	s_mul_i32 s0, s12, s21
	s_mul_hi_u32 s1, s12, s20
	s_delay_alu instid0(SALU_CYCLE_1) | instskip(SKIP_1) | instid1(SALU_CYCLE_1)
	s_add_i32 s0, s1, s0
	s_mul_i32 s1, s13, s20
	s_add_i32 s15, s0, s1
	v_cmp_gt_i32_e64 s0, s18, v9
	v_add_co_ci_u32_e32 v12, vcc_lo, s15, v10, vcc_lo
	s_cmpk_lg_i32 s16, 0x71
	s_cbranch_scc0 .LBB79_6
; %bb.3:
	v_mov_b32_e32 v2, 0
	v_mov_b32_e32 v3, 0
	s_delay_alu instid0(VALU_DEP_1)
	v_dual_mov_b32 v0, v2 :: v_dual_mov_b32 v1, v3
	s_and_saveexec_b32 s1, s0
	s_cbranch_execz .LBB79_5
; %bb.4:
	v_lshlrev_b64 v[0:1], 4, v[11:12]
	s_delay_alu instid0(VALU_DEP_1) | instskip(NEXT) | instid1(VALU_DEP_2)
	v_add_co_u32 v0, vcc_lo, s22, v0
	v_add_co_ci_u32_e32 v1, vcc_lo, s23, v1, vcc_lo
	global_load_b128 v[13:16], v[0:1], off
	s_waitcnt vmcnt(0)
	v_mul_f64 v[0:1], v[15:16], -v[6:7]
	v_mul_f64 v[2:3], v[4:5], v[15:16]
	s_delay_alu instid0(VALU_DEP_2) | instskip(NEXT) | instid1(VALU_DEP_2)
	v_fma_f64 v[0:1], v[4:5], v[13:14], v[0:1]
	v_fma_f64 v[2:3], v[6:7], v[13:14], v[2:3]
.LBB79_5:
	s_or_b32 exec_lo, exec_lo, s1
	s_load_b64 s[16:17], s[2:3], 0x48
	s_cbranch_execz .LBB79_7
	s_branch .LBB79_10
.LBB79_6:
                                        ; implicit-def: $vgpr2_vgpr3
	s_load_b64 s[16:17], s[2:3], 0x48
.LBB79_7:
	v_mov_b32_e32 v2, 0
	v_mov_b32_e32 v3, 0
	s_delay_alu instid0(VALU_DEP_1)
	v_dual_mov_b32 v0, v2 :: v_dual_mov_b32 v1, v3
	s_and_saveexec_b32 s1, s0
	s_cbranch_execz .LBB79_9
; %bb.8:
	v_lshlrev_b64 v[0:1], 4, v[11:12]
	s_delay_alu instid0(VALU_DEP_1) | instskip(NEXT) | instid1(VALU_DEP_2)
	v_add_co_u32 v0, vcc_lo, s22, v0
	v_add_co_ci_u32_e32 v1, vcc_lo, s23, v1, vcc_lo
	global_load_b128 v[11:14], v[0:1], off
	s_waitcnt vmcnt(0)
	v_mul_f64 v[0:1], v[6:7], v[13:14]
	v_mul_f64 v[2:3], v[4:5], -v[13:14]
	s_delay_alu instid0(VALU_DEP_2) | instskip(NEXT) | instid1(VALU_DEP_2)
	v_fma_f64 v[0:1], v[4:5], v[11:12], v[0:1]
	v_fma_f64 v[2:3], v[6:7], v[11:12], v[2:3]
.LBB79_9:
	s_or_b32 exec_lo, exec_lo, s1
.LBB79_10:
	s_waitcnt vmcnt(0)
	v_lshlrev_b64 v[4:5], 4, v[9:10]
	s_waitcnt lgkmcnt(0)
	v_cmp_ge_i64_e64 s1, s[8:9], s[10:11]
	s_delay_alu instid0(VALU_DEP_2) | instskip(NEXT) | instid1(VALU_DEP_3)
	v_add_co_u32 v22, vcc_lo, s22, v4
	v_add_co_ci_u32_e32 v23, vcc_lo, s23, v5, vcc_lo
	s_delay_alu instid0(VALU_DEP_3)
	s_and_b32 vcc_lo, exec_lo, s1
	v_cmp_eq_u32_e64 s1, 0, v8
	s_cbranch_vccnz .LBB79_52
; %bb.11:
	s_clause 0x1
	s_load_b128 s[24:27], s[2:3], 0x28
	s_load_b64 s[18:19], s[2:3], 0x58
	v_dual_mov_b32 v9, 0 :: v_dual_lshlrev_b32 v4, 2, v8
	v_lshlrev_b32_e32 v24, 4, v8
	s_sub_u32 s8, s8, s4
	v_mov_b32_e32 v10, 0
	v_mov_b32_e32 v11, 0
	s_subb_u32 s9, s9, 0
	v_mov_b32_e32 v12, 0
	v_mov_b32_e32 v13, 0x3ff00000
	s_sub_u32 s10, s10, s4
	s_subb_u32 s11, s11, 0
	v_or_b32_e32 v25, 0x1000, v4
	s_cmp_eq_u32 s6, 0
	s_mov_b64 s[22:23], s[8:9]
	s_cselect_b32 s13, -1, 0
	s_waitcnt lgkmcnt(0)
	v_add_co_u32 v26, s2, s24, v4
	s_delay_alu instid0(VALU_DEP_1) | instskip(SKIP_1) | instid1(VALU_DEP_1)
	v_add_co_ci_u32_e64 v27, null, s25, 0, s2
	v_add_co_u32 v28, s2, s26, v24
	v_add_co_ci_u32_e64 v29, null, s27, 0, s2
	s_add_i32 s24, s12, s4
	s_branch .LBB79_14
.LBB79_12:                              ;   in Loop: Header=BB79_14 Depth=1
	s_add_u32 s22, s22, 1
	s_addc_u32 s23, s23, 0
	s_delay_alu instid0(SALU_CYCLE_1)
	v_cmp_ge_i64_e64 s2, s[22:23], s[10:11]
.LBB79_13:                              ;   in Loop: Header=BB79_14 Depth=1
	s_delay_alu instid0(VALU_DEP_3) | instskip(NEXT) | instid1(VALU_DEP_4)
	v_dual_mov_b32 v2, v18 :: v_dual_mov_b32 v3, v19
	v_dual_mov_b32 v0, v20 :: v_dual_mov_b32 v1, v21
	s_delay_alu instid0(VALU_DEP_4) | instskip(NEXT) | instid1(VALU_DEP_4)
	v_dual_mov_b32 v10, v14 :: v_dual_mov_b32 v11, v15
	v_dual_mov_b32 v12, v16 :: v_dual_mov_b32 v13, v17
	s_and_not1_b32 vcc_lo, exec_lo, s2
	s_cbranch_vccz .LBB79_53
.LBB79_14:                              ; =>This Loop Header: Depth=1
                                        ;     Child Loop BB79_43 Depth 2
	s_sub_i32 s2, s22, s8
	s_delay_alu instid0(SALU_CYCLE_1) | instskip(NEXT) | instid1(SALU_CYCLE_1)
	s_and_b32 s3, s2, 0xff
	s_cmp_lg_u32 s3, 0
	s_cbranch_scc1 .LBB79_18
; %bb.15:                               ;   in Loop: Header=BB79_14 Depth=1
	v_mov_b32_e32 v6, 0
	v_dual_mov_b32 v7, 0 :: v_dual_mov_b32 v4, 0
	v_dual_mov_b32 v5, 0xbff00000 :: v_dual_mov_b32 v14, -1
	s_sub_u32 s26, s10, s22
	s_subb_u32 s27, s11, s23
	s_mov_b32 s2, exec_lo
	v_cmpx_gt_i64_e64 s[26:27], v[8:9]
	s_cbranch_execz .LBB79_17
; %bb.16:                               ;   in Loop: Header=BB79_14 Depth=1
	s_lshl_b64 s[26:27], s[22:23], 2
	s_delay_alu instid0(SALU_CYCLE_1)
	v_add_co_u32 v4, vcc_lo, v26, s26
	v_add_co_ci_u32_e32 v5, vcc_lo, s27, v27, vcc_lo
	s_lshl_b64 s[26:27], s[22:23], 4
	global_load_b32 v14, v[4:5], off
	v_add_co_u32 v4, vcc_lo, v28, s26
	v_add_co_ci_u32_e32 v5, vcc_lo, s27, v29, vcc_lo
	global_load_b128 v[4:7], v[4:5], off
	s_waitcnt vmcnt(1)
	v_subrev_nc_u32_e32 v14, s4, v14
.LBB79_17:                              ;   in Loop: Header=BB79_14 Depth=1
	s_or_b32 exec_lo, exec_lo, s2
	ds_store_b32 v25, v14
	s_waitcnt vmcnt(0)
	ds_store_b128 v24, v[4:7]
.LBB79_18:                              ;   in Loop: Header=BB79_14 Depth=1
	s_lshl_b32 s2, s3, 4
	s_waitcnt lgkmcnt(0)
	v_mov_b32_e32 v4, s2
	s_waitcnt_vscnt null, 0x0
	s_barrier
	buffer_gl0_inv
	s_lshl_b32 s3, s3, 2
	ds_load_b128 v[14:17], v4
	v_mov_b32_e32 v4, s3
	ds_load_b32 v4, v4 offset:4096
	s_waitcnt lgkmcnt(1)
	v_cmp_eq_f64_e32 vcc_lo, 0, v[14:15]
	v_cmp_eq_f64_e64 s2, 0, v[16:17]
	s_waitcnt lgkmcnt(0)
	v_readfirstlane_b32 s9, v4
	v_cmp_ne_u32_e64 s3, s12, v4
	s_delay_alu instid0(VALU_DEP_3) | instskip(NEXT) | instid1(VALU_DEP_2)
	s_and_b32 s2, vcc_lo, s2
	s_cmp_eq_u32 s9, s12
	s_cselect_b32 s26, -1, 0
	s_delay_alu instid0(SALU_CYCLE_1) | instskip(NEXT) | instid1(SALU_CYCLE_1)
	s_and_b32 s2, s2, s26
	s_and_b32 s2, s13, s2
	s_delay_alu instid0(SALU_CYCLE_1) | instskip(SKIP_4) | instid1(SALU_CYCLE_1)
	v_cndmask_b32_e64 v5, v17, 0, s2
	v_cndmask_b32_e64 v4, v16, 0, s2
	;; [unrolled: 1-line block ×4, first 2 shown]
	s_and_b32 s25, s1, s2
	s_and_saveexec_b32 s2, s25
	s_cbranch_execz .LBB79_22
; %bb.19:                               ;   in Loop: Header=BB79_14 Depth=1
	v_mbcnt_lo_u32_b32 v4, exec_lo, 0
	s_mov_b32 s25, exec_lo
	s_delay_alu instid0(VALU_DEP_1)
	v_cmpx_eq_u32_e32 0, v4
	s_cbranch_execz .LBB79_21
; %bb.20:                               ;   in Loop: Header=BB79_14 Depth=1
	v_mov_b32_e32 v4, s24
	global_atomic_min_i32 v9, v4, s[18:19]
.LBB79_21:                              ;   in Loop: Header=BB79_14 Depth=1
	s_or_b32 exec_lo, exec_lo, s25
	v_mov_b32_e32 v4, 0
	v_dual_mov_b32 v5, 0 :: v_dual_mov_b32 v6, 0
	v_mov_b32_e32 v7, 0x3ff00000
.LBB79_22:                              ;   in Loop: Header=BB79_14 Depth=1
	s_or_b32 exec_lo, exec_lo, s2
	s_cmp_lt_i32 s5, 1
	s_mov_b32 s2, 0
	s_cbranch_scc1 .LBB79_28
; %bb.23:                               ;   in Loop: Header=BB79_14 Depth=1
	s_cmp_eq_u32 s5, 1
	s_cbranch_scc0 .LBB79_29
; %bb.24:                               ;   in Loop: Header=BB79_14 Depth=1
	v_dual_mov_b32 v15, v11 :: v_dual_mov_b32 v14, v10
	v_dual_mov_b32 v17, v13 :: v_dual_mov_b32 v16, v12
	s_cmp_ge_i32 s9, s12
	s_mov_b32 s25, 0
	s_cbranch_scc0 .LBB79_31
; %bb.25:                               ;   in Loop: Header=BB79_14 Depth=1
	s_and_b32 vcc_lo, exec_lo, s26
	s_cbranch_vccz .LBB79_30
; %bb.26:                               ;   in Loop: Header=BB79_14 Depth=1
	v_dual_mov_b32 v15, v11 :: v_dual_mov_b32 v14, v10
	v_dual_mov_b32 v17, v13 :: v_dual_mov_b32 v16, v12
	s_and_not1_b32 vcc_lo, exec_lo, s13
	s_cbranch_vccnz .LBB79_31
; %bb.27:                               ;   in Loop: Header=BB79_14 Depth=1
	v_mul_f64 v[14:15], v[4:5], v[4:5]
	s_delay_alu instid0(VALU_DEP_1) | instskip(NEXT) | instid1(VALU_DEP_1)
	v_fma_f64 v[14:15], v[6:7], v[6:7], v[14:15]
	v_div_scale_f64 v[16:17], null, v[14:15], v[14:15], 1.0
	v_div_scale_f64 v[30:31], vcc_lo, 1.0, v[14:15], 1.0
	s_delay_alu instid0(VALU_DEP_2) | instskip(SKIP_2) | instid1(VALU_DEP_1)
	v_rcp_f64_e32 v[18:19], v[16:17]
	s_waitcnt_depctr 0xfff
	v_fma_f64 v[20:21], -v[16:17], v[18:19], 1.0
	v_fma_f64 v[18:19], v[18:19], v[20:21], v[18:19]
	s_delay_alu instid0(VALU_DEP_1) | instskip(NEXT) | instid1(VALU_DEP_1)
	v_fma_f64 v[20:21], -v[16:17], v[18:19], 1.0
	v_fma_f64 v[18:19], v[18:19], v[20:21], v[18:19]
	s_delay_alu instid0(VALU_DEP_1) | instskip(NEXT) | instid1(VALU_DEP_1)
	v_mul_f64 v[20:21], v[30:31], v[18:19]
	v_fma_f64 v[16:17], -v[16:17], v[20:21], v[30:31]
	s_delay_alu instid0(VALU_DEP_1) | instskip(SKIP_2) | instid1(VALU_DEP_3)
	v_div_fmas_f64 v[16:17], v[16:17], v[18:19], v[20:21]
	v_fma_f64 v[18:19], v[4:5], 0, v[6:7]
	v_fma_f64 v[20:21], v[6:7], 0, -v[4:5]
	v_div_fixup_f64 v[14:15], v[16:17], v[14:15], 1.0
	s_delay_alu instid0(VALU_DEP_1) | instskip(NEXT) | instid1(VALU_DEP_3)
	v_mul_f64 v[16:17], v[18:19], v[14:15]
	v_mul_f64 v[14:15], v[20:21], v[14:15]
	s_branch .LBB79_31
.LBB79_28:                              ;   in Loop: Header=BB79_14 Depth=1
	s_mov_b32 s25, 0
                                        ; implicit-def: $sgpr26
                                        ; implicit-def: $vgpr18_vgpr19
                                        ; implicit-def: $vgpr20_vgpr21
                                        ; implicit-def: $vgpr14_vgpr15
                                        ; implicit-def: $vgpr16_vgpr17
	s_cbranch_execnz .LBB79_32
	s_branch .LBB79_34
.LBB79_29:                              ;   in Loop: Header=BB79_14 Depth=1
	s_mov_b32 s25, -1
                                        ; implicit-def: $sgpr26
                                        ; implicit-def: $vgpr18_vgpr19
                                        ; implicit-def: $vgpr20_vgpr21
                                        ; implicit-def: $vgpr14_vgpr15
                                        ; implicit-def: $vgpr16_vgpr17
	s_branch .LBB79_34
.LBB79_30:                              ;   in Loop: Header=BB79_14 Depth=1
	s_mov_b32 s25, -1
                                        ; implicit-def: $vgpr14_vgpr15
                                        ; implicit-def: $vgpr16_vgpr17
.LBB79_31:                              ;   in Loop: Header=BB79_14 Depth=1
	v_dual_mov_b32 v19, v3 :: v_dual_mov_b32 v18, v2
	v_dual_mov_b32 v21, v1 :: v_dual_mov_b32 v20, v0
	s_mov_b32 s26, 4
	s_branch .LBB79_34
.LBB79_32:                              ;   in Loop: Header=BB79_14 Depth=1
	s_cmp_eq_u32 s5, 0
	s_cbranch_scc1 .LBB79_38
; %bb.33:                               ;   in Loop: Header=BB79_14 Depth=1
	s_mov_b32 s25, -1
                                        ; implicit-def: $sgpr26
                                        ; implicit-def: $vgpr18_vgpr19
                                        ; implicit-def: $vgpr20_vgpr21
                                        ; implicit-def: $vgpr14_vgpr15
                                        ; implicit-def: $vgpr16_vgpr17
.LBB79_34:                              ;   in Loop: Header=BB79_14 Depth=1
	s_delay_alu instid0(SALU_CYCLE_1)
	s_and_b32 vcc_lo, exec_lo, s25
	s_cbranch_vccnz .LBB79_41
.LBB79_35:                              ;   in Loop: Header=BB79_14 Depth=1
	s_and_b32 vcc_lo, exec_lo, s2
	s_cbranch_vccnz .LBB79_47
.LBB79_36:                              ;   in Loop: Header=BB79_14 Depth=1
	s_cmp_gt_i32 s26, 3
	s_mov_b32 s2, -1
	s_cbranch_scc1 .LBB79_50
.LBB79_37:                              ;   in Loop: Header=BB79_14 Depth=1
	s_cmp_eq_u32 s26, 0
	s_cselect_b32 s3, -1, 0
	s_delay_alu instid0(SALU_CYCLE_1)
	s_and_not1_b32 vcc_lo, exec_lo, s3
	s_cbranch_vccz .LBB79_12
	s_branch .LBB79_51
.LBB79_38:                              ;   in Loop: Header=BB79_14 Depth=1
	s_cmp_le_i32 s9, s12
	s_mov_b32 s25, 0
	s_cbranch_scc0 .LBB79_40
; %bb.39:                               ;   in Loop: Header=BB79_14 Depth=1
	s_mov_b32 s2, -1
	s_mov_b32 s25, s3
.LBB79_40:                              ;   in Loop: Header=BB79_14 Depth=1
	v_dual_mov_b32 v19, v3 :: v_dual_mov_b32 v18, v2
	v_dual_mov_b32 v21, v1 :: v_dual_mov_b32 v20, v0
	;; [unrolled: 1-line block ×4, first 2 shown]
	s_mov_b32 s26, 2
	s_and_b32 vcc_lo, exec_lo, s25
	s_cbranch_vccz .LBB79_35
.LBB79_41:                              ;   in Loop: Header=BB79_14 Depth=1
	s_and_saveexec_b32 s25, s1
	s_cbranch_execz .LBB79_44
; %bb.42:                               ;   in Loop: Header=BB79_14 Depth=1
	s_add_i32 s2, s9, s7
	s_delay_alu instid0(SALU_CYCLE_1) | instskip(NEXT) | instid1(SALU_CYCLE_1)
	s_ashr_i32 s3, s2, 31
	s_lshl_b64 s[2:3], s[2:3], 2
	s_delay_alu instid0(SALU_CYCLE_1)
	s_add_u32 s2, s16, s2
	s_addc_u32 s3, s17, s3
	global_load_b32 v14, v9, s[2:3] glc
	s_waitcnt vmcnt(0)
	v_cmp_ne_u32_e32 vcc_lo, 0, v14
	s_cbranch_vccnz .LBB79_44
.LBB79_43:                              ;   Parent Loop BB79_14 Depth=1
                                        ; =>  This Inner Loop Header: Depth=2
	global_load_b32 v14, v9, s[2:3] glc
	s_waitcnt vmcnt(0)
	v_cmp_eq_u32_e32 vcc_lo, 0, v14
	s_cbranch_vccnz .LBB79_43
.LBB79_44:                              ;   in Loop: Header=BB79_14 Depth=1
	s_or_b32 exec_lo, exec_lo, s25
	v_mov_b32_e32 v18, 0
	v_mov_b32_e32 v19, 0
	s_waitcnt_vscnt null, 0x0
	s_barrier
	buffer_gl0_inv
	buffer_gl1_inv
	buffer_gl0_inv
	v_dual_mov_b32 v21, v19 :: v_dual_mov_b32 v20, v18
	s_and_saveexec_b32 s2, s0
	s_cbranch_execz .LBB79_46
; %bb.45:                               ;   in Loop: Header=BB79_14 Depth=1
	s_mul_i32 s3, s9, s21
	s_mul_hi_u32 s25, s9, s20
	s_ashr_i32 s26, s9, 31
	s_add_i32 s3, s25, s3
	s_mul_i32 s26, s26, s20
	s_delay_alu instid0(SALU_CYCLE_1) | instskip(SKIP_1) | instid1(SALU_CYCLE_1)
	s_add_i32 s27, s3, s26
	s_mul_i32 s26, s9, s20
	s_lshl_b64 s[26:27], s[26:27], 4
	s_delay_alu instid0(SALU_CYCLE_1)
	v_add_co_u32 v14, vcc_lo, v22, s26
	v_add_co_ci_u32_e32 v15, vcc_lo, s27, v23, vcc_lo
	global_load_b128 v[14:17], v[14:15], off
	s_waitcnt vmcnt(0)
	v_fma_f64 v[18:19], -v[6:7], v[14:15], v[0:1]
	v_fma_f64 v[14:15], -v[4:5], v[14:15], v[2:3]
	s_delay_alu instid0(VALU_DEP_2) | instskip(NEXT) | instid1(VALU_DEP_2)
	v_fma_f64 v[20:21], v[4:5], v[16:17], v[18:19]
	v_fma_f64 v[18:19], -v[6:7], v[16:17], v[14:15]
.LBB79_46:                              ;   in Loop: Header=BB79_14 Depth=1
	s_or_b32 exec_lo, exec_lo, s2
	v_dual_mov_b32 v15, v11 :: v_dual_mov_b32 v14, v10
	v_dual_mov_b32 v17, v13 :: v_dual_mov_b32 v16, v12
	s_mov_b32 s26, 0
	s_branch .LBB79_36
.LBB79_47:                              ;   in Loop: Header=BB79_14 Depth=1
	s_and_not1_b32 vcc_lo, exec_lo, s13
	s_cbranch_vccnz .LBB79_49
; %bb.48:                               ;   in Loop: Header=BB79_14 Depth=1
	v_mul_f64 v[10:11], v[4:5], v[4:5]
	s_delay_alu instid0(VALU_DEP_1) | instskip(NEXT) | instid1(VALU_DEP_1)
	v_fma_f64 v[10:11], v[6:7], v[6:7], v[10:11]
	v_div_scale_f64 v[12:13], null, v[10:11], v[10:11], 1.0
	v_div_scale_f64 v[18:19], vcc_lo, 1.0, v[10:11], 1.0
	s_delay_alu instid0(VALU_DEP_2) | instskip(SKIP_2) | instid1(VALU_DEP_1)
	v_rcp_f64_e32 v[14:15], v[12:13]
	s_waitcnt_depctr 0xfff
	v_fma_f64 v[16:17], -v[12:13], v[14:15], 1.0
	v_fma_f64 v[14:15], v[14:15], v[16:17], v[14:15]
	s_delay_alu instid0(VALU_DEP_1) | instskip(NEXT) | instid1(VALU_DEP_1)
	v_fma_f64 v[16:17], -v[12:13], v[14:15], 1.0
	v_fma_f64 v[14:15], v[14:15], v[16:17], v[14:15]
	s_delay_alu instid0(VALU_DEP_1) | instskip(NEXT) | instid1(VALU_DEP_1)
	v_mul_f64 v[16:17], v[18:19], v[14:15]
	v_fma_f64 v[12:13], -v[12:13], v[16:17], v[18:19]
	s_delay_alu instid0(VALU_DEP_1) | instskip(SKIP_2) | instid1(VALU_DEP_3)
	v_div_fmas_f64 v[12:13], v[12:13], v[14:15], v[16:17]
	v_fma_f64 v[14:15], v[4:5], 0, v[6:7]
	v_fma_f64 v[4:5], v[6:7], 0, -v[4:5]
	v_div_fixup_f64 v[10:11], v[12:13], v[10:11], 1.0
	s_delay_alu instid0(VALU_DEP_1) | instskip(NEXT) | instid1(VALU_DEP_3)
	v_mul_f64 v[12:13], v[14:15], v[10:11]
	v_mul_f64 v[10:11], v[4:5], v[10:11]
.LBB79_49:                              ;   in Loop: Header=BB79_14 Depth=1
	s_delay_alu instid0(VALU_DEP_2) | instskip(NEXT) | instid1(VALU_DEP_2)
	v_dual_mov_b32 v17, v13 :: v_dual_mov_b32 v16, v12
	v_dual_mov_b32 v15, v11 :: v_dual_mov_b32 v14, v10
	;; [unrolled: 1-line block ×4, first 2 shown]
	s_mov_b32 s26, 2
	s_delay_alu instid0(SALU_CYCLE_1)
	s_cmp_gt_i32 s26, 3
	s_mov_b32 s2, -1
	s_cbranch_scc0 .LBB79_37
.LBB79_50:                              ;   in Loop: Header=BB79_14 Depth=1
	s_branch .LBB79_12
.LBB79_51:                              ;   in Loop: Header=BB79_14 Depth=1
                                        ; implicit-def: $sgpr22_sgpr23
	s_branch .LBB79_13
.LBB79_52:
	v_mov_b32_e32 v14, 0
	v_dual_mov_b32 v15, 0 :: v_dual_mov_b32 v16, 0
	v_mov_b32_e32 v17, 0x3ff00000
	s_cmp_lg_u32 s6, 0
	s_cbranch_scc1 .LBB79_55
	s_branch .LBB79_54
.LBB79_53:
	v_dual_mov_b32 v2, v18 :: v_dual_mov_b32 v3, v19
	v_dual_mov_b32 v0, v20 :: v_dual_mov_b32 v1, v21
	s_cmp_lg_u32 s6, 0
	s_cbranch_scc1 .LBB79_55
.LBB79_54:
	s_delay_alu instid0(VALU_DEP_2) | instskip(NEXT) | instid1(VALU_DEP_2)
	v_mul_f64 v[4:5], v[14:15], -v[2:3]
	v_mul_f64 v[6:7], v[14:15], v[0:1]
	s_delay_alu instid0(VALU_DEP_2) | instskip(NEXT) | instid1(VALU_DEP_2)
	v_fma_f64 v[0:1], v[0:1], v[16:17], v[4:5]
	v_fma_f64 v[2:3], v[2:3], v[16:17], v[6:7]
.LBB79_55:
	s_and_saveexec_b32 s1, s0
	s_cbranch_execz .LBB79_57
; %bb.56:
	s_lshl_b64 s[2:3], s[14:15], 4
	s_delay_alu instid0(SALU_CYCLE_1)
	v_add_co_u32 v4, vcc_lo, v22, s2
	v_add_co_ci_u32_e32 v5, vcc_lo, s3, v23, vcc_lo
	global_store_b128 v[4:5], v[0:3], off
.LBB79_57:
	s_or_b32 exec_lo, exec_lo, s1
	s_waitcnt_vscnt null, 0x0
	buffer_gl1_inv
	buffer_gl0_inv
	s_barrier
	buffer_gl0_inv
	s_mov_b32 s0, exec_lo
	v_cmpx_eq_u32_e32 0, v8
	s_cbranch_execz .LBB79_59
; %bb.58:
	s_add_i32 s0, s12, s7
	v_dual_mov_b32 v0, 0 :: v_dual_mov_b32 v1, 1
	s_ashr_i32 s1, s0, 31
	s_delay_alu instid0(SALU_CYCLE_1) | instskip(NEXT) | instid1(SALU_CYCLE_1)
	s_lshl_b64 s[0:1], s[0:1], 2
	s_add_u32 s0, s16, s0
	s_addc_u32 s1, s17, s1
	global_store_b32 v0, v1, s[0:1]
.LBB79_59:
	s_nop 0
	s_sendmsg sendmsg(MSG_DEALLOC_VGPRS)
	s_endpgm
	.section	.rodata,"a",@progbits
	.p2align	6, 0x0
	.amdhsa_kernel _ZN9rocsparseL5csrsmILj256ELj64ELb0Eli21rocsparse_complex_numIdEEEv20rocsparse_operation_T3_S4_NS_24const_host_device_scalarIT4_EEPKT2_PKS4_PKS6_PS6_lPiSC_PS4_21rocsparse_index_base_20rocsparse_fill_mode_20rocsparse_diag_type_b
		.amdhsa_group_segment_fixed_size 7168
		.amdhsa_private_segment_fixed_size 0
		.amdhsa_kernarg_size 112
		.amdhsa_user_sgpr_count 15
		.amdhsa_user_sgpr_dispatch_ptr 1
		.amdhsa_user_sgpr_queue_ptr 0
		.amdhsa_user_sgpr_kernarg_segment_ptr 1
		.amdhsa_user_sgpr_dispatch_id 0
		.amdhsa_user_sgpr_private_segment_size 0
		.amdhsa_wavefront_size32 1
		.amdhsa_uses_dynamic_stack 0
		.amdhsa_enable_private_segment 0
		.amdhsa_system_sgpr_workgroup_id_x 1
		.amdhsa_system_sgpr_workgroup_id_y 0
		.amdhsa_system_sgpr_workgroup_id_z 0
		.amdhsa_system_sgpr_workgroup_info 0
		.amdhsa_system_vgpr_workitem_id 2
		.amdhsa_next_free_vgpr 32
		.amdhsa_next_free_sgpr 28
		.amdhsa_reserve_vcc 1
		.amdhsa_float_round_mode_32 0
		.amdhsa_float_round_mode_16_64 0
		.amdhsa_float_denorm_mode_32 3
		.amdhsa_float_denorm_mode_16_64 3
		.amdhsa_dx10_clamp 1
		.amdhsa_ieee_mode 1
		.amdhsa_fp16_overflow 0
		.amdhsa_workgroup_processor_mode 1
		.amdhsa_memory_ordered 1
		.amdhsa_forward_progress 0
		.amdhsa_shared_vgpr_count 0
		.amdhsa_exception_fp_ieee_invalid_op 0
		.amdhsa_exception_fp_denorm_src 0
		.amdhsa_exception_fp_ieee_div_zero 0
		.amdhsa_exception_fp_ieee_overflow 0
		.amdhsa_exception_fp_ieee_underflow 0
		.amdhsa_exception_fp_ieee_inexact 0
		.amdhsa_exception_int_div_zero 0
	.end_amdhsa_kernel
	.section	.text._ZN9rocsparseL5csrsmILj256ELj64ELb0Eli21rocsparse_complex_numIdEEEv20rocsparse_operation_T3_S4_NS_24const_host_device_scalarIT4_EEPKT2_PKS4_PKS6_PS6_lPiSC_PS4_21rocsparse_index_base_20rocsparse_fill_mode_20rocsparse_diag_type_b,"axG",@progbits,_ZN9rocsparseL5csrsmILj256ELj64ELb0Eli21rocsparse_complex_numIdEEEv20rocsparse_operation_T3_S4_NS_24const_host_device_scalarIT4_EEPKT2_PKS4_PKS6_PS6_lPiSC_PS4_21rocsparse_index_base_20rocsparse_fill_mode_20rocsparse_diag_type_b,comdat
.Lfunc_end79:
	.size	_ZN9rocsparseL5csrsmILj256ELj64ELb0Eli21rocsparse_complex_numIdEEEv20rocsparse_operation_T3_S4_NS_24const_host_device_scalarIT4_EEPKT2_PKS4_PKS6_PS6_lPiSC_PS4_21rocsparse_index_base_20rocsparse_fill_mode_20rocsparse_diag_type_b, .Lfunc_end79-_ZN9rocsparseL5csrsmILj256ELj64ELb0Eli21rocsparse_complex_numIdEEEv20rocsparse_operation_T3_S4_NS_24const_host_device_scalarIT4_EEPKT2_PKS4_PKS6_PS6_lPiSC_PS4_21rocsparse_index_base_20rocsparse_fill_mode_20rocsparse_diag_type_b
                                        ; -- End function
	.section	.AMDGPU.csdata,"",@progbits
; Kernel info:
; codeLenInByte = 2520
; NumSgprs: 30
; NumVgprs: 32
; ScratchSize: 0
; MemoryBound: 1
; FloatMode: 240
; IeeeMode: 1
; LDSByteSize: 7168 bytes/workgroup (compile time only)
; SGPRBlocks: 3
; VGPRBlocks: 3
; NumSGPRsForWavesPerEU: 30
; NumVGPRsForWavesPerEU: 32
; Occupancy: 16
; WaveLimiterHint : 1
; COMPUTE_PGM_RSRC2:SCRATCH_EN: 0
; COMPUTE_PGM_RSRC2:USER_SGPR: 15
; COMPUTE_PGM_RSRC2:TRAP_HANDLER: 0
; COMPUTE_PGM_RSRC2:TGID_X_EN: 1
; COMPUTE_PGM_RSRC2:TGID_Y_EN: 0
; COMPUTE_PGM_RSRC2:TGID_Z_EN: 0
; COMPUTE_PGM_RSRC2:TIDIG_COMP_CNT: 2
	.section	.text._ZN9rocsparseL5csrsmILj512ELj64ELb1Eli21rocsparse_complex_numIdEEEv20rocsparse_operation_T3_S4_NS_24const_host_device_scalarIT4_EEPKT2_PKS4_PKS6_PS6_lPiSC_PS4_21rocsparse_index_base_20rocsparse_fill_mode_20rocsparse_diag_type_b,"axG",@progbits,_ZN9rocsparseL5csrsmILj512ELj64ELb1Eli21rocsparse_complex_numIdEEEv20rocsparse_operation_T3_S4_NS_24const_host_device_scalarIT4_EEPKT2_PKS4_PKS6_PS6_lPiSC_PS4_21rocsparse_index_base_20rocsparse_fill_mode_20rocsparse_diag_type_b,comdat
	.globl	_ZN9rocsparseL5csrsmILj512ELj64ELb1Eli21rocsparse_complex_numIdEEEv20rocsparse_operation_T3_S4_NS_24const_host_device_scalarIT4_EEPKT2_PKS4_PKS6_PS6_lPiSC_PS4_21rocsparse_index_base_20rocsparse_fill_mode_20rocsparse_diag_type_b ; -- Begin function _ZN9rocsparseL5csrsmILj512ELj64ELb1Eli21rocsparse_complex_numIdEEEv20rocsparse_operation_T3_S4_NS_24const_host_device_scalarIT4_EEPKT2_PKS4_PKS6_PS6_lPiSC_PS4_21rocsparse_index_base_20rocsparse_fill_mode_20rocsparse_diag_type_b
	.p2align	8
	.type	_ZN9rocsparseL5csrsmILj512ELj64ELb1Eli21rocsparse_complex_numIdEEEv20rocsparse_operation_T3_S4_NS_24const_host_device_scalarIT4_EEPKT2_PKS4_PKS6_PS6_lPiSC_PS4_21rocsparse_index_base_20rocsparse_fill_mode_20rocsparse_diag_type_b,@function
_ZN9rocsparseL5csrsmILj512ELj64ELb1Eli21rocsparse_complex_numIdEEEv20rocsparse_operation_T3_S4_NS_24const_host_device_scalarIT4_EEPKT2_PKS4_PKS6_PS6_lPiSC_PS4_21rocsparse_index_base_20rocsparse_fill_mode_20rocsparse_diag_type_b: ; @_ZN9rocsparseL5csrsmILj512ELj64ELb1Eli21rocsparse_complex_numIdEEEv20rocsparse_operation_T3_S4_NS_24const_host_device_scalarIT4_EEPKT2_PKS4_PKS6_PS6_lPiSC_PS4_21rocsparse_index_base_20rocsparse_fill_mode_20rocsparse_diag_type_b
; %bb.0:
	s_load_b64 s[0:1], s[0:1], 0x4
	s_load_b128 s[8:11], s[2:3], 0x10
	v_and_b32_e32 v8, 0x3ff, v0
	s_load_b128 s[4:7], s[2:3], 0x60
	v_bfe_u32 v2, v0, 10, 10
	v_bfe_u32 v0, v0, 20, 10
	s_mov_b64 s[12:13], src_shared_base
	s_waitcnt lgkmcnt(0)
	s_lshr_b32 s0, s0, 16
	s_delay_alu instid0(SALU_CYCLE_1) | instskip(NEXT) | instid1(SALU_CYCLE_1)
	s_mul_i32 s0, s0, s1
	v_mul_lo_u32 v1, s0, v8
	s_and_b32 s0, 1, s7
	s_delay_alu instid0(SALU_CYCLE_1) | instskip(SKIP_1) | instid1(VALU_DEP_1)
	s_cmp_eq_u32 s0, 1
	s_cselect_b32 vcc_lo, -1, 0
	v_mad_u32_u24 v1, v2, s1, v1
	s_load_b64 s[0:1], s[2:3], 0x20
	v_dual_mov_b32 v2, s8 :: v_dual_mov_b32 v3, s9
	v_dual_mov_b32 v6, s10 :: v_dual_mov_b32 v7, s11
	s_delay_alu instid0(VALU_DEP_3) | instskip(NEXT) | instid1(VALU_DEP_1)
	v_add_lshl_u32 v4, v1, v0, 3
	v_add_nc_u32_e32 v0, 0x2800, v4
	ds_store_b64 v4, v[2:3] offset:10240
	v_cndmask_b32_e32 v0, s8, v0, vcc_lo
	s_and_b32 vcc_lo, vcc_lo, exec_lo
	s_cselect_b32 s7, s13, s9
	s_delay_alu instid0(SALU_CYCLE_1)
	v_mov_b32_e32 v1, s7
	flat_load_b64 v[4:5], v[0:1]
	s_clause 0x1
	s_load_b64 s[12:13], s[2:3], 0x50
	s_load_b64 s[22:23], s[2:3], 0x38
	s_cbranch_vccnz .LBB80_2
; %bb.1:
	v_dual_mov_b32 v0, s8 :: v_dual_mov_b32 v1, s9
	flat_load_b64 v[6:7], v[0:1] offset:8
.LBB80_2:
	s_clause 0x1
	s_load_b128 s[16:19], s[2:3], 0x0
	s_load_b64 s[20:21], s[2:3], 0x40
	s_waitcnt lgkmcnt(0)
	v_cvt_f32_u32_e32 v0, s17
	s_sub_i32 s8, 0, s17
	s_delay_alu instid0(VALU_DEP_1) | instskip(SKIP_2) | instid1(VALU_DEP_1)
	v_rcp_iflag_f32_e32 v0, v0
	s_waitcnt_depctr 0xfff
	v_mul_f32_e32 v0, 0x4f7ffffe, v0
	v_cvt_u32_f32_e32 v0, v0
	s_delay_alu instid0(VALU_DEP_1) | instskip(NEXT) | instid1(VALU_DEP_1)
	v_readfirstlane_b32 s7, v0
	s_mul_i32 s8, s8, s7
	s_delay_alu instid0(SALU_CYCLE_1) | instskip(NEXT) | instid1(SALU_CYCLE_1)
	s_mul_hi_u32 s8, s7, s8
	s_add_i32 s7, s7, s8
	s_delay_alu instid0(SALU_CYCLE_1) | instskip(NEXT) | instid1(SALU_CYCLE_1)
	s_mul_hi_u32 s7, s15, s7
	s_mul_i32 s8, s7, s17
	s_add_i32 s9, s7, 1
	s_sub_i32 s8, s15, s8
	s_delay_alu instid0(SALU_CYCLE_1)
	s_sub_i32 s10, s8, s17
	s_cmp_ge_u32 s8, s17
	s_cselect_b32 s7, s9, s7
	s_cselect_b32 s8, s10, s8
	s_add_i32 s9, s7, 1
	s_cmp_ge_u32 s8, s17
	s_cselect_b32 s14, s9, s7
	s_delay_alu instid0(SALU_CYCLE_1) | instskip(SKIP_2) | instid1(SALU_CYCLE_1)
	s_mul_i32 s7, s14, s17
	v_lshl_or_b32 v9, s14, 9, v8
	s_sub_i32 s8, s15, s7
	s_ashr_i32 s9, s8, 31
	s_delay_alu instid0(VALU_DEP_1) | instskip(SKIP_1) | instid1(SALU_CYCLE_1)
	v_ashrrev_i32_e32 v10, 31, v9
	s_lshl_b64 s[8:9], s[8:9], 2
	s_add_u32 s8, s12, s8
	s_addc_u32 s9, s13, s9
	s_load_b32 s12, s[8:9], 0x0
	s_waitcnt lgkmcnt(0)
	s_ashr_i32 s13, s12, 31
	s_mul_i32 s14, s12, s20
	s_lshl_b64 s[8:9], s[12:13], 3
	v_add_co_u32 v11, vcc_lo, s14, v9
	s_add_u32 s0, s0, s8
	s_addc_u32 s1, s1, s9
	s_load_b128 s[8:11], s[0:1], 0x0
	s_mul_i32 s0, s12, s21
	s_mul_hi_u32 s1, s12, s20
	s_delay_alu instid0(SALU_CYCLE_1) | instskip(SKIP_1) | instid1(SALU_CYCLE_1)
	s_add_i32 s0, s1, s0
	s_mul_i32 s1, s13, s20
	s_add_i32 s15, s0, s1
	v_cmp_gt_i32_e64 s0, s18, v9
	v_add_co_ci_u32_e32 v12, vcc_lo, s15, v10, vcc_lo
	s_cmpk_lg_i32 s16, 0x71
	s_cbranch_scc0 .LBB80_6
; %bb.3:
	v_mov_b32_e32 v2, 0
	v_mov_b32_e32 v3, 0
	s_delay_alu instid0(VALU_DEP_1)
	v_dual_mov_b32 v0, v2 :: v_dual_mov_b32 v1, v3
	s_and_saveexec_b32 s1, s0
	s_cbranch_execz .LBB80_5
; %bb.4:
	v_lshlrev_b64 v[0:1], 4, v[11:12]
	s_delay_alu instid0(VALU_DEP_1) | instskip(NEXT) | instid1(VALU_DEP_2)
	v_add_co_u32 v0, vcc_lo, s22, v0
	v_add_co_ci_u32_e32 v1, vcc_lo, s23, v1, vcc_lo
	global_load_b128 v[13:16], v[0:1], off
	s_waitcnt vmcnt(0)
	v_mul_f64 v[0:1], v[15:16], -v[6:7]
	v_mul_f64 v[2:3], v[4:5], v[15:16]
	s_delay_alu instid0(VALU_DEP_2) | instskip(NEXT) | instid1(VALU_DEP_2)
	v_fma_f64 v[0:1], v[4:5], v[13:14], v[0:1]
	v_fma_f64 v[2:3], v[6:7], v[13:14], v[2:3]
.LBB80_5:
	s_or_b32 exec_lo, exec_lo, s1
	s_load_b64 s[16:17], s[2:3], 0x48
	s_cbranch_execz .LBB80_7
	s_branch .LBB80_10
.LBB80_6:
                                        ; implicit-def: $vgpr2_vgpr3
	s_load_b64 s[16:17], s[2:3], 0x48
.LBB80_7:
	v_mov_b32_e32 v2, 0
	v_mov_b32_e32 v3, 0
	s_delay_alu instid0(VALU_DEP_1)
	v_dual_mov_b32 v0, v2 :: v_dual_mov_b32 v1, v3
	s_and_saveexec_b32 s1, s0
	s_cbranch_execz .LBB80_9
; %bb.8:
	v_lshlrev_b64 v[0:1], 4, v[11:12]
	s_delay_alu instid0(VALU_DEP_1) | instskip(NEXT) | instid1(VALU_DEP_2)
	v_add_co_u32 v0, vcc_lo, s22, v0
	v_add_co_ci_u32_e32 v1, vcc_lo, s23, v1, vcc_lo
	global_load_b128 v[11:14], v[0:1], off
	s_waitcnt vmcnt(0)
	v_mul_f64 v[0:1], v[6:7], v[13:14]
	v_mul_f64 v[2:3], v[4:5], -v[13:14]
	s_delay_alu instid0(VALU_DEP_2) | instskip(NEXT) | instid1(VALU_DEP_2)
	v_fma_f64 v[0:1], v[4:5], v[11:12], v[0:1]
	v_fma_f64 v[2:3], v[6:7], v[11:12], v[2:3]
.LBB80_9:
	s_or_b32 exec_lo, exec_lo, s1
.LBB80_10:
	s_waitcnt vmcnt(0)
	v_lshlrev_b64 v[4:5], 4, v[9:10]
	s_waitcnt lgkmcnt(0)
	v_cmp_ge_i64_e64 s1, s[8:9], s[10:11]
	s_delay_alu instid0(VALU_DEP_2) | instskip(NEXT) | instid1(VALU_DEP_3)
	v_add_co_u32 v22, vcc_lo, s22, v4
	v_add_co_ci_u32_e32 v23, vcc_lo, s23, v5, vcc_lo
	s_delay_alu instid0(VALU_DEP_3)
	s_and_b32 vcc_lo, exec_lo, s1
	v_cmp_eq_u32_e64 s1, 0, v8
	s_cbranch_vccnz .LBB80_55
; %bb.11:
	s_clause 0x1
	s_load_b128 s[24:27], s[2:3], 0x28
	s_load_b64 s[18:19], s[2:3], 0x58
	v_dual_mov_b32 v9, 0 :: v_dual_lshlrev_b32 v4, 2, v8
	v_lshlrev_b32_e32 v24, 4, v8
	s_sub_u32 s8, s8, s4
	v_mov_b32_e32 v10, 0
	v_mov_b32_e32 v11, 0
	s_subb_u32 s9, s9, 0
	v_mov_b32_e32 v12, 0
	v_mov_b32_e32 v13, 0x3ff00000
	s_sub_u32 s10, s10, s4
	s_subb_u32 s11, s11, 0
	v_or_b32_e32 v25, 0x2000, v4
	s_cmp_eq_u32 s6, 0
	s_mov_b64 s[22:23], s[8:9]
	s_cselect_b32 s13, -1, 0
	s_waitcnt lgkmcnt(0)
	v_add_co_u32 v26, s2, s24, v4
	s_delay_alu instid0(VALU_DEP_1) | instskip(SKIP_1) | instid1(VALU_DEP_1)
	v_add_co_ci_u32_e64 v27, null, s25, 0, s2
	v_add_co_u32 v28, s2, s26, v24
	v_add_co_ci_u32_e64 v29, null, s27, 0, s2
	s_add_i32 s24, s12, s4
	s_branch .LBB80_14
.LBB80_12:                              ;   in Loop: Header=BB80_14 Depth=1
	s_add_u32 s22, s22, 1
	s_addc_u32 s23, s23, 0
	s_delay_alu instid0(SALU_CYCLE_1)
	v_cmp_ge_i64_e64 s2, s[22:23], s[10:11]
.LBB80_13:                              ;   in Loop: Header=BB80_14 Depth=1
	s_delay_alu instid0(VALU_DEP_3) | instskip(NEXT) | instid1(VALU_DEP_4)
	v_dual_mov_b32 v2, v18 :: v_dual_mov_b32 v3, v19
	v_dual_mov_b32 v0, v20 :: v_dual_mov_b32 v1, v21
	s_delay_alu instid0(VALU_DEP_4) | instskip(NEXT) | instid1(VALU_DEP_4)
	v_dual_mov_b32 v10, v14 :: v_dual_mov_b32 v11, v15
	v_dual_mov_b32 v12, v16 :: v_dual_mov_b32 v13, v17
	s_and_not1_b32 vcc_lo, exec_lo, s2
	s_cbranch_vccz .LBB80_56
.LBB80_14:                              ; =>This Loop Header: Depth=1
                                        ;     Child Loop BB80_53 Depth 2
                                        ;       Child Loop BB80_54 Depth 3
	s_sub_i32 s2, s22, s8
	s_delay_alu instid0(SALU_CYCLE_1) | instskip(NEXT) | instid1(SALU_CYCLE_1)
	s_and_b32 s3, s2, 0x1ff
	s_cmp_lg_u32 s3, 0
	s_cbranch_scc1 .LBB80_18
; %bb.15:                               ;   in Loop: Header=BB80_14 Depth=1
	v_mov_b32_e32 v6, 0
	v_dual_mov_b32 v7, 0 :: v_dual_mov_b32 v4, 0
	v_dual_mov_b32 v5, 0xbff00000 :: v_dual_mov_b32 v14, -1
	s_sub_u32 s26, s10, s22
	s_subb_u32 s27, s11, s23
	s_mov_b32 s2, exec_lo
	v_cmpx_gt_i64_e64 s[26:27], v[8:9]
	s_cbranch_execz .LBB80_17
; %bb.16:                               ;   in Loop: Header=BB80_14 Depth=1
	s_lshl_b64 s[26:27], s[22:23], 2
	s_delay_alu instid0(SALU_CYCLE_1)
	v_add_co_u32 v4, vcc_lo, v26, s26
	v_add_co_ci_u32_e32 v5, vcc_lo, s27, v27, vcc_lo
	s_lshl_b64 s[26:27], s[22:23], 4
	global_load_b32 v14, v[4:5], off
	v_add_co_u32 v4, vcc_lo, v28, s26
	v_add_co_ci_u32_e32 v5, vcc_lo, s27, v29, vcc_lo
	global_load_b128 v[4:7], v[4:5], off
	s_waitcnt vmcnt(1)
	v_subrev_nc_u32_e32 v14, s4, v14
.LBB80_17:                              ;   in Loop: Header=BB80_14 Depth=1
	s_or_b32 exec_lo, exec_lo, s2
	ds_store_b32 v25, v14
	s_waitcnt vmcnt(0)
	ds_store_b128 v24, v[4:7]
.LBB80_18:                              ;   in Loop: Header=BB80_14 Depth=1
	s_lshl_b32 s2, s3, 4
	s_waitcnt lgkmcnt(0)
	v_mov_b32_e32 v4, s2
	s_waitcnt_vscnt null, 0x0
	s_barrier
	buffer_gl0_inv
	s_lshl_b32 s3, s3, 2
	ds_load_b128 v[14:17], v4
	v_mov_b32_e32 v4, s3
	ds_load_b32 v4, v4 offset:8192
	s_waitcnt lgkmcnt(1)
	v_cmp_eq_f64_e32 vcc_lo, 0, v[14:15]
	v_cmp_eq_f64_e64 s2, 0, v[16:17]
	s_waitcnt lgkmcnt(0)
	v_readfirstlane_b32 s9, v4
	v_cmp_ne_u32_e64 s3, s12, v4
	s_delay_alu instid0(VALU_DEP_3) | instskip(NEXT) | instid1(VALU_DEP_2)
	s_and_b32 s2, vcc_lo, s2
	s_cmp_eq_u32 s9, s12
	s_cselect_b32 s26, -1, 0
	s_delay_alu instid0(SALU_CYCLE_1) | instskip(NEXT) | instid1(SALU_CYCLE_1)
	s_and_b32 s2, s2, s26
	s_and_b32 s2, s13, s2
	s_delay_alu instid0(SALU_CYCLE_1) | instskip(SKIP_4) | instid1(SALU_CYCLE_1)
	v_cndmask_b32_e64 v5, v17, 0, s2
	v_cndmask_b32_e64 v4, v16, 0, s2
	;; [unrolled: 1-line block ×4, first 2 shown]
	s_and_b32 s25, s1, s2
	s_and_saveexec_b32 s2, s25
	s_cbranch_execz .LBB80_22
; %bb.19:                               ;   in Loop: Header=BB80_14 Depth=1
	v_mbcnt_lo_u32_b32 v4, exec_lo, 0
	s_mov_b32 s25, exec_lo
	s_delay_alu instid0(VALU_DEP_1)
	v_cmpx_eq_u32_e32 0, v4
	s_cbranch_execz .LBB80_21
; %bb.20:                               ;   in Loop: Header=BB80_14 Depth=1
	v_mov_b32_e32 v4, s24
	global_atomic_min_i32 v9, v4, s[18:19]
.LBB80_21:                              ;   in Loop: Header=BB80_14 Depth=1
	s_or_b32 exec_lo, exec_lo, s25
	v_mov_b32_e32 v4, 0
	v_dual_mov_b32 v5, 0 :: v_dual_mov_b32 v6, 0
	v_mov_b32_e32 v7, 0x3ff00000
.LBB80_22:                              ;   in Loop: Header=BB80_14 Depth=1
	s_or_b32 exec_lo, exec_lo, s2
	s_cmp_lt_i32 s5, 1
	s_mov_b32 s2, 0
	s_cbranch_scc1 .LBB80_28
; %bb.23:                               ;   in Loop: Header=BB80_14 Depth=1
	s_cmp_eq_u32 s5, 1
	s_cbranch_scc0 .LBB80_29
; %bb.24:                               ;   in Loop: Header=BB80_14 Depth=1
	v_dual_mov_b32 v15, v11 :: v_dual_mov_b32 v14, v10
	v_dual_mov_b32 v17, v13 :: v_dual_mov_b32 v16, v12
	s_cmp_ge_i32 s9, s12
	s_mov_b32 s25, 0
	s_cbranch_scc0 .LBB80_31
; %bb.25:                               ;   in Loop: Header=BB80_14 Depth=1
	s_and_b32 vcc_lo, exec_lo, s26
	s_cbranch_vccz .LBB80_30
; %bb.26:                               ;   in Loop: Header=BB80_14 Depth=1
	v_dual_mov_b32 v15, v11 :: v_dual_mov_b32 v14, v10
	v_dual_mov_b32 v17, v13 :: v_dual_mov_b32 v16, v12
	s_and_not1_b32 vcc_lo, exec_lo, s13
	s_cbranch_vccnz .LBB80_31
; %bb.27:                               ;   in Loop: Header=BB80_14 Depth=1
	v_mul_f64 v[14:15], v[4:5], v[4:5]
	s_delay_alu instid0(VALU_DEP_1) | instskip(NEXT) | instid1(VALU_DEP_1)
	v_fma_f64 v[14:15], v[6:7], v[6:7], v[14:15]
	v_div_scale_f64 v[16:17], null, v[14:15], v[14:15], 1.0
	v_div_scale_f64 v[30:31], vcc_lo, 1.0, v[14:15], 1.0
	s_delay_alu instid0(VALU_DEP_2) | instskip(SKIP_2) | instid1(VALU_DEP_1)
	v_rcp_f64_e32 v[18:19], v[16:17]
	s_waitcnt_depctr 0xfff
	v_fma_f64 v[20:21], -v[16:17], v[18:19], 1.0
	v_fma_f64 v[18:19], v[18:19], v[20:21], v[18:19]
	s_delay_alu instid0(VALU_DEP_1) | instskip(NEXT) | instid1(VALU_DEP_1)
	v_fma_f64 v[20:21], -v[16:17], v[18:19], 1.0
	v_fma_f64 v[18:19], v[18:19], v[20:21], v[18:19]
	s_delay_alu instid0(VALU_DEP_1) | instskip(NEXT) | instid1(VALU_DEP_1)
	v_mul_f64 v[20:21], v[30:31], v[18:19]
	v_fma_f64 v[16:17], -v[16:17], v[20:21], v[30:31]
	s_delay_alu instid0(VALU_DEP_1) | instskip(SKIP_2) | instid1(VALU_DEP_3)
	v_div_fmas_f64 v[16:17], v[16:17], v[18:19], v[20:21]
	v_fma_f64 v[18:19], v[4:5], 0, v[6:7]
	v_fma_f64 v[20:21], v[6:7], 0, -v[4:5]
	v_div_fixup_f64 v[14:15], v[16:17], v[14:15], 1.0
	s_delay_alu instid0(VALU_DEP_1) | instskip(NEXT) | instid1(VALU_DEP_3)
	v_mul_f64 v[16:17], v[18:19], v[14:15]
	v_mul_f64 v[14:15], v[20:21], v[14:15]
	s_branch .LBB80_31
.LBB80_28:                              ;   in Loop: Header=BB80_14 Depth=1
	s_mov_b32 s25, 0
                                        ; implicit-def: $sgpr26
                                        ; implicit-def: $vgpr18_vgpr19
                                        ; implicit-def: $vgpr20_vgpr21
                                        ; implicit-def: $vgpr14_vgpr15
                                        ; implicit-def: $vgpr16_vgpr17
	s_cbranch_execnz .LBB80_32
	s_branch .LBB80_34
.LBB80_29:                              ;   in Loop: Header=BB80_14 Depth=1
	s_mov_b32 s25, -1
                                        ; implicit-def: $sgpr26
                                        ; implicit-def: $vgpr18_vgpr19
                                        ; implicit-def: $vgpr20_vgpr21
                                        ; implicit-def: $vgpr14_vgpr15
                                        ; implicit-def: $vgpr16_vgpr17
	s_branch .LBB80_34
.LBB80_30:                              ;   in Loop: Header=BB80_14 Depth=1
	s_mov_b32 s25, -1
                                        ; implicit-def: $vgpr14_vgpr15
                                        ; implicit-def: $vgpr16_vgpr17
.LBB80_31:                              ;   in Loop: Header=BB80_14 Depth=1
	v_dual_mov_b32 v19, v3 :: v_dual_mov_b32 v18, v2
	v_dual_mov_b32 v21, v1 :: v_dual_mov_b32 v20, v0
	s_mov_b32 s26, 4
	s_branch .LBB80_34
.LBB80_32:                              ;   in Loop: Header=BB80_14 Depth=1
	s_cmp_eq_u32 s5, 0
	s_cbranch_scc1 .LBB80_38
; %bb.33:                               ;   in Loop: Header=BB80_14 Depth=1
	s_mov_b32 s25, -1
                                        ; implicit-def: $sgpr26
                                        ; implicit-def: $vgpr18_vgpr19
                                        ; implicit-def: $vgpr20_vgpr21
                                        ; implicit-def: $vgpr14_vgpr15
                                        ; implicit-def: $vgpr16_vgpr17
.LBB80_34:                              ;   in Loop: Header=BB80_14 Depth=1
	s_delay_alu instid0(SALU_CYCLE_1)
	s_and_b32 vcc_lo, exec_lo, s25
	s_cbranch_vccnz .LBB80_41
.LBB80_35:                              ;   in Loop: Header=BB80_14 Depth=1
	s_and_b32 vcc_lo, exec_lo, s2
	s_cbranch_vccnz .LBB80_46
.LBB80_36:                              ;   in Loop: Header=BB80_14 Depth=1
	s_cmp_gt_i32 s26, 3
	s_mov_b32 s2, -1
	s_cbranch_scc1 .LBB80_49
.LBB80_37:                              ;   in Loop: Header=BB80_14 Depth=1
	s_cmp_eq_u32 s26, 0
	s_cselect_b32 s3, -1, 0
	s_delay_alu instid0(SALU_CYCLE_1)
	s_and_not1_b32 vcc_lo, exec_lo, s3
	s_cbranch_vccz .LBB80_12
	s_branch .LBB80_50
.LBB80_38:                              ;   in Loop: Header=BB80_14 Depth=1
	s_cmp_le_i32 s9, s12
	s_mov_b32 s25, 0
	s_cbranch_scc0 .LBB80_40
; %bb.39:                               ;   in Loop: Header=BB80_14 Depth=1
	s_mov_b32 s2, -1
	s_mov_b32 s25, s3
.LBB80_40:                              ;   in Loop: Header=BB80_14 Depth=1
	v_dual_mov_b32 v19, v3 :: v_dual_mov_b32 v18, v2
	v_dual_mov_b32 v21, v1 :: v_dual_mov_b32 v20, v0
	;; [unrolled: 1-line block ×4, first 2 shown]
	s_mov_b32 s26, 2
	s_and_b32 vcc_lo, exec_lo, s25
	s_cbranch_vccz .LBB80_35
.LBB80_41:                              ;   in Loop: Header=BB80_14 Depth=1
	s_and_saveexec_b32 s25, s1
	s_cbranch_execz .LBB80_43
; %bb.42:                               ;   in Loop: Header=BB80_14 Depth=1
	s_add_i32 s2, s9, s7
	s_delay_alu instid0(SALU_CYCLE_1) | instskip(NEXT) | instid1(SALU_CYCLE_1)
	s_ashr_i32 s3, s2, 31
	s_lshl_b64 s[2:3], s[2:3], 2
	s_delay_alu instid0(SALU_CYCLE_1)
	s_add_u32 s2, s16, s2
	s_addc_u32 s3, s17, s3
	global_load_b32 v14, v9, s[2:3] glc
	s_waitcnt vmcnt(0)
	v_cmp_ne_u32_e32 vcc_lo, 0, v14
	s_cbranch_vccz .LBB80_51
.LBB80_43:                              ;   in Loop: Header=BB80_14 Depth=1
	s_or_b32 exec_lo, exec_lo, s25
	v_mov_b32_e32 v18, 0
	v_mov_b32_e32 v19, 0
	s_waitcnt_vscnt null, 0x0
	s_barrier
	buffer_gl0_inv
	buffer_gl1_inv
	buffer_gl0_inv
	v_dual_mov_b32 v21, v19 :: v_dual_mov_b32 v20, v18
	s_and_saveexec_b32 s2, s0
	s_cbranch_execz .LBB80_45
; %bb.44:                               ;   in Loop: Header=BB80_14 Depth=1
	s_mul_i32 s3, s9, s21
	s_mul_hi_u32 s25, s9, s20
	s_ashr_i32 s26, s9, 31
	s_add_i32 s3, s25, s3
	s_mul_i32 s26, s26, s20
	s_delay_alu instid0(SALU_CYCLE_1) | instskip(SKIP_1) | instid1(SALU_CYCLE_1)
	s_add_i32 s27, s3, s26
	s_mul_i32 s26, s9, s20
	s_lshl_b64 s[26:27], s[26:27], 4
	s_delay_alu instid0(SALU_CYCLE_1)
	v_add_co_u32 v14, vcc_lo, v22, s26
	v_add_co_ci_u32_e32 v15, vcc_lo, s27, v23, vcc_lo
	global_load_b128 v[14:17], v[14:15], off
	s_waitcnt vmcnt(0)
	v_fma_f64 v[18:19], -v[6:7], v[14:15], v[0:1]
	v_fma_f64 v[14:15], -v[4:5], v[14:15], v[2:3]
	s_delay_alu instid0(VALU_DEP_2) | instskip(NEXT) | instid1(VALU_DEP_2)
	v_fma_f64 v[20:21], v[4:5], v[16:17], v[18:19]
	v_fma_f64 v[18:19], -v[6:7], v[16:17], v[14:15]
.LBB80_45:                              ;   in Loop: Header=BB80_14 Depth=1
	s_or_b32 exec_lo, exec_lo, s2
	v_dual_mov_b32 v15, v11 :: v_dual_mov_b32 v14, v10
	v_dual_mov_b32 v17, v13 :: v_dual_mov_b32 v16, v12
	s_mov_b32 s26, 0
	s_branch .LBB80_36
.LBB80_46:                              ;   in Loop: Header=BB80_14 Depth=1
	s_and_not1_b32 vcc_lo, exec_lo, s13
	s_cbranch_vccnz .LBB80_48
; %bb.47:                               ;   in Loop: Header=BB80_14 Depth=1
	v_mul_f64 v[10:11], v[4:5], v[4:5]
	s_delay_alu instid0(VALU_DEP_1) | instskip(NEXT) | instid1(VALU_DEP_1)
	v_fma_f64 v[10:11], v[6:7], v[6:7], v[10:11]
	v_div_scale_f64 v[12:13], null, v[10:11], v[10:11], 1.0
	v_div_scale_f64 v[18:19], vcc_lo, 1.0, v[10:11], 1.0
	s_delay_alu instid0(VALU_DEP_2) | instskip(SKIP_2) | instid1(VALU_DEP_1)
	v_rcp_f64_e32 v[14:15], v[12:13]
	s_waitcnt_depctr 0xfff
	v_fma_f64 v[16:17], -v[12:13], v[14:15], 1.0
	v_fma_f64 v[14:15], v[14:15], v[16:17], v[14:15]
	s_delay_alu instid0(VALU_DEP_1) | instskip(NEXT) | instid1(VALU_DEP_1)
	v_fma_f64 v[16:17], -v[12:13], v[14:15], 1.0
	v_fma_f64 v[14:15], v[14:15], v[16:17], v[14:15]
	s_delay_alu instid0(VALU_DEP_1) | instskip(NEXT) | instid1(VALU_DEP_1)
	v_mul_f64 v[16:17], v[18:19], v[14:15]
	v_fma_f64 v[12:13], -v[12:13], v[16:17], v[18:19]
	s_delay_alu instid0(VALU_DEP_1) | instskip(SKIP_2) | instid1(VALU_DEP_3)
	v_div_fmas_f64 v[12:13], v[12:13], v[14:15], v[16:17]
	v_fma_f64 v[14:15], v[4:5], 0, v[6:7]
	v_fma_f64 v[4:5], v[6:7], 0, -v[4:5]
	v_div_fixup_f64 v[10:11], v[12:13], v[10:11], 1.0
	s_delay_alu instid0(VALU_DEP_1) | instskip(NEXT) | instid1(VALU_DEP_3)
	v_mul_f64 v[12:13], v[14:15], v[10:11]
	v_mul_f64 v[10:11], v[4:5], v[10:11]
.LBB80_48:                              ;   in Loop: Header=BB80_14 Depth=1
	s_delay_alu instid0(VALU_DEP_2) | instskip(NEXT) | instid1(VALU_DEP_2)
	v_dual_mov_b32 v17, v13 :: v_dual_mov_b32 v16, v12
	v_dual_mov_b32 v15, v11 :: v_dual_mov_b32 v14, v10
	;; [unrolled: 1-line block ×4, first 2 shown]
	s_mov_b32 s26, 2
	s_delay_alu instid0(SALU_CYCLE_1)
	s_cmp_gt_i32 s26, 3
	s_mov_b32 s2, -1
	s_cbranch_scc0 .LBB80_37
.LBB80_49:                              ;   in Loop: Header=BB80_14 Depth=1
	s_branch .LBB80_12
.LBB80_50:                              ;   in Loop: Header=BB80_14 Depth=1
                                        ; implicit-def: $sgpr22_sgpr23
	s_branch .LBB80_13
.LBB80_51:                              ;   in Loop: Header=BB80_14 Depth=1
	s_mov_b32 s26, 0
	s_branch .LBB80_53
	.p2align	6
.LBB80_52:                              ;   in Loop: Header=BB80_53 Depth=2
	global_load_b32 v14, v9, s[2:3] glc
	s_cmpk_lt_u32 s26, 0xf43
	s_cselect_b32 s27, -1, 0
	s_delay_alu instid0(SALU_CYCLE_1)
	s_cmp_lg_u32 s27, 0
	s_addc_u32 s26, s26, 0
	s_waitcnt vmcnt(0)
	v_cmp_ne_u32_e32 vcc_lo, 0, v14
	s_cbranch_vccnz .LBB80_43
.LBB80_53:                              ;   Parent Loop BB80_14 Depth=1
                                        ; =>  This Loop Header: Depth=2
                                        ;       Child Loop BB80_54 Depth 3
	s_cmp_eq_u32 s26, 0
	s_mov_b32 s27, s26
	s_cbranch_scc1 .LBB80_52
.LBB80_54:                              ;   Parent Loop BB80_14 Depth=1
                                        ;     Parent Loop BB80_53 Depth=2
                                        ; =>    This Inner Loop Header: Depth=3
	s_add_i32 s27, s27, -1
	s_sleep 1
	s_cmp_eq_u32 s27, 0
	s_cbranch_scc0 .LBB80_54
	s_branch .LBB80_52
.LBB80_55:
	v_mov_b32_e32 v14, 0
	v_dual_mov_b32 v15, 0 :: v_dual_mov_b32 v16, 0
	v_mov_b32_e32 v17, 0x3ff00000
	s_cmp_lg_u32 s6, 0
	s_cbranch_scc1 .LBB80_58
	s_branch .LBB80_57
.LBB80_56:
	v_dual_mov_b32 v2, v18 :: v_dual_mov_b32 v3, v19
	v_dual_mov_b32 v0, v20 :: v_dual_mov_b32 v1, v21
	s_cmp_lg_u32 s6, 0
	s_cbranch_scc1 .LBB80_58
.LBB80_57:
	s_delay_alu instid0(VALU_DEP_2) | instskip(NEXT) | instid1(VALU_DEP_2)
	v_mul_f64 v[4:5], v[14:15], -v[2:3]
	v_mul_f64 v[6:7], v[14:15], v[0:1]
	s_delay_alu instid0(VALU_DEP_2) | instskip(NEXT) | instid1(VALU_DEP_2)
	v_fma_f64 v[0:1], v[0:1], v[16:17], v[4:5]
	v_fma_f64 v[2:3], v[2:3], v[16:17], v[6:7]
.LBB80_58:
	s_and_saveexec_b32 s1, s0
	s_cbranch_execz .LBB80_60
; %bb.59:
	s_lshl_b64 s[2:3], s[14:15], 4
	s_delay_alu instid0(SALU_CYCLE_1)
	v_add_co_u32 v4, vcc_lo, v22, s2
	v_add_co_ci_u32_e32 v5, vcc_lo, s3, v23, vcc_lo
	global_store_b128 v[4:5], v[0:3], off
.LBB80_60:
	s_or_b32 exec_lo, exec_lo, s1
	s_waitcnt_vscnt null, 0x0
	buffer_gl1_inv
	buffer_gl0_inv
	s_barrier
	buffer_gl0_inv
	s_mov_b32 s0, exec_lo
	v_cmpx_eq_u32_e32 0, v8
	s_cbranch_execz .LBB80_62
; %bb.61:
	s_add_i32 s0, s12, s7
	v_dual_mov_b32 v0, 0 :: v_dual_mov_b32 v1, 1
	s_ashr_i32 s1, s0, 31
	s_delay_alu instid0(SALU_CYCLE_1) | instskip(NEXT) | instid1(SALU_CYCLE_1)
	s_lshl_b64 s[0:1], s[0:1], 2
	s_add_u32 s0, s16, s0
	s_addc_u32 s1, s17, s1
	global_store_b32 v0, v1, s[0:1]
.LBB80_62:
	s_nop 0
	s_sendmsg sendmsg(MSG_DEALLOC_VGPRS)
	s_endpgm
	.section	.rodata,"a",@progbits
	.p2align	6, 0x0
	.amdhsa_kernel _ZN9rocsparseL5csrsmILj512ELj64ELb1Eli21rocsparse_complex_numIdEEEv20rocsparse_operation_T3_S4_NS_24const_host_device_scalarIT4_EEPKT2_PKS4_PKS6_PS6_lPiSC_PS4_21rocsparse_index_base_20rocsparse_fill_mode_20rocsparse_diag_type_b
		.amdhsa_group_segment_fixed_size 14336
		.amdhsa_private_segment_fixed_size 0
		.amdhsa_kernarg_size 112
		.amdhsa_user_sgpr_count 15
		.amdhsa_user_sgpr_dispatch_ptr 1
		.amdhsa_user_sgpr_queue_ptr 0
		.amdhsa_user_sgpr_kernarg_segment_ptr 1
		.amdhsa_user_sgpr_dispatch_id 0
		.amdhsa_user_sgpr_private_segment_size 0
		.amdhsa_wavefront_size32 1
		.amdhsa_uses_dynamic_stack 0
		.amdhsa_enable_private_segment 0
		.amdhsa_system_sgpr_workgroup_id_x 1
		.amdhsa_system_sgpr_workgroup_id_y 0
		.amdhsa_system_sgpr_workgroup_id_z 0
		.amdhsa_system_sgpr_workgroup_info 0
		.amdhsa_system_vgpr_workitem_id 2
		.amdhsa_next_free_vgpr 32
		.amdhsa_next_free_sgpr 28
		.amdhsa_reserve_vcc 1
		.amdhsa_float_round_mode_32 0
		.amdhsa_float_round_mode_16_64 0
		.amdhsa_float_denorm_mode_32 3
		.amdhsa_float_denorm_mode_16_64 3
		.amdhsa_dx10_clamp 1
		.amdhsa_ieee_mode 1
		.amdhsa_fp16_overflow 0
		.amdhsa_workgroup_processor_mode 1
		.amdhsa_memory_ordered 1
		.amdhsa_forward_progress 0
		.amdhsa_shared_vgpr_count 0
		.amdhsa_exception_fp_ieee_invalid_op 0
		.amdhsa_exception_fp_denorm_src 0
		.amdhsa_exception_fp_ieee_div_zero 0
		.amdhsa_exception_fp_ieee_overflow 0
		.amdhsa_exception_fp_ieee_underflow 0
		.amdhsa_exception_fp_ieee_inexact 0
		.amdhsa_exception_int_div_zero 0
	.end_amdhsa_kernel
	.section	.text._ZN9rocsparseL5csrsmILj512ELj64ELb1Eli21rocsparse_complex_numIdEEEv20rocsparse_operation_T3_S4_NS_24const_host_device_scalarIT4_EEPKT2_PKS4_PKS6_PS6_lPiSC_PS4_21rocsparse_index_base_20rocsparse_fill_mode_20rocsparse_diag_type_b,"axG",@progbits,_ZN9rocsparseL5csrsmILj512ELj64ELb1Eli21rocsparse_complex_numIdEEEv20rocsparse_operation_T3_S4_NS_24const_host_device_scalarIT4_EEPKT2_PKS4_PKS6_PS6_lPiSC_PS4_21rocsparse_index_base_20rocsparse_fill_mode_20rocsparse_diag_type_b,comdat
.Lfunc_end80:
	.size	_ZN9rocsparseL5csrsmILj512ELj64ELb1Eli21rocsparse_complex_numIdEEEv20rocsparse_operation_T3_S4_NS_24const_host_device_scalarIT4_EEPKT2_PKS4_PKS6_PS6_lPiSC_PS4_21rocsparse_index_base_20rocsparse_fill_mode_20rocsparse_diag_type_b, .Lfunc_end80-_ZN9rocsparseL5csrsmILj512ELj64ELb1Eli21rocsparse_complex_numIdEEEv20rocsparse_operation_T3_S4_NS_24const_host_device_scalarIT4_EEPKT2_PKS4_PKS6_PS6_lPiSC_PS4_21rocsparse_index_base_20rocsparse_fill_mode_20rocsparse_diag_type_b
                                        ; -- End function
	.section	.AMDGPU.csdata,"",@progbits
; Kernel info:
; codeLenInByte = 2580
; NumSgprs: 30
; NumVgprs: 32
; ScratchSize: 0
; MemoryBound: 1
; FloatMode: 240
; IeeeMode: 1
; LDSByteSize: 14336 bytes/workgroup (compile time only)
; SGPRBlocks: 3
; VGPRBlocks: 3
; NumSGPRsForWavesPerEU: 30
; NumVGPRsForWavesPerEU: 32
; Occupancy: 16
; WaveLimiterHint : 1
; COMPUTE_PGM_RSRC2:SCRATCH_EN: 0
; COMPUTE_PGM_RSRC2:USER_SGPR: 15
; COMPUTE_PGM_RSRC2:TRAP_HANDLER: 0
; COMPUTE_PGM_RSRC2:TGID_X_EN: 1
; COMPUTE_PGM_RSRC2:TGID_Y_EN: 0
; COMPUTE_PGM_RSRC2:TGID_Z_EN: 0
; COMPUTE_PGM_RSRC2:TIDIG_COMP_CNT: 2
	.section	.text._ZN9rocsparseL5csrsmILj512ELj64ELb0Eli21rocsparse_complex_numIdEEEv20rocsparse_operation_T3_S4_NS_24const_host_device_scalarIT4_EEPKT2_PKS4_PKS6_PS6_lPiSC_PS4_21rocsparse_index_base_20rocsparse_fill_mode_20rocsparse_diag_type_b,"axG",@progbits,_ZN9rocsparseL5csrsmILj512ELj64ELb0Eli21rocsparse_complex_numIdEEEv20rocsparse_operation_T3_S4_NS_24const_host_device_scalarIT4_EEPKT2_PKS4_PKS6_PS6_lPiSC_PS4_21rocsparse_index_base_20rocsparse_fill_mode_20rocsparse_diag_type_b,comdat
	.globl	_ZN9rocsparseL5csrsmILj512ELj64ELb0Eli21rocsparse_complex_numIdEEEv20rocsparse_operation_T3_S4_NS_24const_host_device_scalarIT4_EEPKT2_PKS4_PKS6_PS6_lPiSC_PS4_21rocsparse_index_base_20rocsparse_fill_mode_20rocsparse_diag_type_b ; -- Begin function _ZN9rocsparseL5csrsmILj512ELj64ELb0Eli21rocsparse_complex_numIdEEEv20rocsparse_operation_T3_S4_NS_24const_host_device_scalarIT4_EEPKT2_PKS4_PKS6_PS6_lPiSC_PS4_21rocsparse_index_base_20rocsparse_fill_mode_20rocsparse_diag_type_b
	.p2align	8
	.type	_ZN9rocsparseL5csrsmILj512ELj64ELb0Eli21rocsparse_complex_numIdEEEv20rocsparse_operation_T3_S4_NS_24const_host_device_scalarIT4_EEPKT2_PKS4_PKS6_PS6_lPiSC_PS4_21rocsparse_index_base_20rocsparse_fill_mode_20rocsparse_diag_type_b,@function
_ZN9rocsparseL5csrsmILj512ELj64ELb0Eli21rocsparse_complex_numIdEEEv20rocsparse_operation_T3_S4_NS_24const_host_device_scalarIT4_EEPKT2_PKS4_PKS6_PS6_lPiSC_PS4_21rocsparse_index_base_20rocsparse_fill_mode_20rocsparse_diag_type_b: ; @_ZN9rocsparseL5csrsmILj512ELj64ELb0Eli21rocsparse_complex_numIdEEEv20rocsparse_operation_T3_S4_NS_24const_host_device_scalarIT4_EEPKT2_PKS4_PKS6_PS6_lPiSC_PS4_21rocsparse_index_base_20rocsparse_fill_mode_20rocsparse_diag_type_b
; %bb.0:
	s_load_b64 s[0:1], s[0:1], 0x4
	s_load_b128 s[8:11], s[2:3], 0x10
	v_and_b32_e32 v8, 0x3ff, v0
	s_load_b128 s[4:7], s[2:3], 0x60
	v_bfe_u32 v2, v0, 10, 10
	v_bfe_u32 v0, v0, 20, 10
	s_mov_b64 s[12:13], src_shared_base
	s_waitcnt lgkmcnt(0)
	s_lshr_b32 s0, s0, 16
	s_delay_alu instid0(SALU_CYCLE_1) | instskip(NEXT) | instid1(SALU_CYCLE_1)
	s_mul_i32 s0, s0, s1
	v_mul_lo_u32 v1, s0, v8
	s_and_b32 s0, 1, s7
	s_delay_alu instid0(SALU_CYCLE_1) | instskip(SKIP_1) | instid1(VALU_DEP_1)
	s_cmp_eq_u32 s0, 1
	s_cselect_b32 vcc_lo, -1, 0
	v_mad_u32_u24 v1, v2, s1, v1
	s_load_b64 s[0:1], s[2:3], 0x20
	v_dual_mov_b32 v2, s8 :: v_dual_mov_b32 v3, s9
	v_dual_mov_b32 v6, s10 :: v_dual_mov_b32 v7, s11
	s_delay_alu instid0(VALU_DEP_3) | instskip(NEXT) | instid1(VALU_DEP_1)
	v_add_lshl_u32 v4, v1, v0, 3
	v_add_nc_u32_e32 v0, 0x2800, v4
	ds_store_b64 v4, v[2:3] offset:10240
	v_cndmask_b32_e32 v0, s8, v0, vcc_lo
	s_and_b32 vcc_lo, vcc_lo, exec_lo
	s_cselect_b32 s7, s13, s9
	s_delay_alu instid0(SALU_CYCLE_1)
	v_mov_b32_e32 v1, s7
	flat_load_b64 v[4:5], v[0:1]
	s_clause 0x1
	s_load_b64 s[12:13], s[2:3], 0x50
	s_load_b64 s[22:23], s[2:3], 0x38
	s_cbranch_vccnz .LBB81_2
; %bb.1:
	v_dual_mov_b32 v0, s8 :: v_dual_mov_b32 v1, s9
	flat_load_b64 v[6:7], v[0:1] offset:8
.LBB81_2:
	s_clause 0x1
	s_load_b128 s[16:19], s[2:3], 0x0
	s_load_b64 s[20:21], s[2:3], 0x40
	s_waitcnt lgkmcnt(0)
	v_cvt_f32_u32_e32 v0, s17
	s_sub_i32 s8, 0, s17
	s_delay_alu instid0(VALU_DEP_1) | instskip(SKIP_2) | instid1(VALU_DEP_1)
	v_rcp_iflag_f32_e32 v0, v0
	s_waitcnt_depctr 0xfff
	v_mul_f32_e32 v0, 0x4f7ffffe, v0
	v_cvt_u32_f32_e32 v0, v0
	s_delay_alu instid0(VALU_DEP_1) | instskip(NEXT) | instid1(VALU_DEP_1)
	v_readfirstlane_b32 s7, v0
	s_mul_i32 s8, s8, s7
	s_delay_alu instid0(SALU_CYCLE_1) | instskip(NEXT) | instid1(SALU_CYCLE_1)
	s_mul_hi_u32 s8, s7, s8
	s_add_i32 s7, s7, s8
	s_delay_alu instid0(SALU_CYCLE_1) | instskip(NEXT) | instid1(SALU_CYCLE_1)
	s_mul_hi_u32 s7, s15, s7
	s_mul_i32 s8, s7, s17
	s_add_i32 s9, s7, 1
	s_sub_i32 s8, s15, s8
	s_delay_alu instid0(SALU_CYCLE_1)
	s_sub_i32 s10, s8, s17
	s_cmp_ge_u32 s8, s17
	s_cselect_b32 s7, s9, s7
	s_cselect_b32 s8, s10, s8
	s_add_i32 s9, s7, 1
	s_cmp_ge_u32 s8, s17
	s_cselect_b32 s14, s9, s7
	s_delay_alu instid0(SALU_CYCLE_1) | instskip(SKIP_2) | instid1(SALU_CYCLE_1)
	s_mul_i32 s7, s14, s17
	v_lshl_or_b32 v9, s14, 9, v8
	s_sub_i32 s8, s15, s7
	s_ashr_i32 s9, s8, 31
	s_delay_alu instid0(VALU_DEP_1) | instskip(SKIP_1) | instid1(SALU_CYCLE_1)
	v_ashrrev_i32_e32 v10, 31, v9
	s_lshl_b64 s[8:9], s[8:9], 2
	s_add_u32 s8, s12, s8
	s_addc_u32 s9, s13, s9
	s_load_b32 s12, s[8:9], 0x0
	s_waitcnt lgkmcnt(0)
	s_ashr_i32 s13, s12, 31
	s_mul_i32 s14, s12, s20
	s_lshl_b64 s[8:9], s[12:13], 3
	v_add_co_u32 v11, vcc_lo, s14, v9
	s_add_u32 s0, s0, s8
	s_addc_u32 s1, s1, s9
	s_load_b128 s[8:11], s[0:1], 0x0
	s_mul_i32 s0, s12, s21
	s_mul_hi_u32 s1, s12, s20
	s_delay_alu instid0(SALU_CYCLE_1) | instskip(SKIP_1) | instid1(SALU_CYCLE_1)
	s_add_i32 s0, s1, s0
	s_mul_i32 s1, s13, s20
	s_add_i32 s15, s0, s1
	v_cmp_gt_i32_e64 s0, s18, v9
	v_add_co_ci_u32_e32 v12, vcc_lo, s15, v10, vcc_lo
	s_cmpk_lg_i32 s16, 0x71
	s_cbranch_scc0 .LBB81_6
; %bb.3:
	v_mov_b32_e32 v2, 0
	v_mov_b32_e32 v3, 0
	s_delay_alu instid0(VALU_DEP_1)
	v_dual_mov_b32 v0, v2 :: v_dual_mov_b32 v1, v3
	s_and_saveexec_b32 s1, s0
	s_cbranch_execz .LBB81_5
; %bb.4:
	v_lshlrev_b64 v[0:1], 4, v[11:12]
	s_delay_alu instid0(VALU_DEP_1) | instskip(NEXT) | instid1(VALU_DEP_2)
	v_add_co_u32 v0, vcc_lo, s22, v0
	v_add_co_ci_u32_e32 v1, vcc_lo, s23, v1, vcc_lo
	global_load_b128 v[13:16], v[0:1], off
	s_waitcnt vmcnt(0)
	v_mul_f64 v[0:1], v[15:16], -v[6:7]
	v_mul_f64 v[2:3], v[4:5], v[15:16]
	s_delay_alu instid0(VALU_DEP_2) | instskip(NEXT) | instid1(VALU_DEP_2)
	v_fma_f64 v[0:1], v[4:5], v[13:14], v[0:1]
	v_fma_f64 v[2:3], v[6:7], v[13:14], v[2:3]
.LBB81_5:
	s_or_b32 exec_lo, exec_lo, s1
	s_load_b64 s[16:17], s[2:3], 0x48
	s_cbranch_execz .LBB81_7
	s_branch .LBB81_10
.LBB81_6:
                                        ; implicit-def: $vgpr2_vgpr3
	s_load_b64 s[16:17], s[2:3], 0x48
.LBB81_7:
	v_mov_b32_e32 v2, 0
	v_mov_b32_e32 v3, 0
	s_delay_alu instid0(VALU_DEP_1)
	v_dual_mov_b32 v0, v2 :: v_dual_mov_b32 v1, v3
	s_and_saveexec_b32 s1, s0
	s_cbranch_execz .LBB81_9
; %bb.8:
	v_lshlrev_b64 v[0:1], 4, v[11:12]
	s_delay_alu instid0(VALU_DEP_1) | instskip(NEXT) | instid1(VALU_DEP_2)
	v_add_co_u32 v0, vcc_lo, s22, v0
	v_add_co_ci_u32_e32 v1, vcc_lo, s23, v1, vcc_lo
	global_load_b128 v[11:14], v[0:1], off
	s_waitcnt vmcnt(0)
	v_mul_f64 v[0:1], v[6:7], v[13:14]
	v_mul_f64 v[2:3], v[4:5], -v[13:14]
	s_delay_alu instid0(VALU_DEP_2) | instskip(NEXT) | instid1(VALU_DEP_2)
	v_fma_f64 v[0:1], v[4:5], v[11:12], v[0:1]
	v_fma_f64 v[2:3], v[6:7], v[11:12], v[2:3]
.LBB81_9:
	s_or_b32 exec_lo, exec_lo, s1
.LBB81_10:
	s_waitcnt vmcnt(0)
	v_lshlrev_b64 v[4:5], 4, v[9:10]
	s_waitcnt lgkmcnt(0)
	v_cmp_ge_i64_e64 s1, s[8:9], s[10:11]
	s_delay_alu instid0(VALU_DEP_2) | instskip(NEXT) | instid1(VALU_DEP_3)
	v_add_co_u32 v22, vcc_lo, s22, v4
	v_add_co_ci_u32_e32 v23, vcc_lo, s23, v5, vcc_lo
	s_delay_alu instid0(VALU_DEP_3)
	s_and_b32 vcc_lo, exec_lo, s1
	v_cmp_eq_u32_e64 s1, 0, v8
	s_cbranch_vccnz .LBB81_52
; %bb.11:
	s_clause 0x1
	s_load_b128 s[24:27], s[2:3], 0x28
	s_load_b64 s[18:19], s[2:3], 0x58
	v_dual_mov_b32 v9, 0 :: v_dual_lshlrev_b32 v4, 2, v8
	v_lshlrev_b32_e32 v24, 4, v8
	s_sub_u32 s8, s8, s4
	v_mov_b32_e32 v10, 0
	v_mov_b32_e32 v11, 0
	s_subb_u32 s9, s9, 0
	v_mov_b32_e32 v12, 0
	v_mov_b32_e32 v13, 0x3ff00000
	s_sub_u32 s10, s10, s4
	s_subb_u32 s11, s11, 0
	v_or_b32_e32 v25, 0x2000, v4
	s_cmp_eq_u32 s6, 0
	s_mov_b64 s[22:23], s[8:9]
	s_cselect_b32 s13, -1, 0
	s_waitcnt lgkmcnt(0)
	v_add_co_u32 v26, s2, s24, v4
	s_delay_alu instid0(VALU_DEP_1) | instskip(SKIP_1) | instid1(VALU_DEP_1)
	v_add_co_ci_u32_e64 v27, null, s25, 0, s2
	v_add_co_u32 v28, s2, s26, v24
	v_add_co_ci_u32_e64 v29, null, s27, 0, s2
	s_add_i32 s24, s12, s4
	s_branch .LBB81_14
.LBB81_12:                              ;   in Loop: Header=BB81_14 Depth=1
	s_add_u32 s22, s22, 1
	s_addc_u32 s23, s23, 0
	s_delay_alu instid0(SALU_CYCLE_1)
	v_cmp_ge_i64_e64 s2, s[22:23], s[10:11]
.LBB81_13:                              ;   in Loop: Header=BB81_14 Depth=1
	s_delay_alu instid0(VALU_DEP_3) | instskip(NEXT) | instid1(VALU_DEP_4)
	v_dual_mov_b32 v2, v18 :: v_dual_mov_b32 v3, v19
	v_dual_mov_b32 v0, v20 :: v_dual_mov_b32 v1, v21
	s_delay_alu instid0(VALU_DEP_4) | instskip(NEXT) | instid1(VALU_DEP_4)
	v_dual_mov_b32 v10, v14 :: v_dual_mov_b32 v11, v15
	v_dual_mov_b32 v12, v16 :: v_dual_mov_b32 v13, v17
	s_and_not1_b32 vcc_lo, exec_lo, s2
	s_cbranch_vccz .LBB81_53
.LBB81_14:                              ; =>This Loop Header: Depth=1
                                        ;     Child Loop BB81_43 Depth 2
	s_sub_i32 s2, s22, s8
	s_delay_alu instid0(SALU_CYCLE_1) | instskip(NEXT) | instid1(SALU_CYCLE_1)
	s_and_b32 s3, s2, 0x1ff
	s_cmp_lg_u32 s3, 0
	s_cbranch_scc1 .LBB81_18
; %bb.15:                               ;   in Loop: Header=BB81_14 Depth=1
	v_mov_b32_e32 v6, 0
	v_dual_mov_b32 v7, 0 :: v_dual_mov_b32 v4, 0
	v_dual_mov_b32 v5, 0xbff00000 :: v_dual_mov_b32 v14, -1
	s_sub_u32 s26, s10, s22
	s_subb_u32 s27, s11, s23
	s_mov_b32 s2, exec_lo
	v_cmpx_gt_i64_e64 s[26:27], v[8:9]
	s_cbranch_execz .LBB81_17
; %bb.16:                               ;   in Loop: Header=BB81_14 Depth=1
	s_lshl_b64 s[26:27], s[22:23], 2
	s_delay_alu instid0(SALU_CYCLE_1)
	v_add_co_u32 v4, vcc_lo, v26, s26
	v_add_co_ci_u32_e32 v5, vcc_lo, s27, v27, vcc_lo
	s_lshl_b64 s[26:27], s[22:23], 4
	global_load_b32 v14, v[4:5], off
	v_add_co_u32 v4, vcc_lo, v28, s26
	v_add_co_ci_u32_e32 v5, vcc_lo, s27, v29, vcc_lo
	global_load_b128 v[4:7], v[4:5], off
	s_waitcnt vmcnt(1)
	v_subrev_nc_u32_e32 v14, s4, v14
.LBB81_17:                              ;   in Loop: Header=BB81_14 Depth=1
	s_or_b32 exec_lo, exec_lo, s2
	ds_store_b32 v25, v14
	s_waitcnt vmcnt(0)
	ds_store_b128 v24, v[4:7]
.LBB81_18:                              ;   in Loop: Header=BB81_14 Depth=1
	s_lshl_b32 s2, s3, 4
	s_waitcnt lgkmcnt(0)
	v_mov_b32_e32 v4, s2
	s_waitcnt_vscnt null, 0x0
	s_barrier
	buffer_gl0_inv
	s_lshl_b32 s3, s3, 2
	ds_load_b128 v[14:17], v4
	v_mov_b32_e32 v4, s3
	ds_load_b32 v4, v4 offset:8192
	s_waitcnt lgkmcnt(1)
	v_cmp_eq_f64_e32 vcc_lo, 0, v[14:15]
	v_cmp_eq_f64_e64 s2, 0, v[16:17]
	s_waitcnt lgkmcnt(0)
	v_readfirstlane_b32 s9, v4
	v_cmp_ne_u32_e64 s3, s12, v4
	s_delay_alu instid0(VALU_DEP_3) | instskip(NEXT) | instid1(VALU_DEP_2)
	s_and_b32 s2, vcc_lo, s2
	s_cmp_eq_u32 s9, s12
	s_cselect_b32 s26, -1, 0
	s_delay_alu instid0(SALU_CYCLE_1) | instskip(NEXT) | instid1(SALU_CYCLE_1)
	s_and_b32 s2, s2, s26
	s_and_b32 s2, s13, s2
	s_delay_alu instid0(SALU_CYCLE_1) | instskip(SKIP_4) | instid1(SALU_CYCLE_1)
	v_cndmask_b32_e64 v5, v17, 0, s2
	v_cndmask_b32_e64 v4, v16, 0, s2
	;; [unrolled: 1-line block ×4, first 2 shown]
	s_and_b32 s25, s1, s2
	s_and_saveexec_b32 s2, s25
	s_cbranch_execz .LBB81_22
; %bb.19:                               ;   in Loop: Header=BB81_14 Depth=1
	v_mbcnt_lo_u32_b32 v4, exec_lo, 0
	s_mov_b32 s25, exec_lo
	s_delay_alu instid0(VALU_DEP_1)
	v_cmpx_eq_u32_e32 0, v4
	s_cbranch_execz .LBB81_21
; %bb.20:                               ;   in Loop: Header=BB81_14 Depth=1
	v_mov_b32_e32 v4, s24
	global_atomic_min_i32 v9, v4, s[18:19]
.LBB81_21:                              ;   in Loop: Header=BB81_14 Depth=1
	s_or_b32 exec_lo, exec_lo, s25
	v_mov_b32_e32 v4, 0
	v_dual_mov_b32 v5, 0 :: v_dual_mov_b32 v6, 0
	v_mov_b32_e32 v7, 0x3ff00000
.LBB81_22:                              ;   in Loop: Header=BB81_14 Depth=1
	s_or_b32 exec_lo, exec_lo, s2
	s_cmp_lt_i32 s5, 1
	s_mov_b32 s2, 0
	s_cbranch_scc1 .LBB81_28
; %bb.23:                               ;   in Loop: Header=BB81_14 Depth=1
	s_cmp_eq_u32 s5, 1
	s_cbranch_scc0 .LBB81_29
; %bb.24:                               ;   in Loop: Header=BB81_14 Depth=1
	v_dual_mov_b32 v15, v11 :: v_dual_mov_b32 v14, v10
	v_dual_mov_b32 v17, v13 :: v_dual_mov_b32 v16, v12
	s_cmp_ge_i32 s9, s12
	s_mov_b32 s25, 0
	s_cbranch_scc0 .LBB81_31
; %bb.25:                               ;   in Loop: Header=BB81_14 Depth=1
	s_and_b32 vcc_lo, exec_lo, s26
	s_cbranch_vccz .LBB81_30
; %bb.26:                               ;   in Loop: Header=BB81_14 Depth=1
	v_dual_mov_b32 v15, v11 :: v_dual_mov_b32 v14, v10
	v_dual_mov_b32 v17, v13 :: v_dual_mov_b32 v16, v12
	s_and_not1_b32 vcc_lo, exec_lo, s13
	s_cbranch_vccnz .LBB81_31
; %bb.27:                               ;   in Loop: Header=BB81_14 Depth=1
	v_mul_f64 v[14:15], v[4:5], v[4:5]
	s_delay_alu instid0(VALU_DEP_1) | instskip(NEXT) | instid1(VALU_DEP_1)
	v_fma_f64 v[14:15], v[6:7], v[6:7], v[14:15]
	v_div_scale_f64 v[16:17], null, v[14:15], v[14:15], 1.0
	v_div_scale_f64 v[30:31], vcc_lo, 1.0, v[14:15], 1.0
	s_delay_alu instid0(VALU_DEP_2) | instskip(SKIP_2) | instid1(VALU_DEP_1)
	v_rcp_f64_e32 v[18:19], v[16:17]
	s_waitcnt_depctr 0xfff
	v_fma_f64 v[20:21], -v[16:17], v[18:19], 1.0
	v_fma_f64 v[18:19], v[18:19], v[20:21], v[18:19]
	s_delay_alu instid0(VALU_DEP_1) | instskip(NEXT) | instid1(VALU_DEP_1)
	v_fma_f64 v[20:21], -v[16:17], v[18:19], 1.0
	v_fma_f64 v[18:19], v[18:19], v[20:21], v[18:19]
	s_delay_alu instid0(VALU_DEP_1) | instskip(NEXT) | instid1(VALU_DEP_1)
	v_mul_f64 v[20:21], v[30:31], v[18:19]
	v_fma_f64 v[16:17], -v[16:17], v[20:21], v[30:31]
	s_delay_alu instid0(VALU_DEP_1) | instskip(SKIP_2) | instid1(VALU_DEP_3)
	v_div_fmas_f64 v[16:17], v[16:17], v[18:19], v[20:21]
	v_fma_f64 v[18:19], v[4:5], 0, v[6:7]
	v_fma_f64 v[20:21], v[6:7], 0, -v[4:5]
	v_div_fixup_f64 v[14:15], v[16:17], v[14:15], 1.0
	s_delay_alu instid0(VALU_DEP_1) | instskip(NEXT) | instid1(VALU_DEP_3)
	v_mul_f64 v[16:17], v[18:19], v[14:15]
	v_mul_f64 v[14:15], v[20:21], v[14:15]
	s_branch .LBB81_31
.LBB81_28:                              ;   in Loop: Header=BB81_14 Depth=1
	s_mov_b32 s25, 0
                                        ; implicit-def: $sgpr26
                                        ; implicit-def: $vgpr18_vgpr19
                                        ; implicit-def: $vgpr20_vgpr21
                                        ; implicit-def: $vgpr14_vgpr15
                                        ; implicit-def: $vgpr16_vgpr17
	s_cbranch_execnz .LBB81_32
	s_branch .LBB81_34
.LBB81_29:                              ;   in Loop: Header=BB81_14 Depth=1
	s_mov_b32 s25, -1
                                        ; implicit-def: $sgpr26
                                        ; implicit-def: $vgpr18_vgpr19
                                        ; implicit-def: $vgpr20_vgpr21
                                        ; implicit-def: $vgpr14_vgpr15
                                        ; implicit-def: $vgpr16_vgpr17
	s_branch .LBB81_34
.LBB81_30:                              ;   in Loop: Header=BB81_14 Depth=1
	s_mov_b32 s25, -1
                                        ; implicit-def: $vgpr14_vgpr15
                                        ; implicit-def: $vgpr16_vgpr17
.LBB81_31:                              ;   in Loop: Header=BB81_14 Depth=1
	v_dual_mov_b32 v19, v3 :: v_dual_mov_b32 v18, v2
	v_dual_mov_b32 v21, v1 :: v_dual_mov_b32 v20, v0
	s_mov_b32 s26, 4
	s_branch .LBB81_34
.LBB81_32:                              ;   in Loop: Header=BB81_14 Depth=1
	s_cmp_eq_u32 s5, 0
	s_cbranch_scc1 .LBB81_38
; %bb.33:                               ;   in Loop: Header=BB81_14 Depth=1
	s_mov_b32 s25, -1
                                        ; implicit-def: $sgpr26
                                        ; implicit-def: $vgpr18_vgpr19
                                        ; implicit-def: $vgpr20_vgpr21
                                        ; implicit-def: $vgpr14_vgpr15
                                        ; implicit-def: $vgpr16_vgpr17
.LBB81_34:                              ;   in Loop: Header=BB81_14 Depth=1
	s_delay_alu instid0(SALU_CYCLE_1)
	s_and_b32 vcc_lo, exec_lo, s25
	s_cbranch_vccnz .LBB81_41
.LBB81_35:                              ;   in Loop: Header=BB81_14 Depth=1
	s_and_b32 vcc_lo, exec_lo, s2
	s_cbranch_vccnz .LBB81_47
.LBB81_36:                              ;   in Loop: Header=BB81_14 Depth=1
	s_cmp_gt_i32 s26, 3
	s_mov_b32 s2, -1
	s_cbranch_scc1 .LBB81_50
.LBB81_37:                              ;   in Loop: Header=BB81_14 Depth=1
	s_cmp_eq_u32 s26, 0
	s_cselect_b32 s3, -1, 0
	s_delay_alu instid0(SALU_CYCLE_1)
	s_and_not1_b32 vcc_lo, exec_lo, s3
	s_cbranch_vccz .LBB81_12
	s_branch .LBB81_51
.LBB81_38:                              ;   in Loop: Header=BB81_14 Depth=1
	s_cmp_le_i32 s9, s12
	s_mov_b32 s25, 0
	s_cbranch_scc0 .LBB81_40
; %bb.39:                               ;   in Loop: Header=BB81_14 Depth=1
	s_mov_b32 s2, -1
	s_mov_b32 s25, s3
.LBB81_40:                              ;   in Loop: Header=BB81_14 Depth=1
	v_dual_mov_b32 v19, v3 :: v_dual_mov_b32 v18, v2
	v_dual_mov_b32 v21, v1 :: v_dual_mov_b32 v20, v0
	;; [unrolled: 1-line block ×4, first 2 shown]
	s_mov_b32 s26, 2
	s_and_b32 vcc_lo, exec_lo, s25
	s_cbranch_vccz .LBB81_35
.LBB81_41:                              ;   in Loop: Header=BB81_14 Depth=1
	s_and_saveexec_b32 s25, s1
	s_cbranch_execz .LBB81_44
; %bb.42:                               ;   in Loop: Header=BB81_14 Depth=1
	s_add_i32 s2, s9, s7
	s_delay_alu instid0(SALU_CYCLE_1) | instskip(NEXT) | instid1(SALU_CYCLE_1)
	s_ashr_i32 s3, s2, 31
	s_lshl_b64 s[2:3], s[2:3], 2
	s_delay_alu instid0(SALU_CYCLE_1)
	s_add_u32 s2, s16, s2
	s_addc_u32 s3, s17, s3
	global_load_b32 v14, v9, s[2:3] glc
	s_waitcnt vmcnt(0)
	v_cmp_ne_u32_e32 vcc_lo, 0, v14
	s_cbranch_vccnz .LBB81_44
.LBB81_43:                              ;   Parent Loop BB81_14 Depth=1
                                        ; =>  This Inner Loop Header: Depth=2
	global_load_b32 v14, v9, s[2:3] glc
	s_waitcnt vmcnt(0)
	v_cmp_eq_u32_e32 vcc_lo, 0, v14
	s_cbranch_vccnz .LBB81_43
.LBB81_44:                              ;   in Loop: Header=BB81_14 Depth=1
	s_or_b32 exec_lo, exec_lo, s25
	v_mov_b32_e32 v18, 0
	v_mov_b32_e32 v19, 0
	s_waitcnt_vscnt null, 0x0
	s_barrier
	buffer_gl0_inv
	buffer_gl1_inv
	buffer_gl0_inv
	v_dual_mov_b32 v21, v19 :: v_dual_mov_b32 v20, v18
	s_and_saveexec_b32 s2, s0
	s_cbranch_execz .LBB81_46
; %bb.45:                               ;   in Loop: Header=BB81_14 Depth=1
	s_mul_i32 s3, s9, s21
	s_mul_hi_u32 s25, s9, s20
	s_ashr_i32 s26, s9, 31
	s_add_i32 s3, s25, s3
	s_mul_i32 s26, s26, s20
	s_delay_alu instid0(SALU_CYCLE_1) | instskip(SKIP_1) | instid1(SALU_CYCLE_1)
	s_add_i32 s27, s3, s26
	s_mul_i32 s26, s9, s20
	s_lshl_b64 s[26:27], s[26:27], 4
	s_delay_alu instid0(SALU_CYCLE_1)
	v_add_co_u32 v14, vcc_lo, v22, s26
	v_add_co_ci_u32_e32 v15, vcc_lo, s27, v23, vcc_lo
	global_load_b128 v[14:17], v[14:15], off
	s_waitcnt vmcnt(0)
	v_fma_f64 v[18:19], -v[6:7], v[14:15], v[0:1]
	v_fma_f64 v[14:15], -v[4:5], v[14:15], v[2:3]
	s_delay_alu instid0(VALU_DEP_2) | instskip(NEXT) | instid1(VALU_DEP_2)
	v_fma_f64 v[20:21], v[4:5], v[16:17], v[18:19]
	v_fma_f64 v[18:19], -v[6:7], v[16:17], v[14:15]
.LBB81_46:                              ;   in Loop: Header=BB81_14 Depth=1
	s_or_b32 exec_lo, exec_lo, s2
	v_dual_mov_b32 v15, v11 :: v_dual_mov_b32 v14, v10
	v_dual_mov_b32 v17, v13 :: v_dual_mov_b32 v16, v12
	s_mov_b32 s26, 0
	s_branch .LBB81_36
.LBB81_47:                              ;   in Loop: Header=BB81_14 Depth=1
	s_and_not1_b32 vcc_lo, exec_lo, s13
	s_cbranch_vccnz .LBB81_49
; %bb.48:                               ;   in Loop: Header=BB81_14 Depth=1
	v_mul_f64 v[10:11], v[4:5], v[4:5]
	s_delay_alu instid0(VALU_DEP_1) | instskip(NEXT) | instid1(VALU_DEP_1)
	v_fma_f64 v[10:11], v[6:7], v[6:7], v[10:11]
	v_div_scale_f64 v[12:13], null, v[10:11], v[10:11], 1.0
	v_div_scale_f64 v[18:19], vcc_lo, 1.0, v[10:11], 1.0
	s_delay_alu instid0(VALU_DEP_2) | instskip(SKIP_2) | instid1(VALU_DEP_1)
	v_rcp_f64_e32 v[14:15], v[12:13]
	s_waitcnt_depctr 0xfff
	v_fma_f64 v[16:17], -v[12:13], v[14:15], 1.0
	v_fma_f64 v[14:15], v[14:15], v[16:17], v[14:15]
	s_delay_alu instid0(VALU_DEP_1) | instskip(NEXT) | instid1(VALU_DEP_1)
	v_fma_f64 v[16:17], -v[12:13], v[14:15], 1.0
	v_fma_f64 v[14:15], v[14:15], v[16:17], v[14:15]
	s_delay_alu instid0(VALU_DEP_1) | instskip(NEXT) | instid1(VALU_DEP_1)
	v_mul_f64 v[16:17], v[18:19], v[14:15]
	v_fma_f64 v[12:13], -v[12:13], v[16:17], v[18:19]
	s_delay_alu instid0(VALU_DEP_1) | instskip(SKIP_2) | instid1(VALU_DEP_3)
	v_div_fmas_f64 v[12:13], v[12:13], v[14:15], v[16:17]
	v_fma_f64 v[14:15], v[4:5], 0, v[6:7]
	v_fma_f64 v[4:5], v[6:7], 0, -v[4:5]
	v_div_fixup_f64 v[10:11], v[12:13], v[10:11], 1.0
	s_delay_alu instid0(VALU_DEP_1) | instskip(NEXT) | instid1(VALU_DEP_3)
	v_mul_f64 v[12:13], v[14:15], v[10:11]
	v_mul_f64 v[10:11], v[4:5], v[10:11]
.LBB81_49:                              ;   in Loop: Header=BB81_14 Depth=1
	s_delay_alu instid0(VALU_DEP_2) | instskip(NEXT) | instid1(VALU_DEP_2)
	v_dual_mov_b32 v17, v13 :: v_dual_mov_b32 v16, v12
	v_dual_mov_b32 v15, v11 :: v_dual_mov_b32 v14, v10
	;; [unrolled: 1-line block ×4, first 2 shown]
	s_mov_b32 s26, 2
	s_delay_alu instid0(SALU_CYCLE_1)
	s_cmp_gt_i32 s26, 3
	s_mov_b32 s2, -1
	s_cbranch_scc0 .LBB81_37
.LBB81_50:                              ;   in Loop: Header=BB81_14 Depth=1
	s_branch .LBB81_12
.LBB81_51:                              ;   in Loop: Header=BB81_14 Depth=1
                                        ; implicit-def: $sgpr22_sgpr23
	s_branch .LBB81_13
.LBB81_52:
	v_mov_b32_e32 v14, 0
	v_dual_mov_b32 v15, 0 :: v_dual_mov_b32 v16, 0
	v_mov_b32_e32 v17, 0x3ff00000
	s_cmp_lg_u32 s6, 0
	s_cbranch_scc1 .LBB81_55
	s_branch .LBB81_54
.LBB81_53:
	v_dual_mov_b32 v2, v18 :: v_dual_mov_b32 v3, v19
	v_dual_mov_b32 v0, v20 :: v_dual_mov_b32 v1, v21
	s_cmp_lg_u32 s6, 0
	s_cbranch_scc1 .LBB81_55
.LBB81_54:
	s_delay_alu instid0(VALU_DEP_2) | instskip(NEXT) | instid1(VALU_DEP_2)
	v_mul_f64 v[4:5], v[14:15], -v[2:3]
	v_mul_f64 v[6:7], v[14:15], v[0:1]
	s_delay_alu instid0(VALU_DEP_2) | instskip(NEXT) | instid1(VALU_DEP_2)
	v_fma_f64 v[0:1], v[0:1], v[16:17], v[4:5]
	v_fma_f64 v[2:3], v[2:3], v[16:17], v[6:7]
.LBB81_55:
	s_and_saveexec_b32 s1, s0
	s_cbranch_execz .LBB81_57
; %bb.56:
	s_lshl_b64 s[2:3], s[14:15], 4
	s_delay_alu instid0(SALU_CYCLE_1)
	v_add_co_u32 v4, vcc_lo, v22, s2
	v_add_co_ci_u32_e32 v5, vcc_lo, s3, v23, vcc_lo
	global_store_b128 v[4:5], v[0:3], off
.LBB81_57:
	s_or_b32 exec_lo, exec_lo, s1
	s_waitcnt_vscnt null, 0x0
	buffer_gl1_inv
	buffer_gl0_inv
	s_barrier
	buffer_gl0_inv
	s_mov_b32 s0, exec_lo
	v_cmpx_eq_u32_e32 0, v8
	s_cbranch_execz .LBB81_59
; %bb.58:
	s_add_i32 s0, s12, s7
	v_dual_mov_b32 v0, 0 :: v_dual_mov_b32 v1, 1
	s_ashr_i32 s1, s0, 31
	s_delay_alu instid0(SALU_CYCLE_1) | instskip(NEXT) | instid1(SALU_CYCLE_1)
	s_lshl_b64 s[0:1], s[0:1], 2
	s_add_u32 s0, s16, s0
	s_addc_u32 s1, s17, s1
	global_store_b32 v0, v1, s[0:1]
.LBB81_59:
	s_nop 0
	s_sendmsg sendmsg(MSG_DEALLOC_VGPRS)
	s_endpgm
	.section	.rodata,"a",@progbits
	.p2align	6, 0x0
	.amdhsa_kernel _ZN9rocsparseL5csrsmILj512ELj64ELb0Eli21rocsparse_complex_numIdEEEv20rocsparse_operation_T3_S4_NS_24const_host_device_scalarIT4_EEPKT2_PKS4_PKS6_PS6_lPiSC_PS4_21rocsparse_index_base_20rocsparse_fill_mode_20rocsparse_diag_type_b
		.amdhsa_group_segment_fixed_size 14336
		.amdhsa_private_segment_fixed_size 0
		.amdhsa_kernarg_size 112
		.amdhsa_user_sgpr_count 15
		.amdhsa_user_sgpr_dispatch_ptr 1
		.amdhsa_user_sgpr_queue_ptr 0
		.amdhsa_user_sgpr_kernarg_segment_ptr 1
		.amdhsa_user_sgpr_dispatch_id 0
		.amdhsa_user_sgpr_private_segment_size 0
		.amdhsa_wavefront_size32 1
		.amdhsa_uses_dynamic_stack 0
		.amdhsa_enable_private_segment 0
		.amdhsa_system_sgpr_workgroup_id_x 1
		.amdhsa_system_sgpr_workgroup_id_y 0
		.amdhsa_system_sgpr_workgroup_id_z 0
		.amdhsa_system_sgpr_workgroup_info 0
		.amdhsa_system_vgpr_workitem_id 2
		.amdhsa_next_free_vgpr 32
		.amdhsa_next_free_sgpr 28
		.amdhsa_reserve_vcc 1
		.amdhsa_float_round_mode_32 0
		.amdhsa_float_round_mode_16_64 0
		.amdhsa_float_denorm_mode_32 3
		.amdhsa_float_denorm_mode_16_64 3
		.amdhsa_dx10_clamp 1
		.amdhsa_ieee_mode 1
		.amdhsa_fp16_overflow 0
		.amdhsa_workgroup_processor_mode 1
		.amdhsa_memory_ordered 1
		.amdhsa_forward_progress 0
		.amdhsa_shared_vgpr_count 0
		.amdhsa_exception_fp_ieee_invalid_op 0
		.amdhsa_exception_fp_denorm_src 0
		.amdhsa_exception_fp_ieee_div_zero 0
		.amdhsa_exception_fp_ieee_overflow 0
		.amdhsa_exception_fp_ieee_underflow 0
		.amdhsa_exception_fp_ieee_inexact 0
		.amdhsa_exception_int_div_zero 0
	.end_amdhsa_kernel
	.section	.text._ZN9rocsparseL5csrsmILj512ELj64ELb0Eli21rocsparse_complex_numIdEEEv20rocsparse_operation_T3_S4_NS_24const_host_device_scalarIT4_EEPKT2_PKS4_PKS6_PS6_lPiSC_PS4_21rocsparse_index_base_20rocsparse_fill_mode_20rocsparse_diag_type_b,"axG",@progbits,_ZN9rocsparseL5csrsmILj512ELj64ELb0Eli21rocsparse_complex_numIdEEEv20rocsparse_operation_T3_S4_NS_24const_host_device_scalarIT4_EEPKT2_PKS4_PKS6_PS6_lPiSC_PS4_21rocsparse_index_base_20rocsparse_fill_mode_20rocsparse_diag_type_b,comdat
.Lfunc_end81:
	.size	_ZN9rocsparseL5csrsmILj512ELj64ELb0Eli21rocsparse_complex_numIdEEEv20rocsparse_operation_T3_S4_NS_24const_host_device_scalarIT4_EEPKT2_PKS4_PKS6_PS6_lPiSC_PS4_21rocsparse_index_base_20rocsparse_fill_mode_20rocsparse_diag_type_b, .Lfunc_end81-_ZN9rocsparseL5csrsmILj512ELj64ELb0Eli21rocsparse_complex_numIdEEEv20rocsparse_operation_T3_S4_NS_24const_host_device_scalarIT4_EEPKT2_PKS4_PKS6_PS6_lPiSC_PS4_21rocsparse_index_base_20rocsparse_fill_mode_20rocsparse_diag_type_b
                                        ; -- End function
	.section	.AMDGPU.csdata,"",@progbits
; Kernel info:
; codeLenInByte = 2520
; NumSgprs: 30
; NumVgprs: 32
; ScratchSize: 0
; MemoryBound: 1
; FloatMode: 240
; IeeeMode: 1
; LDSByteSize: 14336 bytes/workgroup (compile time only)
; SGPRBlocks: 3
; VGPRBlocks: 3
; NumSGPRsForWavesPerEU: 30
; NumVGPRsForWavesPerEU: 32
; Occupancy: 16
; WaveLimiterHint : 1
; COMPUTE_PGM_RSRC2:SCRATCH_EN: 0
; COMPUTE_PGM_RSRC2:USER_SGPR: 15
; COMPUTE_PGM_RSRC2:TRAP_HANDLER: 0
; COMPUTE_PGM_RSRC2:TGID_X_EN: 1
; COMPUTE_PGM_RSRC2:TGID_Y_EN: 0
; COMPUTE_PGM_RSRC2:TGID_Z_EN: 0
; COMPUTE_PGM_RSRC2:TIDIG_COMP_CNT: 2
	.section	.text._ZN9rocsparseL5csrsmILj1024ELj64ELb1Eli21rocsparse_complex_numIdEEEv20rocsparse_operation_T3_S4_NS_24const_host_device_scalarIT4_EEPKT2_PKS4_PKS6_PS6_lPiSC_PS4_21rocsparse_index_base_20rocsparse_fill_mode_20rocsparse_diag_type_b,"axG",@progbits,_ZN9rocsparseL5csrsmILj1024ELj64ELb1Eli21rocsparse_complex_numIdEEEv20rocsparse_operation_T3_S4_NS_24const_host_device_scalarIT4_EEPKT2_PKS4_PKS6_PS6_lPiSC_PS4_21rocsparse_index_base_20rocsparse_fill_mode_20rocsparse_diag_type_b,comdat
	.globl	_ZN9rocsparseL5csrsmILj1024ELj64ELb1Eli21rocsparse_complex_numIdEEEv20rocsparse_operation_T3_S4_NS_24const_host_device_scalarIT4_EEPKT2_PKS4_PKS6_PS6_lPiSC_PS4_21rocsparse_index_base_20rocsparse_fill_mode_20rocsparse_diag_type_b ; -- Begin function _ZN9rocsparseL5csrsmILj1024ELj64ELb1Eli21rocsparse_complex_numIdEEEv20rocsparse_operation_T3_S4_NS_24const_host_device_scalarIT4_EEPKT2_PKS4_PKS6_PS6_lPiSC_PS4_21rocsparse_index_base_20rocsparse_fill_mode_20rocsparse_diag_type_b
	.p2align	8
	.type	_ZN9rocsparseL5csrsmILj1024ELj64ELb1Eli21rocsparse_complex_numIdEEEv20rocsparse_operation_T3_S4_NS_24const_host_device_scalarIT4_EEPKT2_PKS4_PKS6_PS6_lPiSC_PS4_21rocsparse_index_base_20rocsparse_fill_mode_20rocsparse_diag_type_b,@function
_ZN9rocsparseL5csrsmILj1024ELj64ELb1Eli21rocsparse_complex_numIdEEEv20rocsparse_operation_T3_S4_NS_24const_host_device_scalarIT4_EEPKT2_PKS4_PKS6_PS6_lPiSC_PS4_21rocsparse_index_base_20rocsparse_fill_mode_20rocsparse_diag_type_b: ; @_ZN9rocsparseL5csrsmILj1024ELj64ELb1Eli21rocsparse_complex_numIdEEEv20rocsparse_operation_T3_S4_NS_24const_host_device_scalarIT4_EEPKT2_PKS4_PKS6_PS6_lPiSC_PS4_21rocsparse_index_base_20rocsparse_fill_mode_20rocsparse_diag_type_b
; %bb.0:
	s_load_b64 s[0:1], s[0:1], 0x4
	s_load_b128 s[8:11], s[2:3], 0x10
	v_and_b32_e32 v8, 0x3ff, v0
	s_load_b128 s[4:7], s[2:3], 0x60
	v_bfe_u32 v2, v0, 10, 10
	v_bfe_u32 v0, v0, 20, 10
	s_mov_b64 s[12:13], src_shared_base
	s_waitcnt lgkmcnt(0)
	s_lshr_b32 s0, s0, 16
	s_delay_alu instid0(SALU_CYCLE_1) | instskip(NEXT) | instid1(SALU_CYCLE_1)
	s_mul_i32 s0, s0, s1
	v_mul_lo_u32 v1, s0, v8
	s_and_b32 s0, 1, s7
	s_delay_alu instid0(SALU_CYCLE_1) | instskip(SKIP_1) | instid1(VALU_DEP_1)
	s_cmp_eq_u32 s0, 1
	s_cselect_b32 vcc_lo, -1, 0
	v_mad_u32_u24 v1, v2, s1, v1
	s_load_b64 s[0:1], s[2:3], 0x20
	v_dual_mov_b32 v2, s8 :: v_dual_mov_b32 v3, s9
	v_dual_mov_b32 v6, s10 :: v_dual_mov_b32 v7, s11
	s_delay_alu instid0(VALU_DEP_3) | instskip(NEXT) | instid1(VALU_DEP_1)
	v_add_lshl_u32 v4, v1, v0, 3
	v_add_nc_u32_e32 v0, 0x5000, v4
	ds_store_b64 v4, v[2:3] offset:20480
	v_cndmask_b32_e32 v0, s8, v0, vcc_lo
	s_and_b32 vcc_lo, vcc_lo, exec_lo
	s_cselect_b32 s7, s13, s9
	s_delay_alu instid0(SALU_CYCLE_1)
	v_mov_b32_e32 v1, s7
	flat_load_b64 v[4:5], v[0:1]
	s_clause 0x1
	s_load_b64 s[22:23], s[2:3], 0x50
	s_load_b64 s[12:13], s[2:3], 0x38
	s_cbranch_vccnz .LBB82_2
; %bb.1:
	v_dual_mov_b32 v0, s8 :: v_dual_mov_b32 v1, s9
	flat_load_b64 v[6:7], v[0:1] offset:8
.LBB82_2:
	s_clause 0x1
	s_load_b128 s[16:19], s[2:3], 0x0
	s_load_b64 s[20:21], s[2:3], 0x40
	s_waitcnt lgkmcnt(0)
	v_cvt_f32_u32_e32 v0, s17
	s_sub_i32 s8, 0, s17
	s_delay_alu instid0(VALU_DEP_1) | instskip(SKIP_2) | instid1(VALU_DEP_1)
	v_rcp_iflag_f32_e32 v0, v0
	s_waitcnt_depctr 0xfff
	v_mul_f32_e32 v0, 0x4f7ffffe, v0
	v_cvt_u32_f32_e32 v0, v0
	s_delay_alu instid0(VALU_DEP_1) | instskip(NEXT) | instid1(VALU_DEP_1)
	v_readfirstlane_b32 s7, v0
	s_mul_i32 s8, s8, s7
	s_delay_alu instid0(SALU_CYCLE_1) | instskip(NEXT) | instid1(SALU_CYCLE_1)
	s_mul_hi_u32 s8, s7, s8
	s_add_i32 s7, s7, s8
	s_delay_alu instid0(SALU_CYCLE_1) | instskip(NEXT) | instid1(SALU_CYCLE_1)
	s_mul_hi_u32 s7, s15, s7
	s_mul_i32 s8, s7, s17
	s_add_i32 s9, s7, 1
	s_sub_i32 s8, s15, s8
	s_delay_alu instid0(SALU_CYCLE_1)
	s_sub_i32 s10, s8, s17
	s_cmp_ge_u32 s8, s17
	s_cselect_b32 s7, s9, s7
	s_cselect_b32 s8, s10, s8
	s_add_i32 s9, s7, 1
	s_cmp_ge_u32 s8, s17
	s_cselect_b32 s10, s9, s7
	s_delay_alu instid0(SALU_CYCLE_1) | instskip(SKIP_2) | instid1(SALU_CYCLE_1)
	s_mul_i32 s7, s10, s17
	v_lshl_or_b32 v12, s10, 10, v8
	s_sub_i32 s8, s15, s7
	s_ashr_i32 s9, s8, 31
	s_delay_alu instid0(VALU_DEP_1) | instskip(SKIP_1) | instid1(SALU_CYCLE_1)
	v_ashrrev_i32_e32 v13, 31, v12
	s_lshl_b64 s[8:9], s[8:9], 2
	s_add_u32 s8, s22, s8
	s_addc_u32 s9, s23, s9
	s_load_b32 s14, s[8:9], 0x0
	s_waitcnt lgkmcnt(0)
	s_ashr_i32 s15, s14, 31
	v_mad_u64_u32 v[10:11], null, s14, s20, v[12:13]
	s_lshl_b64 s[8:9], s[14:15], 3
	s_delay_alu instid0(SALU_CYCLE_1)
	s_add_u32 s0, s0, s8
	s_addc_u32 s1, s1, s9
	s_cmpk_lg_i32 s16, 0x71
	s_load_b128 s[8:11], s[0:1], 0x0
	s_mul_i32 s0, s15, s20
	s_mul_i32 s1, s14, s21
	s_delay_alu instid0(SALU_CYCLE_1)
	v_add3_u32 v11, s1, s0, v11
	v_cmp_gt_i32_e64 s0, s18, v12
	s_cbranch_scc0 .LBB82_51
; %bb.3:
	v_mov_b32_e32 v2, 0
	v_mov_b32_e32 v3, 0
	s_delay_alu instid0(VALU_DEP_1)
	v_dual_mov_b32 v0, v2 :: v_dual_mov_b32 v1, v3
	s_and_saveexec_b32 s1, s0
	s_cbranch_execz .LBB82_5
; %bb.4:
	v_lshlrev_b64 v[0:1], 4, v[10:11]
	s_delay_alu instid0(VALU_DEP_1) | instskip(NEXT) | instid1(VALU_DEP_2)
	v_add_co_u32 v0, vcc_lo, s12, v0
	v_add_co_ci_u32_e32 v1, vcc_lo, s13, v1, vcc_lo
	global_load_b128 v[14:17], v[0:1], off
	s_waitcnt vmcnt(0)
	v_mul_f64 v[0:1], v[16:17], -v[6:7]
	v_mul_f64 v[2:3], v[4:5], v[16:17]
	s_delay_alu instid0(VALU_DEP_2) | instskip(NEXT) | instid1(VALU_DEP_2)
	v_fma_f64 v[0:1], v[4:5], v[14:15], v[0:1]
	v_fma_f64 v[2:3], v[6:7], v[14:15], v[2:3]
.LBB82_5:
	s_or_b32 exec_lo, exec_lo, s1
	s_load_b64 s[16:17], s[2:3], 0x48
	s_cbranch_execz .LBB82_52
; %bb.6:
	s_waitcnt lgkmcnt(0)
	v_cmp_ge_i64_e64 s1, s[8:9], s[10:11]
	s_delay_alu instid0(VALU_DEP_1)
	s_and_b32 vcc_lo, exec_lo, s1
	v_cmp_eq_u32_e64 s1, 0, v8
	s_cbranch_vccnz .LBB82_55
.LBB82_7:
	s_clause 0x1
	s_load_b128 s[24:27], s[2:3], 0x28
	s_load_b64 s[18:19], s[2:3], 0x58
	s_waitcnt vmcnt(0)
	v_dual_mov_b32 v9, 0 :: v_dual_lshlrev_b32 v6, 2, v8
	v_lshlrev_b64 v[4:5], 4, v[12:13]
	v_lshlrev_b32_e32 v24, 4, v8
	s_sub_u32 s8, s8, s4
	v_mov_b32_e32 v12, 0
	s_subb_u32 s9, s9, 0
	v_mov_b32_e32 v13, 0
	v_add_co_u32 v26, vcc_lo, s12, v4
	s_sub_u32 s10, s10, s4
	v_mov_b32_e32 v14, 0
	v_mov_b32_e32 v15, 0x3ff00000
	s_subb_u32 s11, s11, 0
	v_or_b32_e32 v25, 0x4000, v6
	v_add_co_ci_u32_e32 v27, vcc_lo, s13, v5, vcc_lo
	s_cmp_eq_u32 s6, 0
	s_waitcnt lgkmcnt(0)
	v_add_co_u32 v28, s2, s24, v6
	s_delay_alu instid0(VALU_DEP_1) | instskip(SKIP_1) | instid1(VALU_DEP_1)
	v_add_co_ci_u32_e64 v29, null, s25, 0, s2
	v_add_co_u32 v30, s2, s26, v24
	v_add_co_ci_u32_e64 v31, null, s27, 0, s2
	s_cselect_b32 s15, -1, 0
	s_add_i32 s24, s14, s4
	s_mov_b64 s[22:23], s[8:9]
	s_branch .LBB82_10
.LBB82_8:                               ;   in Loop: Header=BB82_10 Depth=1
	s_add_u32 s22, s22, 1
	s_addc_u32 s23, s23, 0
	s_delay_alu instid0(SALU_CYCLE_1)
	v_cmp_ge_i64_e64 s2, s[22:23], s[10:11]
.LBB82_9:                               ;   in Loop: Header=BB82_10 Depth=1
	s_delay_alu instid0(VALU_DEP_3) | instskip(NEXT) | instid1(VALU_DEP_4)
	v_dual_mov_b32 v2, v20 :: v_dual_mov_b32 v3, v21
	v_dual_mov_b32 v0, v22 :: v_dual_mov_b32 v1, v23
	s_delay_alu instid0(VALU_DEP_4) | instskip(NEXT) | instid1(VALU_DEP_4)
	v_dual_mov_b32 v12, v16 :: v_dual_mov_b32 v13, v17
	v_dual_mov_b32 v14, v18 :: v_dual_mov_b32 v15, v19
	s_and_not1_b32 vcc_lo, exec_lo, s2
	s_cbranch_vccz .LBB82_56
.LBB82_10:                              ; =>This Loop Header: Depth=1
                                        ;     Child Loop BB82_49 Depth 2
                                        ;       Child Loop BB82_50 Depth 3
	s_sub_i32 s2, s22, s8
	s_delay_alu instid0(SALU_CYCLE_1) | instskip(NEXT) | instid1(SALU_CYCLE_1)
	s_and_b32 s3, s2, 0x3ff
	s_cmp_lg_u32 s3, 0
	s_cbranch_scc1 .LBB82_14
; %bb.11:                               ;   in Loop: Header=BB82_10 Depth=1
	v_mov_b32_e32 v6, 0
	v_dual_mov_b32 v7, 0 :: v_dual_mov_b32 v4, 0
	v_dual_mov_b32 v5, 0xbff00000 :: v_dual_mov_b32 v16, -1
	s_sub_u32 s26, s10, s22
	s_subb_u32 s27, s11, s23
	s_mov_b32 s2, exec_lo
	v_cmpx_gt_i64_e64 s[26:27], v[8:9]
	s_cbranch_execz .LBB82_13
; %bb.12:                               ;   in Loop: Header=BB82_10 Depth=1
	s_lshl_b64 s[26:27], s[22:23], 2
	s_delay_alu instid0(SALU_CYCLE_1)
	v_add_co_u32 v4, vcc_lo, v28, s26
	v_add_co_ci_u32_e32 v5, vcc_lo, s27, v29, vcc_lo
	s_lshl_b64 s[26:27], s[22:23], 4
	global_load_b32 v16, v[4:5], off
	v_add_co_u32 v4, vcc_lo, v30, s26
	v_add_co_ci_u32_e32 v5, vcc_lo, s27, v31, vcc_lo
	global_load_b128 v[4:7], v[4:5], off
	s_waitcnt vmcnt(1)
	v_subrev_nc_u32_e32 v16, s4, v16
.LBB82_13:                              ;   in Loop: Header=BB82_10 Depth=1
	s_or_b32 exec_lo, exec_lo, s2
	ds_store_b32 v25, v16
	s_waitcnt vmcnt(0)
	ds_store_b128 v24, v[4:7]
.LBB82_14:                              ;   in Loop: Header=BB82_10 Depth=1
	s_lshl_b32 s2, s3, 4
	s_waitcnt lgkmcnt(0)
	v_mov_b32_e32 v4, s2
	s_waitcnt_vscnt null, 0x0
	s_barrier
	buffer_gl0_inv
	s_lshl_b32 s3, s3, 2
	ds_load_b128 v[16:19], v4
	v_mov_b32_e32 v4, s3
	ds_load_b32 v4, v4 offset:16384
	s_waitcnt lgkmcnt(1)
	v_cmp_eq_f64_e32 vcc_lo, 0, v[16:17]
	v_cmp_eq_f64_e64 s2, 0, v[18:19]
	s_waitcnt lgkmcnt(0)
	v_readfirstlane_b32 s9, v4
	v_cmp_ne_u32_e64 s3, s14, v4
	s_delay_alu instid0(VALU_DEP_3) | instskip(NEXT) | instid1(VALU_DEP_2)
	s_and_b32 s2, vcc_lo, s2
	s_cmp_eq_u32 s9, s14
	s_cselect_b32 s26, -1, 0
	s_delay_alu instid0(SALU_CYCLE_1) | instskip(NEXT) | instid1(SALU_CYCLE_1)
	s_and_b32 s2, s2, s26
	s_and_b32 s2, s15, s2
	s_delay_alu instid0(SALU_CYCLE_1) | instskip(SKIP_4) | instid1(SALU_CYCLE_1)
	v_cndmask_b32_e64 v5, v19, 0, s2
	v_cndmask_b32_e64 v4, v18, 0, s2
	;; [unrolled: 1-line block ×4, first 2 shown]
	s_and_b32 s25, s1, s2
	s_and_saveexec_b32 s2, s25
	s_cbranch_execz .LBB82_18
; %bb.15:                               ;   in Loop: Header=BB82_10 Depth=1
	v_mbcnt_lo_u32_b32 v4, exec_lo, 0
	s_mov_b32 s25, exec_lo
	s_delay_alu instid0(VALU_DEP_1)
	v_cmpx_eq_u32_e32 0, v4
	s_cbranch_execz .LBB82_17
; %bb.16:                               ;   in Loop: Header=BB82_10 Depth=1
	v_mov_b32_e32 v4, s24
	global_atomic_min_i32 v9, v4, s[18:19]
.LBB82_17:                              ;   in Loop: Header=BB82_10 Depth=1
	s_or_b32 exec_lo, exec_lo, s25
	v_mov_b32_e32 v4, 0
	v_dual_mov_b32 v5, 0 :: v_dual_mov_b32 v6, 0
	v_mov_b32_e32 v7, 0x3ff00000
.LBB82_18:                              ;   in Loop: Header=BB82_10 Depth=1
	s_or_b32 exec_lo, exec_lo, s2
	s_cmp_lt_i32 s5, 1
	s_mov_b32 s2, 0
	s_cbranch_scc1 .LBB82_24
; %bb.19:                               ;   in Loop: Header=BB82_10 Depth=1
	s_cmp_eq_u32 s5, 1
	s_cbranch_scc0 .LBB82_25
; %bb.20:                               ;   in Loop: Header=BB82_10 Depth=1
	v_dual_mov_b32 v17, v13 :: v_dual_mov_b32 v16, v12
	v_dual_mov_b32 v19, v15 :: v_dual_mov_b32 v18, v14
	s_cmp_ge_i32 s9, s14
	s_mov_b32 s25, 0
	s_cbranch_scc0 .LBB82_27
; %bb.21:                               ;   in Loop: Header=BB82_10 Depth=1
	s_and_b32 vcc_lo, exec_lo, s26
	s_cbranch_vccz .LBB82_26
; %bb.22:                               ;   in Loop: Header=BB82_10 Depth=1
	v_dual_mov_b32 v17, v13 :: v_dual_mov_b32 v16, v12
	v_dual_mov_b32 v19, v15 :: v_dual_mov_b32 v18, v14
	s_and_not1_b32 vcc_lo, exec_lo, s15
	s_cbranch_vccnz .LBB82_27
; %bb.23:                               ;   in Loop: Header=BB82_10 Depth=1
	v_mul_f64 v[16:17], v[4:5], v[4:5]
	s_delay_alu instid0(VALU_DEP_1) | instskip(NEXT) | instid1(VALU_DEP_1)
	v_fma_f64 v[16:17], v[6:7], v[6:7], v[16:17]
	v_div_scale_f64 v[18:19], null, v[16:17], v[16:17], 1.0
	v_div_scale_f64 v[32:33], vcc_lo, 1.0, v[16:17], 1.0
	s_delay_alu instid0(VALU_DEP_2) | instskip(SKIP_2) | instid1(VALU_DEP_1)
	v_rcp_f64_e32 v[20:21], v[18:19]
	s_waitcnt_depctr 0xfff
	v_fma_f64 v[22:23], -v[18:19], v[20:21], 1.0
	v_fma_f64 v[20:21], v[20:21], v[22:23], v[20:21]
	s_delay_alu instid0(VALU_DEP_1) | instskip(NEXT) | instid1(VALU_DEP_1)
	v_fma_f64 v[22:23], -v[18:19], v[20:21], 1.0
	v_fma_f64 v[20:21], v[20:21], v[22:23], v[20:21]
	s_delay_alu instid0(VALU_DEP_1) | instskip(NEXT) | instid1(VALU_DEP_1)
	v_mul_f64 v[22:23], v[32:33], v[20:21]
	v_fma_f64 v[18:19], -v[18:19], v[22:23], v[32:33]
	s_delay_alu instid0(VALU_DEP_1) | instskip(SKIP_2) | instid1(VALU_DEP_3)
	v_div_fmas_f64 v[18:19], v[18:19], v[20:21], v[22:23]
	v_fma_f64 v[20:21], v[4:5], 0, v[6:7]
	v_fma_f64 v[22:23], v[6:7], 0, -v[4:5]
	v_div_fixup_f64 v[16:17], v[18:19], v[16:17], 1.0
	s_delay_alu instid0(VALU_DEP_1) | instskip(NEXT) | instid1(VALU_DEP_3)
	v_mul_f64 v[18:19], v[20:21], v[16:17]
	v_mul_f64 v[16:17], v[22:23], v[16:17]
	s_branch .LBB82_27
.LBB82_24:                              ;   in Loop: Header=BB82_10 Depth=1
	s_mov_b32 s25, 0
                                        ; implicit-def: $sgpr26
                                        ; implicit-def: $vgpr20_vgpr21
                                        ; implicit-def: $vgpr22_vgpr23
                                        ; implicit-def: $vgpr16_vgpr17
                                        ; implicit-def: $vgpr18_vgpr19
	s_cbranch_execnz .LBB82_28
	s_branch .LBB82_30
.LBB82_25:                              ;   in Loop: Header=BB82_10 Depth=1
	s_mov_b32 s25, -1
                                        ; implicit-def: $sgpr26
                                        ; implicit-def: $vgpr20_vgpr21
                                        ; implicit-def: $vgpr22_vgpr23
                                        ; implicit-def: $vgpr16_vgpr17
                                        ; implicit-def: $vgpr18_vgpr19
	s_branch .LBB82_30
.LBB82_26:                              ;   in Loop: Header=BB82_10 Depth=1
	s_mov_b32 s25, -1
                                        ; implicit-def: $vgpr16_vgpr17
                                        ; implicit-def: $vgpr18_vgpr19
.LBB82_27:                              ;   in Loop: Header=BB82_10 Depth=1
	v_dual_mov_b32 v21, v3 :: v_dual_mov_b32 v20, v2
	v_dual_mov_b32 v23, v1 :: v_dual_mov_b32 v22, v0
	s_mov_b32 s26, 4
	s_branch .LBB82_30
.LBB82_28:                              ;   in Loop: Header=BB82_10 Depth=1
	s_cmp_eq_u32 s5, 0
	s_cbranch_scc1 .LBB82_34
; %bb.29:                               ;   in Loop: Header=BB82_10 Depth=1
	s_mov_b32 s25, -1
                                        ; implicit-def: $sgpr26
                                        ; implicit-def: $vgpr20_vgpr21
                                        ; implicit-def: $vgpr22_vgpr23
                                        ; implicit-def: $vgpr16_vgpr17
                                        ; implicit-def: $vgpr18_vgpr19
.LBB82_30:                              ;   in Loop: Header=BB82_10 Depth=1
	s_delay_alu instid0(SALU_CYCLE_1)
	s_and_b32 vcc_lo, exec_lo, s25
	s_cbranch_vccnz .LBB82_37
.LBB82_31:                              ;   in Loop: Header=BB82_10 Depth=1
	s_and_b32 vcc_lo, exec_lo, s2
	s_cbranch_vccnz .LBB82_42
.LBB82_32:                              ;   in Loop: Header=BB82_10 Depth=1
	s_cmp_gt_i32 s26, 3
	s_mov_b32 s2, -1
	s_cbranch_scc1 .LBB82_45
.LBB82_33:                              ;   in Loop: Header=BB82_10 Depth=1
	s_cmp_eq_u32 s26, 0
	s_cselect_b32 s3, -1, 0
	s_delay_alu instid0(SALU_CYCLE_1)
	s_and_not1_b32 vcc_lo, exec_lo, s3
	s_cbranch_vccz .LBB82_8
	s_branch .LBB82_46
.LBB82_34:                              ;   in Loop: Header=BB82_10 Depth=1
	s_cmp_le_i32 s9, s14
	s_mov_b32 s25, 0
	s_cbranch_scc0 .LBB82_36
; %bb.35:                               ;   in Loop: Header=BB82_10 Depth=1
	s_mov_b32 s2, -1
	s_mov_b32 s25, s3
.LBB82_36:                              ;   in Loop: Header=BB82_10 Depth=1
	v_dual_mov_b32 v21, v3 :: v_dual_mov_b32 v20, v2
	v_dual_mov_b32 v23, v1 :: v_dual_mov_b32 v22, v0
	;; [unrolled: 1-line block ×4, first 2 shown]
	s_mov_b32 s26, 2
	s_and_b32 vcc_lo, exec_lo, s25
	s_cbranch_vccz .LBB82_31
.LBB82_37:                              ;   in Loop: Header=BB82_10 Depth=1
	s_and_saveexec_b32 s25, s1
	s_cbranch_execz .LBB82_39
; %bb.38:                               ;   in Loop: Header=BB82_10 Depth=1
	s_add_i32 s2, s9, s7
	s_delay_alu instid0(SALU_CYCLE_1) | instskip(NEXT) | instid1(SALU_CYCLE_1)
	s_ashr_i32 s3, s2, 31
	s_lshl_b64 s[2:3], s[2:3], 2
	s_delay_alu instid0(SALU_CYCLE_1)
	s_add_u32 s2, s16, s2
	s_addc_u32 s3, s17, s3
	global_load_b32 v16, v9, s[2:3] glc
	s_waitcnt vmcnt(0)
	v_cmp_ne_u32_e32 vcc_lo, 0, v16
	s_cbranch_vccz .LBB82_47
.LBB82_39:                              ;   in Loop: Header=BB82_10 Depth=1
	s_or_b32 exec_lo, exec_lo, s25
	v_mov_b32_e32 v20, 0
	v_mov_b32_e32 v21, 0
	s_waitcnt_vscnt null, 0x0
	s_barrier
	buffer_gl0_inv
	buffer_gl1_inv
	buffer_gl0_inv
	v_dual_mov_b32 v23, v21 :: v_dual_mov_b32 v22, v20
	s_and_saveexec_b32 s2, s0
	s_cbranch_execz .LBB82_41
; %bb.40:                               ;   in Loop: Header=BB82_10 Depth=1
	s_mul_i32 s3, s9, s21
	s_mul_hi_u32 s25, s9, s20
	s_ashr_i32 s26, s9, 31
	s_add_i32 s3, s25, s3
	s_mul_i32 s26, s26, s20
	s_delay_alu instid0(SALU_CYCLE_1) | instskip(SKIP_1) | instid1(SALU_CYCLE_1)
	s_add_i32 s27, s3, s26
	s_mul_i32 s26, s9, s20
	s_lshl_b64 s[26:27], s[26:27], 4
	s_delay_alu instid0(SALU_CYCLE_1)
	v_add_co_u32 v16, vcc_lo, v26, s26
	v_add_co_ci_u32_e32 v17, vcc_lo, s27, v27, vcc_lo
	global_load_b128 v[16:19], v[16:17], off
	s_waitcnt vmcnt(0)
	v_fma_f64 v[20:21], -v[6:7], v[16:17], v[0:1]
	v_fma_f64 v[16:17], -v[4:5], v[16:17], v[2:3]
	s_delay_alu instid0(VALU_DEP_2) | instskip(NEXT) | instid1(VALU_DEP_2)
	v_fma_f64 v[22:23], v[4:5], v[18:19], v[20:21]
	v_fma_f64 v[20:21], -v[6:7], v[18:19], v[16:17]
.LBB82_41:                              ;   in Loop: Header=BB82_10 Depth=1
	s_or_b32 exec_lo, exec_lo, s2
	v_dual_mov_b32 v17, v13 :: v_dual_mov_b32 v16, v12
	v_dual_mov_b32 v19, v15 :: v_dual_mov_b32 v18, v14
	s_mov_b32 s26, 0
	s_branch .LBB82_32
.LBB82_42:                              ;   in Loop: Header=BB82_10 Depth=1
	s_and_not1_b32 vcc_lo, exec_lo, s15
	s_cbranch_vccnz .LBB82_44
; %bb.43:                               ;   in Loop: Header=BB82_10 Depth=1
	v_mul_f64 v[12:13], v[4:5], v[4:5]
	s_delay_alu instid0(VALU_DEP_1) | instskip(NEXT) | instid1(VALU_DEP_1)
	v_fma_f64 v[12:13], v[6:7], v[6:7], v[12:13]
	v_div_scale_f64 v[14:15], null, v[12:13], v[12:13], 1.0
	v_div_scale_f64 v[20:21], vcc_lo, 1.0, v[12:13], 1.0
	s_delay_alu instid0(VALU_DEP_2) | instskip(SKIP_2) | instid1(VALU_DEP_1)
	v_rcp_f64_e32 v[16:17], v[14:15]
	s_waitcnt_depctr 0xfff
	v_fma_f64 v[18:19], -v[14:15], v[16:17], 1.0
	v_fma_f64 v[16:17], v[16:17], v[18:19], v[16:17]
	s_delay_alu instid0(VALU_DEP_1) | instskip(NEXT) | instid1(VALU_DEP_1)
	v_fma_f64 v[18:19], -v[14:15], v[16:17], 1.0
	v_fma_f64 v[16:17], v[16:17], v[18:19], v[16:17]
	s_delay_alu instid0(VALU_DEP_1) | instskip(NEXT) | instid1(VALU_DEP_1)
	v_mul_f64 v[18:19], v[20:21], v[16:17]
	v_fma_f64 v[14:15], -v[14:15], v[18:19], v[20:21]
	s_delay_alu instid0(VALU_DEP_1) | instskip(SKIP_2) | instid1(VALU_DEP_3)
	v_div_fmas_f64 v[14:15], v[14:15], v[16:17], v[18:19]
	v_fma_f64 v[16:17], v[4:5], 0, v[6:7]
	v_fma_f64 v[4:5], v[6:7], 0, -v[4:5]
	v_div_fixup_f64 v[12:13], v[14:15], v[12:13], 1.0
	s_delay_alu instid0(VALU_DEP_1) | instskip(NEXT) | instid1(VALU_DEP_3)
	v_mul_f64 v[14:15], v[16:17], v[12:13]
	v_mul_f64 v[12:13], v[4:5], v[12:13]
.LBB82_44:                              ;   in Loop: Header=BB82_10 Depth=1
	s_delay_alu instid0(VALU_DEP_2) | instskip(NEXT) | instid1(VALU_DEP_2)
	v_dual_mov_b32 v19, v15 :: v_dual_mov_b32 v18, v14
	v_dual_mov_b32 v17, v13 :: v_dual_mov_b32 v16, v12
	;; [unrolled: 1-line block ×4, first 2 shown]
	s_mov_b32 s26, 2
	s_delay_alu instid0(SALU_CYCLE_1)
	s_cmp_gt_i32 s26, 3
	s_mov_b32 s2, -1
	s_cbranch_scc0 .LBB82_33
.LBB82_45:                              ;   in Loop: Header=BB82_10 Depth=1
	s_branch .LBB82_8
.LBB82_46:                              ;   in Loop: Header=BB82_10 Depth=1
                                        ; implicit-def: $sgpr22_sgpr23
	s_branch .LBB82_9
.LBB82_47:                              ;   in Loop: Header=BB82_10 Depth=1
	s_mov_b32 s26, 0
	s_branch .LBB82_49
	.p2align	6
.LBB82_48:                              ;   in Loop: Header=BB82_49 Depth=2
	global_load_b32 v16, v9, s[2:3] glc
	s_cmpk_lt_u32 s26, 0xf43
	s_cselect_b32 s27, -1, 0
	s_delay_alu instid0(SALU_CYCLE_1)
	s_cmp_lg_u32 s27, 0
	s_addc_u32 s26, s26, 0
	s_waitcnt vmcnt(0)
	v_cmp_ne_u32_e32 vcc_lo, 0, v16
	s_cbranch_vccnz .LBB82_39
.LBB82_49:                              ;   Parent Loop BB82_10 Depth=1
                                        ; =>  This Loop Header: Depth=2
                                        ;       Child Loop BB82_50 Depth 3
	s_cmp_eq_u32 s26, 0
	s_mov_b32 s27, s26
	s_cbranch_scc1 .LBB82_48
.LBB82_50:                              ;   Parent Loop BB82_10 Depth=1
                                        ;     Parent Loop BB82_49 Depth=2
                                        ; =>    This Inner Loop Header: Depth=3
	s_add_i32 s27, s27, -1
	s_sleep 1
	s_cmp_eq_u32 s27, 0
	s_cbranch_scc0 .LBB82_50
	s_branch .LBB82_48
.LBB82_51:
                                        ; implicit-def: $vgpr2_vgpr3
	s_load_b64 s[16:17], s[2:3], 0x48
.LBB82_52:
	v_mov_b32_e32 v2, 0
	v_mov_b32_e32 v3, 0
	s_delay_alu instid0(VALU_DEP_1)
	v_dual_mov_b32 v0, v2 :: v_dual_mov_b32 v1, v3
	s_and_saveexec_b32 s1, s0
	s_cbranch_execz .LBB82_54
; %bb.53:
	v_lshlrev_b64 v[0:1], 4, v[10:11]
	s_delay_alu instid0(VALU_DEP_1) | instskip(NEXT) | instid1(VALU_DEP_2)
	v_add_co_u32 v0, vcc_lo, s12, v0
	v_add_co_ci_u32_e32 v1, vcc_lo, s13, v1, vcc_lo
	global_load_b128 v[14:17], v[0:1], off
	s_waitcnt vmcnt(0)
	v_mul_f64 v[0:1], v[6:7], v[16:17]
	v_mul_f64 v[2:3], v[4:5], -v[16:17]
	s_delay_alu instid0(VALU_DEP_2) | instskip(NEXT) | instid1(VALU_DEP_2)
	v_fma_f64 v[0:1], v[4:5], v[14:15], v[0:1]
	v_fma_f64 v[2:3], v[6:7], v[14:15], v[2:3]
.LBB82_54:
	s_or_b32 exec_lo, exec_lo, s1
	s_waitcnt lgkmcnt(0)
	v_cmp_ge_i64_e64 s1, s[8:9], s[10:11]
	s_delay_alu instid0(VALU_DEP_1)
	s_and_b32 vcc_lo, exec_lo, s1
	v_cmp_eq_u32_e64 s1, 0, v8
	s_cbranch_vccz .LBB82_7
.LBB82_55:
	v_mov_b32_e32 v16, 0
	v_dual_mov_b32 v17, 0 :: v_dual_mov_b32 v18, 0
	v_mov_b32_e32 v19, 0x3ff00000
	s_cmp_lg_u32 s6, 0
	s_cbranch_scc1 .LBB82_58
	s_branch .LBB82_57
.LBB82_56:
	v_dual_mov_b32 v2, v20 :: v_dual_mov_b32 v3, v21
	v_dual_mov_b32 v0, v22 :: v_dual_mov_b32 v1, v23
	s_cmp_lg_u32 s6, 0
	s_cbranch_scc1 .LBB82_58
.LBB82_57:
	s_waitcnt vmcnt(0)
	v_mul_f64 v[4:5], v[16:17], -v[2:3]
	v_mul_f64 v[6:7], v[16:17], v[0:1]
	s_delay_alu instid0(VALU_DEP_2) | instskip(NEXT) | instid1(VALU_DEP_2)
	v_fma_f64 v[0:1], v[0:1], v[18:19], v[4:5]
	v_fma_f64 v[2:3], v[2:3], v[18:19], v[6:7]
.LBB82_58:
	s_and_saveexec_b32 s1, s0
	s_cbranch_execz .LBB82_60
; %bb.59:
	s_waitcnt vmcnt(0)
	v_lshlrev_b64 v[4:5], 4, v[10:11]
	s_delay_alu instid0(VALU_DEP_1) | instskip(NEXT) | instid1(VALU_DEP_2)
	v_add_co_u32 v4, vcc_lo, s12, v4
	v_add_co_ci_u32_e32 v5, vcc_lo, s13, v5, vcc_lo
	global_store_b128 v[4:5], v[0:3], off
.LBB82_60:
	s_or_b32 exec_lo, exec_lo, s1
	s_waitcnt vmcnt(0)
	s_waitcnt_vscnt null, 0x0
	buffer_gl1_inv
	buffer_gl0_inv
	s_barrier
	buffer_gl0_inv
	s_mov_b32 s0, exec_lo
	v_cmpx_eq_u32_e32 0, v8
	s_cbranch_execz .LBB82_62
; %bb.61:
	s_add_i32 s0, s14, s7
	v_dual_mov_b32 v0, 0 :: v_dual_mov_b32 v1, 1
	s_ashr_i32 s1, s0, 31
	s_delay_alu instid0(SALU_CYCLE_1) | instskip(NEXT) | instid1(SALU_CYCLE_1)
	s_lshl_b64 s[0:1], s[0:1], 2
	s_add_u32 s0, s16, s0
	s_addc_u32 s1, s17, s1
	global_store_b32 v0, v1, s[0:1]
.LBB82_62:
	s_nop 0
	s_sendmsg sendmsg(MSG_DEALLOC_VGPRS)
	s_endpgm
	.section	.rodata,"a",@progbits
	.p2align	6, 0x0
	.amdhsa_kernel _ZN9rocsparseL5csrsmILj1024ELj64ELb1Eli21rocsparse_complex_numIdEEEv20rocsparse_operation_T3_S4_NS_24const_host_device_scalarIT4_EEPKT2_PKS4_PKS6_PS6_lPiSC_PS4_21rocsparse_index_base_20rocsparse_fill_mode_20rocsparse_diag_type_b
		.amdhsa_group_segment_fixed_size 28672
		.amdhsa_private_segment_fixed_size 0
		.amdhsa_kernarg_size 112
		.amdhsa_user_sgpr_count 15
		.amdhsa_user_sgpr_dispatch_ptr 1
		.amdhsa_user_sgpr_queue_ptr 0
		.amdhsa_user_sgpr_kernarg_segment_ptr 1
		.amdhsa_user_sgpr_dispatch_id 0
		.amdhsa_user_sgpr_private_segment_size 0
		.amdhsa_wavefront_size32 1
		.amdhsa_uses_dynamic_stack 0
		.amdhsa_enable_private_segment 0
		.amdhsa_system_sgpr_workgroup_id_x 1
		.amdhsa_system_sgpr_workgroup_id_y 0
		.amdhsa_system_sgpr_workgroup_id_z 0
		.amdhsa_system_sgpr_workgroup_info 0
		.amdhsa_system_vgpr_workitem_id 2
		.amdhsa_next_free_vgpr 34
		.amdhsa_next_free_sgpr 28
		.amdhsa_reserve_vcc 1
		.amdhsa_float_round_mode_32 0
		.amdhsa_float_round_mode_16_64 0
		.amdhsa_float_denorm_mode_32 3
		.amdhsa_float_denorm_mode_16_64 3
		.amdhsa_dx10_clamp 1
		.amdhsa_ieee_mode 1
		.amdhsa_fp16_overflow 0
		.amdhsa_workgroup_processor_mode 1
		.amdhsa_memory_ordered 1
		.amdhsa_forward_progress 0
		.amdhsa_shared_vgpr_count 0
		.amdhsa_exception_fp_ieee_invalid_op 0
		.amdhsa_exception_fp_denorm_src 0
		.amdhsa_exception_fp_ieee_div_zero 0
		.amdhsa_exception_fp_ieee_overflow 0
		.amdhsa_exception_fp_ieee_underflow 0
		.amdhsa_exception_fp_ieee_inexact 0
		.amdhsa_exception_int_div_zero 0
	.end_amdhsa_kernel
	.section	.text._ZN9rocsparseL5csrsmILj1024ELj64ELb1Eli21rocsparse_complex_numIdEEEv20rocsparse_operation_T3_S4_NS_24const_host_device_scalarIT4_EEPKT2_PKS4_PKS6_PS6_lPiSC_PS4_21rocsparse_index_base_20rocsparse_fill_mode_20rocsparse_diag_type_b,"axG",@progbits,_ZN9rocsparseL5csrsmILj1024ELj64ELb1Eli21rocsparse_complex_numIdEEEv20rocsparse_operation_T3_S4_NS_24const_host_device_scalarIT4_EEPKT2_PKS4_PKS6_PS6_lPiSC_PS4_21rocsparse_index_base_20rocsparse_fill_mode_20rocsparse_diag_type_b,comdat
.Lfunc_end82:
	.size	_ZN9rocsparseL5csrsmILj1024ELj64ELb1Eli21rocsparse_complex_numIdEEEv20rocsparse_operation_T3_S4_NS_24const_host_device_scalarIT4_EEPKT2_PKS4_PKS6_PS6_lPiSC_PS4_21rocsparse_index_base_20rocsparse_fill_mode_20rocsparse_diag_type_b, .Lfunc_end82-_ZN9rocsparseL5csrsmILj1024ELj64ELb1Eli21rocsparse_complex_numIdEEEv20rocsparse_operation_T3_S4_NS_24const_host_device_scalarIT4_EEPKT2_PKS4_PKS6_PS6_lPiSC_PS4_21rocsparse_index_base_20rocsparse_fill_mode_20rocsparse_diag_type_b
                                        ; -- End function
	.section	.AMDGPU.csdata,"",@progbits
; Kernel info:
; codeLenInByte = 2608
; NumSgprs: 30
; NumVgprs: 34
; ScratchSize: 0
; MemoryBound: 1
; FloatMode: 240
; IeeeMode: 1
; LDSByteSize: 28672 bytes/workgroup (compile time only)
; SGPRBlocks: 3
; VGPRBlocks: 4
; NumSGPRsForWavesPerEU: 30
; NumVGPRsForWavesPerEU: 34
; Occupancy: 16
; WaveLimiterHint : 1
; COMPUTE_PGM_RSRC2:SCRATCH_EN: 0
; COMPUTE_PGM_RSRC2:USER_SGPR: 15
; COMPUTE_PGM_RSRC2:TRAP_HANDLER: 0
; COMPUTE_PGM_RSRC2:TGID_X_EN: 1
; COMPUTE_PGM_RSRC2:TGID_Y_EN: 0
; COMPUTE_PGM_RSRC2:TGID_Z_EN: 0
; COMPUTE_PGM_RSRC2:TIDIG_COMP_CNT: 2
	.section	.text._ZN9rocsparseL5csrsmILj1024ELj64ELb0Eli21rocsparse_complex_numIdEEEv20rocsparse_operation_T3_S4_NS_24const_host_device_scalarIT4_EEPKT2_PKS4_PKS6_PS6_lPiSC_PS4_21rocsparse_index_base_20rocsparse_fill_mode_20rocsparse_diag_type_b,"axG",@progbits,_ZN9rocsparseL5csrsmILj1024ELj64ELb0Eli21rocsparse_complex_numIdEEEv20rocsparse_operation_T3_S4_NS_24const_host_device_scalarIT4_EEPKT2_PKS4_PKS6_PS6_lPiSC_PS4_21rocsparse_index_base_20rocsparse_fill_mode_20rocsparse_diag_type_b,comdat
	.globl	_ZN9rocsparseL5csrsmILj1024ELj64ELb0Eli21rocsparse_complex_numIdEEEv20rocsparse_operation_T3_S4_NS_24const_host_device_scalarIT4_EEPKT2_PKS4_PKS6_PS6_lPiSC_PS4_21rocsparse_index_base_20rocsparse_fill_mode_20rocsparse_diag_type_b ; -- Begin function _ZN9rocsparseL5csrsmILj1024ELj64ELb0Eli21rocsparse_complex_numIdEEEv20rocsparse_operation_T3_S4_NS_24const_host_device_scalarIT4_EEPKT2_PKS4_PKS6_PS6_lPiSC_PS4_21rocsparse_index_base_20rocsparse_fill_mode_20rocsparse_diag_type_b
	.p2align	8
	.type	_ZN9rocsparseL5csrsmILj1024ELj64ELb0Eli21rocsparse_complex_numIdEEEv20rocsparse_operation_T3_S4_NS_24const_host_device_scalarIT4_EEPKT2_PKS4_PKS6_PS6_lPiSC_PS4_21rocsparse_index_base_20rocsparse_fill_mode_20rocsparse_diag_type_b,@function
_ZN9rocsparseL5csrsmILj1024ELj64ELb0Eli21rocsparse_complex_numIdEEEv20rocsparse_operation_T3_S4_NS_24const_host_device_scalarIT4_EEPKT2_PKS4_PKS6_PS6_lPiSC_PS4_21rocsparse_index_base_20rocsparse_fill_mode_20rocsparse_diag_type_b: ; @_ZN9rocsparseL5csrsmILj1024ELj64ELb0Eli21rocsparse_complex_numIdEEEv20rocsparse_operation_T3_S4_NS_24const_host_device_scalarIT4_EEPKT2_PKS4_PKS6_PS6_lPiSC_PS4_21rocsparse_index_base_20rocsparse_fill_mode_20rocsparse_diag_type_b
; %bb.0:
	s_load_b64 s[0:1], s[0:1], 0x4
	s_load_b128 s[8:11], s[2:3], 0x10
	v_and_b32_e32 v8, 0x3ff, v0
	s_load_b128 s[4:7], s[2:3], 0x60
	v_bfe_u32 v2, v0, 10, 10
	v_bfe_u32 v0, v0, 20, 10
	s_mov_b64 s[12:13], src_shared_base
	s_waitcnt lgkmcnt(0)
	s_lshr_b32 s0, s0, 16
	s_delay_alu instid0(SALU_CYCLE_1) | instskip(NEXT) | instid1(SALU_CYCLE_1)
	s_mul_i32 s0, s0, s1
	v_mul_lo_u32 v1, s0, v8
	s_and_b32 s0, 1, s7
	s_delay_alu instid0(SALU_CYCLE_1) | instskip(SKIP_1) | instid1(VALU_DEP_1)
	s_cmp_eq_u32 s0, 1
	s_cselect_b32 vcc_lo, -1, 0
	v_mad_u32_u24 v1, v2, s1, v1
	s_load_b64 s[0:1], s[2:3], 0x20
	v_dual_mov_b32 v2, s8 :: v_dual_mov_b32 v3, s9
	v_dual_mov_b32 v6, s10 :: v_dual_mov_b32 v7, s11
	s_delay_alu instid0(VALU_DEP_3) | instskip(NEXT) | instid1(VALU_DEP_1)
	v_add_lshl_u32 v4, v1, v0, 3
	v_add_nc_u32_e32 v0, 0x5000, v4
	ds_store_b64 v4, v[2:3] offset:20480
	v_cndmask_b32_e32 v0, s8, v0, vcc_lo
	s_and_b32 vcc_lo, vcc_lo, exec_lo
	s_cselect_b32 s7, s13, s9
	s_delay_alu instid0(SALU_CYCLE_1)
	v_mov_b32_e32 v1, s7
	flat_load_b64 v[4:5], v[0:1]
	s_clause 0x1
	s_load_b64 s[22:23], s[2:3], 0x50
	s_load_b64 s[12:13], s[2:3], 0x38
	s_cbranch_vccnz .LBB83_2
; %bb.1:
	v_dual_mov_b32 v0, s8 :: v_dual_mov_b32 v1, s9
	flat_load_b64 v[6:7], v[0:1] offset:8
.LBB83_2:
	s_clause 0x1
	s_load_b128 s[16:19], s[2:3], 0x0
	s_load_b64 s[20:21], s[2:3], 0x40
	s_waitcnt lgkmcnt(0)
	v_cvt_f32_u32_e32 v0, s17
	s_sub_i32 s8, 0, s17
	s_delay_alu instid0(VALU_DEP_1) | instskip(SKIP_2) | instid1(VALU_DEP_1)
	v_rcp_iflag_f32_e32 v0, v0
	s_waitcnt_depctr 0xfff
	v_mul_f32_e32 v0, 0x4f7ffffe, v0
	v_cvt_u32_f32_e32 v0, v0
	s_delay_alu instid0(VALU_DEP_1) | instskip(NEXT) | instid1(VALU_DEP_1)
	v_readfirstlane_b32 s7, v0
	s_mul_i32 s8, s8, s7
	s_delay_alu instid0(SALU_CYCLE_1) | instskip(NEXT) | instid1(SALU_CYCLE_1)
	s_mul_hi_u32 s8, s7, s8
	s_add_i32 s7, s7, s8
	s_delay_alu instid0(SALU_CYCLE_1) | instskip(NEXT) | instid1(SALU_CYCLE_1)
	s_mul_hi_u32 s7, s15, s7
	s_mul_i32 s8, s7, s17
	s_add_i32 s9, s7, 1
	s_sub_i32 s8, s15, s8
	s_delay_alu instid0(SALU_CYCLE_1)
	s_sub_i32 s10, s8, s17
	s_cmp_ge_u32 s8, s17
	s_cselect_b32 s7, s9, s7
	s_cselect_b32 s8, s10, s8
	s_add_i32 s9, s7, 1
	s_cmp_ge_u32 s8, s17
	s_cselect_b32 s10, s9, s7
	s_delay_alu instid0(SALU_CYCLE_1) | instskip(SKIP_2) | instid1(SALU_CYCLE_1)
	s_mul_i32 s7, s10, s17
	v_lshl_or_b32 v12, s10, 10, v8
	s_sub_i32 s8, s15, s7
	s_ashr_i32 s9, s8, 31
	s_delay_alu instid0(VALU_DEP_1) | instskip(SKIP_1) | instid1(SALU_CYCLE_1)
	v_ashrrev_i32_e32 v13, 31, v12
	s_lshl_b64 s[8:9], s[8:9], 2
	s_add_u32 s8, s22, s8
	s_addc_u32 s9, s23, s9
	s_load_b32 s14, s[8:9], 0x0
	s_waitcnt lgkmcnt(0)
	s_ashr_i32 s15, s14, 31
	v_mad_u64_u32 v[10:11], null, s14, s20, v[12:13]
	s_lshl_b64 s[8:9], s[14:15], 3
	s_delay_alu instid0(SALU_CYCLE_1)
	s_add_u32 s0, s0, s8
	s_addc_u32 s1, s1, s9
	s_cmpk_lg_i32 s16, 0x71
	s_load_b128 s[8:11], s[0:1], 0x0
	s_mul_i32 s0, s15, s20
	s_mul_i32 s1, s14, s21
	s_delay_alu instid0(SALU_CYCLE_1)
	v_add3_u32 v11, s1, s0, v11
	v_cmp_gt_i32_e64 s0, s18, v12
	s_cbranch_scc0 .LBB83_48
; %bb.3:
	v_mov_b32_e32 v2, 0
	v_mov_b32_e32 v3, 0
	s_delay_alu instid0(VALU_DEP_1)
	v_dual_mov_b32 v0, v2 :: v_dual_mov_b32 v1, v3
	s_and_saveexec_b32 s1, s0
	s_cbranch_execz .LBB83_5
; %bb.4:
	v_lshlrev_b64 v[0:1], 4, v[10:11]
	s_delay_alu instid0(VALU_DEP_1) | instskip(NEXT) | instid1(VALU_DEP_2)
	v_add_co_u32 v0, vcc_lo, s12, v0
	v_add_co_ci_u32_e32 v1, vcc_lo, s13, v1, vcc_lo
	global_load_b128 v[14:17], v[0:1], off
	s_waitcnt vmcnt(0)
	v_mul_f64 v[0:1], v[16:17], -v[6:7]
	v_mul_f64 v[2:3], v[4:5], v[16:17]
	s_delay_alu instid0(VALU_DEP_2) | instskip(NEXT) | instid1(VALU_DEP_2)
	v_fma_f64 v[0:1], v[4:5], v[14:15], v[0:1]
	v_fma_f64 v[2:3], v[6:7], v[14:15], v[2:3]
.LBB83_5:
	s_or_b32 exec_lo, exec_lo, s1
	s_load_b64 s[16:17], s[2:3], 0x48
	s_cbranch_execz .LBB83_49
; %bb.6:
	s_waitcnt lgkmcnt(0)
	v_cmp_ge_i64_e64 s1, s[8:9], s[10:11]
	s_delay_alu instid0(VALU_DEP_1)
	s_and_b32 vcc_lo, exec_lo, s1
	v_cmp_eq_u32_e64 s1, 0, v8
	s_cbranch_vccnz .LBB83_52
.LBB83_7:
	s_clause 0x1
	s_load_b128 s[24:27], s[2:3], 0x28
	s_load_b64 s[18:19], s[2:3], 0x58
	s_waitcnt vmcnt(0)
	v_dual_mov_b32 v9, 0 :: v_dual_lshlrev_b32 v6, 2, v8
	v_lshlrev_b64 v[4:5], 4, v[12:13]
	v_lshlrev_b32_e32 v24, 4, v8
	s_sub_u32 s8, s8, s4
	v_mov_b32_e32 v12, 0
	s_subb_u32 s9, s9, 0
	v_mov_b32_e32 v13, 0
	v_add_co_u32 v26, vcc_lo, s12, v4
	s_sub_u32 s10, s10, s4
	v_mov_b32_e32 v14, 0
	v_mov_b32_e32 v15, 0x3ff00000
	s_subb_u32 s11, s11, 0
	v_or_b32_e32 v25, 0x4000, v6
	v_add_co_ci_u32_e32 v27, vcc_lo, s13, v5, vcc_lo
	s_cmp_eq_u32 s6, 0
	s_waitcnt lgkmcnt(0)
	v_add_co_u32 v28, s2, s24, v6
	s_delay_alu instid0(VALU_DEP_1) | instskip(SKIP_1) | instid1(VALU_DEP_1)
	v_add_co_ci_u32_e64 v29, null, s25, 0, s2
	v_add_co_u32 v30, s2, s26, v24
	v_add_co_ci_u32_e64 v31, null, s27, 0, s2
	s_cselect_b32 s15, -1, 0
	s_add_i32 s24, s14, s4
	s_mov_b64 s[22:23], s[8:9]
	s_branch .LBB83_10
.LBB83_8:                               ;   in Loop: Header=BB83_10 Depth=1
	s_add_u32 s22, s22, 1
	s_addc_u32 s23, s23, 0
	s_delay_alu instid0(SALU_CYCLE_1)
	v_cmp_ge_i64_e64 s2, s[22:23], s[10:11]
.LBB83_9:                               ;   in Loop: Header=BB83_10 Depth=1
	s_delay_alu instid0(VALU_DEP_3) | instskip(NEXT) | instid1(VALU_DEP_4)
	v_dual_mov_b32 v2, v20 :: v_dual_mov_b32 v3, v21
	v_dual_mov_b32 v0, v22 :: v_dual_mov_b32 v1, v23
	s_delay_alu instid0(VALU_DEP_4) | instskip(NEXT) | instid1(VALU_DEP_4)
	v_dual_mov_b32 v12, v16 :: v_dual_mov_b32 v13, v17
	v_dual_mov_b32 v14, v18 :: v_dual_mov_b32 v15, v19
	s_and_not1_b32 vcc_lo, exec_lo, s2
	s_cbranch_vccz .LBB83_53
.LBB83_10:                              ; =>This Loop Header: Depth=1
                                        ;     Child Loop BB83_39 Depth 2
	s_sub_i32 s2, s22, s8
	s_delay_alu instid0(SALU_CYCLE_1) | instskip(NEXT) | instid1(SALU_CYCLE_1)
	s_and_b32 s3, s2, 0x3ff
	s_cmp_lg_u32 s3, 0
	s_cbranch_scc1 .LBB83_14
; %bb.11:                               ;   in Loop: Header=BB83_10 Depth=1
	v_mov_b32_e32 v6, 0
	v_dual_mov_b32 v7, 0 :: v_dual_mov_b32 v4, 0
	v_dual_mov_b32 v5, 0xbff00000 :: v_dual_mov_b32 v16, -1
	s_sub_u32 s26, s10, s22
	s_subb_u32 s27, s11, s23
	s_mov_b32 s2, exec_lo
	v_cmpx_gt_i64_e64 s[26:27], v[8:9]
	s_cbranch_execz .LBB83_13
; %bb.12:                               ;   in Loop: Header=BB83_10 Depth=1
	s_lshl_b64 s[26:27], s[22:23], 2
	s_delay_alu instid0(SALU_CYCLE_1)
	v_add_co_u32 v4, vcc_lo, v28, s26
	v_add_co_ci_u32_e32 v5, vcc_lo, s27, v29, vcc_lo
	s_lshl_b64 s[26:27], s[22:23], 4
	global_load_b32 v16, v[4:5], off
	v_add_co_u32 v4, vcc_lo, v30, s26
	v_add_co_ci_u32_e32 v5, vcc_lo, s27, v31, vcc_lo
	global_load_b128 v[4:7], v[4:5], off
	s_waitcnt vmcnt(1)
	v_subrev_nc_u32_e32 v16, s4, v16
.LBB83_13:                              ;   in Loop: Header=BB83_10 Depth=1
	s_or_b32 exec_lo, exec_lo, s2
	ds_store_b32 v25, v16
	s_waitcnt vmcnt(0)
	ds_store_b128 v24, v[4:7]
.LBB83_14:                              ;   in Loop: Header=BB83_10 Depth=1
	s_lshl_b32 s2, s3, 4
	s_waitcnt lgkmcnt(0)
	v_mov_b32_e32 v4, s2
	s_waitcnt_vscnt null, 0x0
	s_barrier
	buffer_gl0_inv
	s_lshl_b32 s3, s3, 2
	ds_load_b128 v[16:19], v4
	v_mov_b32_e32 v4, s3
	ds_load_b32 v4, v4 offset:16384
	s_waitcnt lgkmcnt(1)
	v_cmp_eq_f64_e32 vcc_lo, 0, v[16:17]
	v_cmp_eq_f64_e64 s2, 0, v[18:19]
	s_waitcnt lgkmcnt(0)
	v_readfirstlane_b32 s9, v4
	v_cmp_ne_u32_e64 s3, s14, v4
	s_delay_alu instid0(VALU_DEP_3) | instskip(NEXT) | instid1(VALU_DEP_2)
	s_and_b32 s2, vcc_lo, s2
	s_cmp_eq_u32 s9, s14
	s_cselect_b32 s26, -1, 0
	s_delay_alu instid0(SALU_CYCLE_1) | instskip(NEXT) | instid1(SALU_CYCLE_1)
	s_and_b32 s2, s2, s26
	s_and_b32 s2, s15, s2
	s_delay_alu instid0(SALU_CYCLE_1) | instskip(SKIP_4) | instid1(SALU_CYCLE_1)
	v_cndmask_b32_e64 v5, v19, 0, s2
	v_cndmask_b32_e64 v4, v18, 0, s2
	;; [unrolled: 1-line block ×4, first 2 shown]
	s_and_b32 s25, s1, s2
	s_and_saveexec_b32 s2, s25
	s_cbranch_execz .LBB83_18
; %bb.15:                               ;   in Loop: Header=BB83_10 Depth=1
	v_mbcnt_lo_u32_b32 v4, exec_lo, 0
	s_mov_b32 s25, exec_lo
	s_delay_alu instid0(VALU_DEP_1)
	v_cmpx_eq_u32_e32 0, v4
	s_cbranch_execz .LBB83_17
; %bb.16:                               ;   in Loop: Header=BB83_10 Depth=1
	v_mov_b32_e32 v4, s24
	global_atomic_min_i32 v9, v4, s[18:19]
.LBB83_17:                              ;   in Loop: Header=BB83_10 Depth=1
	s_or_b32 exec_lo, exec_lo, s25
	v_mov_b32_e32 v4, 0
	v_dual_mov_b32 v5, 0 :: v_dual_mov_b32 v6, 0
	v_mov_b32_e32 v7, 0x3ff00000
.LBB83_18:                              ;   in Loop: Header=BB83_10 Depth=1
	s_or_b32 exec_lo, exec_lo, s2
	s_cmp_lt_i32 s5, 1
	s_mov_b32 s2, 0
	s_cbranch_scc1 .LBB83_24
; %bb.19:                               ;   in Loop: Header=BB83_10 Depth=1
	s_cmp_eq_u32 s5, 1
	s_cbranch_scc0 .LBB83_25
; %bb.20:                               ;   in Loop: Header=BB83_10 Depth=1
	v_dual_mov_b32 v17, v13 :: v_dual_mov_b32 v16, v12
	v_dual_mov_b32 v19, v15 :: v_dual_mov_b32 v18, v14
	s_cmp_ge_i32 s9, s14
	s_mov_b32 s25, 0
	s_cbranch_scc0 .LBB83_27
; %bb.21:                               ;   in Loop: Header=BB83_10 Depth=1
	s_and_b32 vcc_lo, exec_lo, s26
	s_cbranch_vccz .LBB83_26
; %bb.22:                               ;   in Loop: Header=BB83_10 Depth=1
	v_dual_mov_b32 v17, v13 :: v_dual_mov_b32 v16, v12
	v_dual_mov_b32 v19, v15 :: v_dual_mov_b32 v18, v14
	s_and_not1_b32 vcc_lo, exec_lo, s15
	s_cbranch_vccnz .LBB83_27
; %bb.23:                               ;   in Loop: Header=BB83_10 Depth=1
	v_mul_f64 v[16:17], v[4:5], v[4:5]
	s_delay_alu instid0(VALU_DEP_1) | instskip(NEXT) | instid1(VALU_DEP_1)
	v_fma_f64 v[16:17], v[6:7], v[6:7], v[16:17]
	v_div_scale_f64 v[18:19], null, v[16:17], v[16:17], 1.0
	v_div_scale_f64 v[32:33], vcc_lo, 1.0, v[16:17], 1.0
	s_delay_alu instid0(VALU_DEP_2) | instskip(SKIP_2) | instid1(VALU_DEP_1)
	v_rcp_f64_e32 v[20:21], v[18:19]
	s_waitcnt_depctr 0xfff
	v_fma_f64 v[22:23], -v[18:19], v[20:21], 1.0
	v_fma_f64 v[20:21], v[20:21], v[22:23], v[20:21]
	s_delay_alu instid0(VALU_DEP_1) | instskip(NEXT) | instid1(VALU_DEP_1)
	v_fma_f64 v[22:23], -v[18:19], v[20:21], 1.0
	v_fma_f64 v[20:21], v[20:21], v[22:23], v[20:21]
	s_delay_alu instid0(VALU_DEP_1) | instskip(NEXT) | instid1(VALU_DEP_1)
	v_mul_f64 v[22:23], v[32:33], v[20:21]
	v_fma_f64 v[18:19], -v[18:19], v[22:23], v[32:33]
	s_delay_alu instid0(VALU_DEP_1) | instskip(SKIP_2) | instid1(VALU_DEP_3)
	v_div_fmas_f64 v[18:19], v[18:19], v[20:21], v[22:23]
	v_fma_f64 v[20:21], v[4:5], 0, v[6:7]
	v_fma_f64 v[22:23], v[6:7], 0, -v[4:5]
	v_div_fixup_f64 v[16:17], v[18:19], v[16:17], 1.0
	s_delay_alu instid0(VALU_DEP_1) | instskip(NEXT) | instid1(VALU_DEP_3)
	v_mul_f64 v[18:19], v[20:21], v[16:17]
	v_mul_f64 v[16:17], v[22:23], v[16:17]
	s_branch .LBB83_27
.LBB83_24:                              ;   in Loop: Header=BB83_10 Depth=1
	s_mov_b32 s25, 0
                                        ; implicit-def: $sgpr26
                                        ; implicit-def: $vgpr20_vgpr21
                                        ; implicit-def: $vgpr22_vgpr23
                                        ; implicit-def: $vgpr16_vgpr17
                                        ; implicit-def: $vgpr18_vgpr19
	s_cbranch_execnz .LBB83_28
	s_branch .LBB83_30
.LBB83_25:                              ;   in Loop: Header=BB83_10 Depth=1
	s_mov_b32 s25, -1
                                        ; implicit-def: $sgpr26
                                        ; implicit-def: $vgpr20_vgpr21
                                        ; implicit-def: $vgpr22_vgpr23
                                        ; implicit-def: $vgpr16_vgpr17
                                        ; implicit-def: $vgpr18_vgpr19
	s_branch .LBB83_30
.LBB83_26:                              ;   in Loop: Header=BB83_10 Depth=1
	s_mov_b32 s25, -1
                                        ; implicit-def: $vgpr16_vgpr17
                                        ; implicit-def: $vgpr18_vgpr19
.LBB83_27:                              ;   in Loop: Header=BB83_10 Depth=1
	v_dual_mov_b32 v21, v3 :: v_dual_mov_b32 v20, v2
	v_dual_mov_b32 v23, v1 :: v_dual_mov_b32 v22, v0
	s_mov_b32 s26, 4
	s_branch .LBB83_30
.LBB83_28:                              ;   in Loop: Header=BB83_10 Depth=1
	s_cmp_eq_u32 s5, 0
	s_cbranch_scc1 .LBB83_34
; %bb.29:                               ;   in Loop: Header=BB83_10 Depth=1
	s_mov_b32 s25, -1
                                        ; implicit-def: $sgpr26
                                        ; implicit-def: $vgpr20_vgpr21
                                        ; implicit-def: $vgpr22_vgpr23
                                        ; implicit-def: $vgpr16_vgpr17
                                        ; implicit-def: $vgpr18_vgpr19
.LBB83_30:                              ;   in Loop: Header=BB83_10 Depth=1
	s_delay_alu instid0(SALU_CYCLE_1)
	s_and_b32 vcc_lo, exec_lo, s25
	s_cbranch_vccnz .LBB83_37
.LBB83_31:                              ;   in Loop: Header=BB83_10 Depth=1
	s_and_b32 vcc_lo, exec_lo, s2
	s_cbranch_vccnz .LBB83_43
.LBB83_32:                              ;   in Loop: Header=BB83_10 Depth=1
	s_cmp_gt_i32 s26, 3
	s_mov_b32 s2, -1
	s_cbranch_scc1 .LBB83_46
.LBB83_33:                              ;   in Loop: Header=BB83_10 Depth=1
	s_cmp_eq_u32 s26, 0
	s_cselect_b32 s3, -1, 0
	s_delay_alu instid0(SALU_CYCLE_1)
	s_and_not1_b32 vcc_lo, exec_lo, s3
	s_cbranch_vccz .LBB83_8
	s_branch .LBB83_47
.LBB83_34:                              ;   in Loop: Header=BB83_10 Depth=1
	s_cmp_le_i32 s9, s14
	s_mov_b32 s25, 0
	s_cbranch_scc0 .LBB83_36
; %bb.35:                               ;   in Loop: Header=BB83_10 Depth=1
	s_mov_b32 s2, -1
	s_mov_b32 s25, s3
.LBB83_36:                              ;   in Loop: Header=BB83_10 Depth=1
	v_dual_mov_b32 v21, v3 :: v_dual_mov_b32 v20, v2
	v_dual_mov_b32 v23, v1 :: v_dual_mov_b32 v22, v0
	;; [unrolled: 1-line block ×4, first 2 shown]
	s_mov_b32 s26, 2
	s_and_b32 vcc_lo, exec_lo, s25
	s_cbranch_vccz .LBB83_31
.LBB83_37:                              ;   in Loop: Header=BB83_10 Depth=1
	s_and_saveexec_b32 s25, s1
	s_cbranch_execz .LBB83_40
; %bb.38:                               ;   in Loop: Header=BB83_10 Depth=1
	s_add_i32 s2, s9, s7
	s_delay_alu instid0(SALU_CYCLE_1) | instskip(NEXT) | instid1(SALU_CYCLE_1)
	s_ashr_i32 s3, s2, 31
	s_lshl_b64 s[2:3], s[2:3], 2
	s_delay_alu instid0(SALU_CYCLE_1)
	s_add_u32 s2, s16, s2
	s_addc_u32 s3, s17, s3
	global_load_b32 v16, v9, s[2:3] glc
	s_waitcnt vmcnt(0)
	v_cmp_ne_u32_e32 vcc_lo, 0, v16
	s_cbranch_vccnz .LBB83_40
.LBB83_39:                              ;   Parent Loop BB83_10 Depth=1
                                        ; =>  This Inner Loop Header: Depth=2
	global_load_b32 v16, v9, s[2:3] glc
	s_waitcnt vmcnt(0)
	v_cmp_eq_u32_e32 vcc_lo, 0, v16
	s_cbranch_vccnz .LBB83_39
.LBB83_40:                              ;   in Loop: Header=BB83_10 Depth=1
	s_or_b32 exec_lo, exec_lo, s25
	v_mov_b32_e32 v20, 0
	v_mov_b32_e32 v21, 0
	s_waitcnt_vscnt null, 0x0
	s_barrier
	buffer_gl0_inv
	buffer_gl1_inv
	buffer_gl0_inv
	v_dual_mov_b32 v23, v21 :: v_dual_mov_b32 v22, v20
	s_and_saveexec_b32 s2, s0
	s_cbranch_execz .LBB83_42
; %bb.41:                               ;   in Loop: Header=BB83_10 Depth=1
	s_mul_i32 s3, s9, s21
	s_mul_hi_u32 s25, s9, s20
	s_ashr_i32 s26, s9, 31
	s_add_i32 s3, s25, s3
	s_mul_i32 s26, s26, s20
	s_delay_alu instid0(SALU_CYCLE_1) | instskip(SKIP_1) | instid1(SALU_CYCLE_1)
	s_add_i32 s27, s3, s26
	s_mul_i32 s26, s9, s20
	s_lshl_b64 s[26:27], s[26:27], 4
	s_delay_alu instid0(SALU_CYCLE_1)
	v_add_co_u32 v16, vcc_lo, v26, s26
	v_add_co_ci_u32_e32 v17, vcc_lo, s27, v27, vcc_lo
	global_load_b128 v[16:19], v[16:17], off
	s_waitcnt vmcnt(0)
	v_fma_f64 v[20:21], -v[6:7], v[16:17], v[0:1]
	v_fma_f64 v[16:17], -v[4:5], v[16:17], v[2:3]
	s_delay_alu instid0(VALU_DEP_2) | instskip(NEXT) | instid1(VALU_DEP_2)
	v_fma_f64 v[22:23], v[4:5], v[18:19], v[20:21]
	v_fma_f64 v[20:21], -v[6:7], v[18:19], v[16:17]
.LBB83_42:                              ;   in Loop: Header=BB83_10 Depth=1
	s_or_b32 exec_lo, exec_lo, s2
	v_dual_mov_b32 v17, v13 :: v_dual_mov_b32 v16, v12
	v_dual_mov_b32 v19, v15 :: v_dual_mov_b32 v18, v14
	s_mov_b32 s26, 0
	s_branch .LBB83_32
.LBB83_43:                              ;   in Loop: Header=BB83_10 Depth=1
	s_and_not1_b32 vcc_lo, exec_lo, s15
	s_cbranch_vccnz .LBB83_45
; %bb.44:                               ;   in Loop: Header=BB83_10 Depth=1
	v_mul_f64 v[12:13], v[4:5], v[4:5]
	s_delay_alu instid0(VALU_DEP_1) | instskip(NEXT) | instid1(VALU_DEP_1)
	v_fma_f64 v[12:13], v[6:7], v[6:7], v[12:13]
	v_div_scale_f64 v[14:15], null, v[12:13], v[12:13], 1.0
	v_div_scale_f64 v[20:21], vcc_lo, 1.0, v[12:13], 1.0
	s_delay_alu instid0(VALU_DEP_2) | instskip(SKIP_2) | instid1(VALU_DEP_1)
	v_rcp_f64_e32 v[16:17], v[14:15]
	s_waitcnt_depctr 0xfff
	v_fma_f64 v[18:19], -v[14:15], v[16:17], 1.0
	v_fma_f64 v[16:17], v[16:17], v[18:19], v[16:17]
	s_delay_alu instid0(VALU_DEP_1) | instskip(NEXT) | instid1(VALU_DEP_1)
	v_fma_f64 v[18:19], -v[14:15], v[16:17], 1.0
	v_fma_f64 v[16:17], v[16:17], v[18:19], v[16:17]
	s_delay_alu instid0(VALU_DEP_1) | instskip(NEXT) | instid1(VALU_DEP_1)
	v_mul_f64 v[18:19], v[20:21], v[16:17]
	v_fma_f64 v[14:15], -v[14:15], v[18:19], v[20:21]
	s_delay_alu instid0(VALU_DEP_1) | instskip(SKIP_2) | instid1(VALU_DEP_3)
	v_div_fmas_f64 v[14:15], v[14:15], v[16:17], v[18:19]
	v_fma_f64 v[16:17], v[4:5], 0, v[6:7]
	v_fma_f64 v[4:5], v[6:7], 0, -v[4:5]
	v_div_fixup_f64 v[12:13], v[14:15], v[12:13], 1.0
	s_delay_alu instid0(VALU_DEP_1) | instskip(NEXT) | instid1(VALU_DEP_3)
	v_mul_f64 v[14:15], v[16:17], v[12:13]
	v_mul_f64 v[12:13], v[4:5], v[12:13]
.LBB83_45:                              ;   in Loop: Header=BB83_10 Depth=1
	s_delay_alu instid0(VALU_DEP_2) | instskip(NEXT) | instid1(VALU_DEP_2)
	v_dual_mov_b32 v19, v15 :: v_dual_mov_b32 v18, v14
	v_dual_mov_b32 v17, v13 :: v_dual_mov_b32 v16, v12
	v_dual_mov_b32 v23, v1 :: v_dual_mov_b32 v22, v0
	v_dual_mov_b32 v21, v3 :: v_dual_mov_b32 v20, v2
	s_mov_b32 s26, 2
	s_delay_alu instid0(SALU_CYCLE_1)
	s_cmp_gt_i32 s26, 3
	s_mov_b32 s2, -1
	s_cbranch_scc0 .LBB83_33
.LBB83_46:                              ;   in Loop: Header=BB83_10 Depth=1
	s_branch .LBB83_8
.LBB83_47:                              ;   in Loop: Header=BB83_10 Depth=1
                                        ; implicit-def: $sgpr22_sgpr23
	s_branch .LBB83_9
.LBB83_48:
                                        ; implicit-def: $vgpr2_vgpr3
	s_load_b64 s[16:17], s[2:3], 0x48
.LBB83_49:
	v_mov_b32_e32 v2, 0
	v_mov_b32_e32 v3, 0
	s_delay_alu instid0(VALU_DEP_1)
	v_dual_mov_b32 v0, v2 :: v_dual_mov_b32 v1, v3
	s_and_saveexec_b32 s1, s0
	s_cbranch_execz .LBB83_51
; %bb.50:
	v_lshlrev_b64 v[0:1], 4, v[10:11]
	s_delay_alu instid0(VALU_DEP_1) | instskip(NEXT) | instid1(VALU_DEP_2)
	v_add_co_u32 v0, vcc_lo, s12, v0
	v_add_co_ci_u32_e32 v1, vcc_lo, s13, v1, vcc_lo
	global_load_b128 v[14:17], v[0:1], off
	s_waitcnt vmcnt(0)
	v_mul_f64 v[0:1], v[6:7], v[16:17]
	v_mul_f64 v[2:3], v[4:5], -v[16:17]
	s_delay_alu instid0(VALU_DEP_2) | instskip(NEXT) | instid1(VALU_DEP_2)
	v_fma_f64 v[0:1], v[4:5], v[14:15], v[0:1]
	v_fma_f64 v[2:3], v[6:7], v[14:15], v[2:3]
.LBB83_51:
	s_or_b32 exec_lo, exec_lo, s1
	s_waitcnt lgkmcnt(0)
	v_cmp_ge_i64_e64 s1, s[8:9], s[10:11]
	s_delay_alu instid0(VALU_DEP_1)
	s_and_b32 vcc_lo, exec_lo, s1
	v_cmp_eq_u32_e64 s1, 0, v8
	s_cbranch_vccz .LBB83_7
.LBB83_52:
	v_mov_b32_e32 v16, 0
	v_dual_mov_b32 v17, 0 :: v_dual_mov_b32 v18, 0
	v_mov_b32_e32 v19, 0x3ff00000
	s_cmp_lg_u32 s6, 0
	s_cbranch_scc1 .LBB83_55
	s_branch .LBB83_54
.LBB83_53:
	v_dual_mov_b32 v2, v20 :: v_dual_mov_b32 v3, v21
	v_dual_mov_b32 v0, v22 :: v_dual_mov_b32 v1, v23
	s_cmp_lg_u32 s6, 0
	s_cbranch_scc1 .LBB83_55
.LBB83_54:
	s_waitcnt vmcnt(0)
	v_mul_f64 v[4:5], v[16:17], -v[2:3]
	v_mul_f64 v[6:7], v[16:17], v[0:1]
	s_delay_alu instid0(VALU_DEP_2) | instskip(NEXT) | instid1(VALU_DEP_2)
	v_fma_f64 v[0:1], v[0:1], v[18:19], v[4:5]
	v_fma_f64 v[2:3], v[2:3], v[18:19], v[6:7]
.LBB83_55:
	s_and_saveexec_b32 s1, s0
	s_cbranch_execz .LBB83_57
; %bb.56:
	s_waitcnt vmcnt(0)
	v_lshlrev_b64 v[4:5], 4, v[10:11]
	s_delay_alu instid0(VALU_DEP_1) | instskip(NEXT) | instid1(VALU_DEP_2)
	v_add_co_u32 v4, vcc_lo, s12, v4
	v_add_co_ci_u32_e32 v5, vcc_lo, s13, v5, vcc_lo
	global_store_b128 v[4:5], v[0:3], off
.LBB83_57:
	s_or_b32 exec_lo, exec_lo, s1
	s_waitcnt vmcnt(0)
	s_waitcnt_vscnt null, 0x0
	buffer_gl1_inv
	buffer_gl0_inv
	s_barrier
	buffer_gl0_inv
	s_mov_b32 s0, exec_lo
	v_cmpx_eq_u32_e32 0, v8
	s_cbranch_execz .LBB83_59
; %bb.58:
	s_add_i32 s0, s14, s7
	v_dual_mov_b32 v0, 0 :: v_dual_mov_b32 v1, 1
	s_ashr_i32 s1, s0, 31
	s_delay_alu instid0(SALU_CYCLE_1) | instskip(NEXT) | instid1(SALU_CYCLE_1)
	s_lshl_b64 s[0:1], s[0:1], 2
	s_add_u32 s0, s16, s0
	s_addc_u32 s1, s17, s1
	global_store_b32 v0, v1, s[0:1]
.LBB83_59:
	s_nop 0
	s_sendmsg sendmsg(MSG_DEALLOC_VGPRS)
	s_endpgm
	.section	.rodata,"a",@progbits
	.p2align	6, 0x0
	.amdhsa_kernel _ZN9rocsparseL5csrsmILj1024ELj64ELb0Eli21rocsparse_complex_numIdEEEv20rocsparse_operation_T3_S4_NS_24const_host_device_scalarIT4_EEPKT2_PKS4_PKS6_PS6_lPiSC_PS4_21rocsparse_index_base_20rocsparse_fill_mode_20rocsparse_diag_type_b
		.amdhsa_group_segment_fixed_size 28672
		.amdhsa_private_segment_fixed_size 0
		.amdhsa_kernarg_size 112
		.amdhsa_user_sgpr_count 15
		.amdhsa_user_sgpr_dispatch_ptr 1
		.amdhsa_user_sgpr_queue_ptr 0
		.amdhsa_user_sgpr_kernarg_segment_ptr 1
		.amdhsa_user_sgpr_dispatch_id 0
		.amdhsa_user_sgpr_private_segment_size 0
		.amdhsa_wavefront_size32 1
		.amdhsa_uses_dynamic_stack 0
		.amdhsa_enable_private_segment 0
		.amdhsa_system_sgpr_workgroup_id_x 1
		.amdhsa_system_sgpr_workgroup_id_y 0
		.amdhsa_system_sgpr_workgroup_id_z 0
		.amdhsa_system_sgpr_workgroup_info 0
		.amdhsa_system_vgpr_workitem_id 2
		.amdhsa_next_free_vgpr 34
		.amdhsa_next_free_sgpr 28
		.amdhsa_reserve_vcc 1
		.amdhsa_float_round_mode_32 0
		.amdhsa_float_round_mode_16_64 0
		.amdhsa_float_denorm_mode_32 3
		.amdhsa_float_denorm_mode_16_64 3
		.amdhsa_dx10_clamp 1
		.amdhsa_ieee_mode 1
		.amdhsa_fp16_overflow 0
		.amdhsa_workgroup_processor_mode 1
		.amdhsa_memory_ordered 1
		.amdhsa_forward_progress 0
		.amdhsa_shared_vgpr_count 0
		.amdhsa_exception_fp_ieee_invalid_op 0
		.amdhsa_exception_fp_denorm_src 0
		.amdhsa_exception_fp_ieee_div_zero 0
		.amdhsa_exception_fp_ieee_overflow 0
		.amdhsa_exception_fp_ieee_underflow 0
		.amdhsa_exception_fp_ieee_inexact 0
		.amdhsa_exception_int_div_zero 0
	.end_amdhsa_kernel
	.section	.text._ZN9rocsparseL5csrsmILj1024ELj64ELb0Eli21rocsparse_complex_numIdEEEv20rocsparse_operation_T3_S4_NS_24const_host_device_scalarIT4_EEPKT2_PKS4_PKS6_PS6_lPiSC_PS4_21rocsparse_index_base_20rocsparse_fill_mode_20rocsparse_diag_type_b,"axG",@progbits,_ZN9rocsparseL5csrsmILj1024ELj64ELb0Eli21rocsparse_complex_numIdEEEv20rocsparse_operation_T3_S4_NS_24const_host_device_scalarIT4_EEPKT2_PKS4_PKS6_PS6_lPiSC_PS4_21rocsparse_index_base_20rocsparse_fill_mode_20rocsparse_diag_type_b,comdat
.Lfunc_end83:
	.size	_ZN9rocsparseL5csrsmILj1024ELj64ELb0Eli21rocsparse_complex_numIdEEEv20rocsparse_operation_T3_S4_NS_24const_host_device_scalarIT4_EEPKT2_PKS4_PKS6_PS6_lPiSC_PS4_21rocsparse_index_base_20rocsparse_fill_mode_20rocsparse_diag_type_b, .Lfunc_end83-_ZN9rocsparseL5csrsmILj1024ELj64ELb0Eli21rocsparse_complex_numIdEEEv20rocsparse_operation_T3_S4_NS_24const_host_device_scalarIT4_EEPKT2_PKS4_PKS6_PS6_lPiSC_PS4_21rocsparse_index_base_20rocsparse_fill_mode_20rocsparse_diag_type_b
                                        ; -- End function
	.section	.AMDGPU.csdata,"",@progbits
; Kernel info:
; codeLenInByte = 2548
; NumSgprs: 30
; NumVgprs: 34
; ScratchSize: 0
; MemoryBound: 1
; FloatMode: 240
; IeeeMode: 1
; LDSByteSize: 28672 bytes/workgroup (compile time only)
; SGPRBlocks: 3
; VGPRBlocks: 4
; NumSGPRsForWavesPerEU: 30
; NumVGPRsForWavesPerEU: 34
; Occupancy: 16
; WaveLimiterHint : 1
; COMPUTE_PGM_RSRC2:SCRATCH_EN: 0
; COMPUTE_PGM_RSRC2:USER_SGPR: 15
; COMPUTE_PGM_RSRC2:TRAP_HANDLER: 0
; COMPUTE_PGM_RSRC2:TGID_X_EN: 1
; COMPUTE_PGM_RSRC2:TGID_Y_EN: 0
; COMPUTE_PGM_RSRC2:TGID_Z_EN: 0
; COMPUTE_PGM_RSRC2:TIDIG_COMP_CNT: 2
	.section	.text._ZN9rocsparseL5csrsmILj64ELj64ELb1EllfEEv20rocsparse_operation_T3_S2_NS_24const_host_device_scalarIT4_EEPKT2_PKS2_PKS4_PS4_lPiSA_PS2_21rocsparse_index_base_20rocsparse_fill_mode_20rocsparse_diag_type_b,"axG",@progbits,_ZN9rocsparseL5csrsmILj64ELj64ELb1EllfEEv20rocsparse_operation_T3_S2_NS_24const_host_device_scalarIT4_EEPKT2_PKS2_PKS4_PS4_lPiSA_PS2_21rocsparse_index_base_20rocsparse_fill_mode_20rocsparse_diag_type_b,comdat
	.globl	_ZN9rocsparseL5csrsmILj64ELj64ELb1EllfEEv20rocsparse_operation_T3_S2_NS_24const_host_device_scalarIT4_EEPKT2_PKS2_PKS4_PS4_lPiSA_PS2_21rocsparse_index_base_20rocsparse_fill_mode_20rocsparse_diag_type_b ; -- Begin function _ZN9rocsparseL5csrsmILj64ELj64ELb1EllfEEv20rocsparse_operation_T3_S2_NS_24const_host_device_scalarIT4_EEPKT2_PKS2_PKS4_PS4_lPiSA_PS2_21rocsparse_index_base_20rocsparse_fill_mode_20rocsparse_diag_type_b
	.p2align	8
	.type	_ZN9rocsparseL5csrsmILj64ELj64ELb1EllfEEv20rocsparse_operation_T3_S2_NS_24const_host_device_scalarIT4_EEPKT2_PKS2_PKS4_PS4_lPiSA_PS2_21rocsparse_index_base_20rocsparse_fill_mode_20rocsparse_diag_type_b,@function
_ZN9rocsparseL5csrsmILj64ELj64ELb1EllfEEv20rocsparse_operation_T3_S2_NS_24const_host_device_scalarIT4_EEPKT2_PKS2_PKS4_PS4_lPiSA_PS2_21rocsparse_index_base_20rocsparse_fill_mode_20rocsparse_diag_type_b: ; @_ZN9rocsparseL5csrsmILj64ELj64ELb1EllfEEv20rocsparse_operation_T3_S2_NS_24const_host_device_scalarIT4_EEPKT2_PKS2_PKS4_PS4_lPiSA_PS2_21rocsparse_index_base_20rocsparse_fill_mode_20rocsparse_diag_type_b
; %bb.0:
	s_clause 0x2
	s_load_b128 s[4:7], s[0:1], 0x60
	s_load_b128 s[16:19], s[0:1], 0x8
	s_load_b64 s[22:23], s[0:1], 0x18
	s_waitcnt lgkmcnt(0)
	s_bitcmp1_b32 s7, 0
	s_cselect_b32 s2, -1, 0
	s_delay_alu instid0(SALU_CYCLE_1)
	s_and_b32 vcc_lo, exec_lo, s2
	s_cbranch_vccnz .LBB84_2
; %bb.1:
	s_load_b32 s22, s[22:23], 0x0
.LBB84_2:
	s_clause 0x1
	s_load_b64 s[8:9], s[0:1], 0x50
	s_load_b64 s[2:3], s[0:1], 0x20
	s_mov_b32 s10, 0
	s_mov_b32 s11, s17
	s_delay_alu instid0(SALU_CYCLE_1)
	s_cmp_lg_u64 s[10:11], 0
	s_cbranch_scc0 .LBB84_54
; %bb.3:
	s_ashr_i32 s12, s17, 31
	s_delay_alu instid0(SALU_CYCLE_1) | instskip(SKIP_2) | instid1(SALU_CYCLE_1)
	s_add_u32 s20, s16, s12
	s_mov_b32 s13, s12
	s_addc_u32 s21, s17, s12
	s_xor_b64 s[20:21], s[20:21], s[12:13]
	s_delay_alu instid0(SALU_CYCLE_1) | instskip(SKIP_3) | instid1(VALU_DEP_1)
	v_cvt_f32_u32_e32 v1, s20
	v_cvt_f32_u32_e32 v2, s21
	s_sub_u32 s14, 0, s20
	s_subb_u32 s23, 0, s21
	v_fmamk_f32 v1, v2, 0x4f800000, v1
	s_delay_alu instid0(VALU_DEP_1) | instskip(SKIP_2) | instid1(VALU_DEP_1)
	v_rcp_f32_e32 v1, v1
	s_waitcnt_depctr 0xfff
	v_mul_f32_e32 v1, 0x5f7ffffc, v1
	v_mul_f32_e32 v2, 0x2f800000, v1
	s_delay_alu instid0(VALU_DEP_1) | instskip(NEXT) | instid1(VALU_DEP_1)
	v_trunc_f32_e32 v2, v2
	v_fmamk_f32 v1, v2, 0xcf800000, v1
	v_cvt_u32_f32_e32 v2, v2
	s_delay_alu instid0(VALU_DEP_2) | instskip(NEXT) | instid1(VALU_DEP_2)
	v_cvt_u32_f32_e32 v1, v1
	v_readfirstlane_b32 s7, v2
	s_delay_alu instid0(VALU_DEP_2) | instskip(NEXT) | instid1(VALU_DEP_2)
	v_readfirstlane_b32 s11, v1
	s_mul_i32 s24, s14, s7
	s_delay_alu instid0(VALU_DEP_1)
	s_mul_hi_u32 s26, s14, s11
	s_mul_i32 s25, s23, s11
	s_add_i32 s24, s26, s24
	s_mul_i32 s27, s14, s11
	s_add_i32 s24, s24, s25
	s_mul_hi_u32 s26, s11, s27
	s_mul_hi_u32 s28, s7, s27
	s_mul_i32 s25, s7, s27
	s_mul_hi_u32 s27, s11, s24
	s_mul_i32 s11, s11, s24
	s_mul_hi_u32 s29, s7, s24
	s_add_u32 s11, s26, s11
	s_addc_u32 s26, 0, s27
	s_add_u32 s11, s11, s25
	s_mul_i32 s24, s7, s24
	s_addc_u32 s11, s26, s28
	s_addc_u32 s25, s29, 0
	s_add_u32 s11, s11, s24
	s_addc_u32 s24, 0, s25
	v_add_co_u32 v1, s11, v1, s11
	s_delay_alu instid0(VALU_DEP_1) | instskip(SKIP_1) | instid1(VALU_DEP_1)
	s_cmp_lg_u32 s11, 0
	s_addc_u32 s7, s7, s24
	v_readfirstlane_b32 s11, v1
	s_mul_i32 s24, s14, s7
	s_delay_alu instid0(VALU_DEP_1)
	s_mul_hi_u32 s25, s14, s11
	s_mul_i32 s23, s23, s11
	s_add_i32 s24, s25, s24
	s_mul_i32 s14, s14, s11
	s_add_i32 s24, s24, s23
	s_mul_hi_u32 s25, s7, s14
	s_mul_i32 s26, s7, s14
	s_mul_hi_u32 s14, s11, s14
	s_mul_hi_u32 s27, s11, s24
	s_mul_i32 s11, s11, s24
	s_mul_hi_u32 s23, s7, s24
	s_add_u32 s11, s14, s11
	s_addc_u32 s14, 0, s27
	s_add_u32 s11, s11, s26
	s_mul_i32 s24, s7, s24
	s_addc_u32 s11, s14, s25
	s_addc_u32 s14, s23, 0
	s_add_u32 s11, s11, s24
	s_addc_u32 s14, 0, s14
	v_add_co_u32 v1, s11, v1, s11
	s_delay_alu instid0(VALU_DEP_1) | instskip(SKIP_1) | instid1(VALU_DEP_1)
	s_cmp_lg_u32 s11, 0
	s_addc_u32 s7, s7, s14
	v_readfirstlane_b32 s11, v1
	s_mul_i32 s14, s15, s7
	s_mul_hi_u32 s7, s15, s7
	s_delay_alu instid0(VALU_DEP_1) | instskip(NEXT) | instid1(SALU_CYCLE_1)
	s_mul_hi_u32 s11, s15, s11
	s_add_u32 s11, s11, s14
	s_addc_u32 s7, 0, s7
	s_add_u32 s11, s11, 0
	s_addc_u32 s7, s7, 0
	s_addc_u32 s11, 0, 0
	s_add_u32 s7, s7, 0
	s_addc_u32 s11, 0, s11
	s_mul_hi_u32 s14, s20, s7
	s_mul_i32 s24, s20, s11
	s_mul_i32 s25, s20, s7
	s_add_i32 s14, s14, s24
	v_sub_co_u32 v1, s24, s15, s25
	s_mul_i32 s23, s21, s7
	s_delay_alu instid0(SALU_CYCLE_1) | instskip(NEXT) | instid1(VALU_DEP_1)
	s_add_i32 s14, s14, s23
	v_sub_co_u32 v2, s25, v1, s20
	s_sub_i32 s23, 0, s14
	s_cmp_lg_u32 s24, 0
	s_subb_u32 s23, s23, s21
	s_cmp_lg_u32 s25, 0
	v_readfirstlane_b32 s25, v2
	s_subb_u32 s23, s23, 0
	s_delay_alu instid0(SALU_CYCLE_1) | instskip(SKIP_1) | instid1(VALU_DEP_1)
	s_cmp_ge_u32 s23, s21
	s_cselect_b32 s26, -1, 0
	s_cmp_ge_u32 s25, s20
	s_cselect_b32 s25, -1, 0
	s_cmp_eq_u32 s23, s21
	s_cselect_b32 s23, s25, s26
	s_add_u32 s25, s7, 1
	s_addc_u32 s26, s11, 0
	s_add_u32 s27, s7, 2
	s_addc_u32 s28, s11, 0
	s_cmp_lg_u32 s23, 0
	s_cselect_b32 s23, s27, s25
	s_cselect_b32 s25, s28, s26
	s_cmp_lg_u32 s24, 0
	v_readfirstlane_b32 s24, v1
	s_subb_u32 s14, 0, s14
	s_delay_alu instid0(SALU_CYCLE_1) | instskip(SKIP_1) | instid1(VALU_DEP_1)
	s_cmp_ge_u32 s14, s21
	s_cselect_b32 s26, -1, 0
	s_cmp_ge_u32 s24, s20
	s_cselect_b32 s20, -1, 0
	s_cmp_eq_u32 s14, s21
	s_cselect_b32 s14, s20, s26
	s_delay_alu instid0(SALU_CYCLE_1) | instskip(SKIP_2) | instid1(SALU_CYCLE_1)
	s_cmp_lg_u32 s14, 0
	s_cselect_b32 s21, s25, s11
	s_cselect_b32 s20, s23, s7
	s_xor_b64 s[20:21], s[20:21], s[12:13]
	s_delay_alu instid0(SALU_CYCLE_1)
	s_sub_u32 s26, s20, s12
	s_subb_u32 s27, s21, s12
	s_load_b64 s[24:25], s[0:1], 0x38
	s_and_not1_b32 vcc_lo, exec_lo, s10
	s_cbranch_vccnz .LBB84_5
.LBB84_4:
	v_cvt_f32_u32_e32 v1, s16
	s_sub_i32 s10, 0, s16
	s_mov_b32 s27, 0
	s_delay_alu instid0(VALU_DEP_1) | instskip(SKIP_2) | instid1(VALU_DEP_1)
	v_rcp_iflag_f32_e32 v1, v1
	s_waitcnt_depctr 0xfff
	v_mul_f32_e32 v1, 0x4f7ffffe, v1
	v_cvt_u32_f32_e32 v1, v1
	s_delay_alu instid0(VALU_DEP_1) | instskip(NEXT) | instid1(VALU_DEP_1)
	v_readfirstlane_b32 s7, v1
	s_mul_i32 s10, s10, s7
	s_delay_alu instid0(SALU_CYCLE_1) | instskip(NEXT) | instid1(SALU_CYCLE_1)
	s_mul_hi_u32 s10, s7, s10
	s_add_i32 s7, s7, s10
	s_delay_alu instid0(SALU_CYCLE_1) | instskip(NEXT) | instid1(SALU_CYCLE_1)
	s_mul_hi_u32 s7, s15, s7
	s_mul_i32 s10, s7, s16
	s_add_i32 s11, s7, 1
	s_sub_i32 s10, s15, s10
	s_delay_alu instid0(SALU_CYCLE_1)
	s_sub_i32 s12, s10, s16
	s_cmp_ge_u32 s10, s16
	s_cselect_b32 s7, s11, s7
	s_cselect_b32 s10, s12, s10
	s_add_i32 s11, s7, 1
	s_cmp_ge_u32 s10, s16
	s_cselect_b32 s26, s11, s7
.LBB84_5:
	s_delay_alu instid0(SALU_CYCLE_1)
	s_mul_i32 s7, s26, s17
	s_mul_hi_u32 s10, s26, s16
	v_mov_b32_e32 v1, 0
	s_add_i32 s7, s10, s7
	s_mul_i32 s10, s27, s16
	s_mul_i32 s16, s26, s16
	s_add_i32 s17, s7, s10
	s_sub_u32 s10, s15, s16
	s_subb_u32 s11, 0, s17
	v_mov_b32_e32 v8, v1
	s_lshl_b64 s[10:11], s[10:11], 3
	s_waitcnt lgkmcnt(0)
	s_add_u32 s8, s8, s10
	s_addc_u32 s9, s9, s11
	s_load_b64 s[20:21], s[8:9], 0x0
	s_load_b128 s[8:11], s[0:1], 0x40
	s_waitcnt lgkmcnt(0)
	s_lshl_b64 s[12:13], s[20:21], 3
	s_mul_i32 s7, s21, s8
	s_add_u32 s2, s2, s12
	s_addc_u32 s3, s3, s13
	s_load_b128 s[12:15], s[2:3], 0x0
	s_lshl_b64 s[2:3], s[26:27], 6
	s_delay_alu instid0(SALU_CYCLE_1) | instskip(SKIP_3) | instid1(SALU_CYCLE_1)
	v_or_b32_e32 v2, s2, v0
	v_mov_b32_e32 v3, s3
	s_mul_i32 s2, s20, s9
	s_mul_hi_u32 s3, s20, s8
	s_add_i32 s3, s3, s2
	s_delay_alu instid0(VALU_DEP_1) | instskip(SKIP_2) | instid1(VALU_DEP_1)
	v_cmp_gt_i64_e64 s2, s[18:19], v[2:3]
	s_add_i32 s19, s3, s7
	s_mul_i32 s18, s20, s8
	s_and_saveexec_b32 s3, s2
	s_cbranch_execz .LBB84_7
; %bb.6:
	v_add_co_u32 v4, vcc_lo, v2, s18
	v_add_co_ci_u32_e32 v5, vcc_lo, s19, v3, vcc_lo
	s_delay_alu instid0(VALU_DEP_1) | instskip(NEXT) | instid1(VALU_DEP_1)
	v_lshlrev_b64 v[4:5], 2, v[4:5]
	v_add_co_u32 v4, vcc_lo, s24, v4
	s_delay_alu instid0(VALU_DEP_2)
	v_add_co_ci_u32_e32 v5, vcc_lo, s25, v5, vcc_lo
	global_load_b32 v4, v[4:5], off
	s_waitcnt vmcnt(0)
	v_mul_f32_e32 v8, s22, v4
.LBB84_7:
	s_or_b32 exec_lo, exec_lo, s3
	v_lshlrev_b64 v[2:3], 2, v[2:3]
	s_waitcnt lgkmcnt(0)
	v_cmp_ge_i64_e64 s3, s[12:13], s[14:15]
	s_delay_alu instid0(VALU_DEP_2) | instskip(NEXT) | instid1(VALU_DEP_3)
	v_add_co_u32 v4, vcc_lo, s24, v2
	v_add_co_ci_u32_e32 v5, vcc_lo, s25, v3, vcc_lo
	s_delay_alu instid0(VALU_DEP_3)
	s_and_b32 vcc_lo, exec_lo, s3
	v_mov_b32_e32 v3, 1.0
	v_cmp_eq_u32_e64 s3, 0, v0
	s_cbranch_vccnz .LBB84_48
; %bb.8:
	s_clause 0x1
	s_load_b128 s[24:27], s[0:1], 0x28
	s_load_b64 s[22:23], s[0:1], 0x58
	s_lshl_b64 s[0:1], s[16:17], 2
	v_dual_mov_b32 v13, 0 :: v_dual_lshlrev_b32 v6, 3, v0
	s_add_u32 s7, s10, s0
	s_addc_u32 s33, s11, s1
	v_lshlrev_b32_e32 v2, 2, v0
	s_sub_u32 s12, s12, s4
	s_subb_u32 s13, s13, 0
	s_sub_u32 s14, s14, s4
	s_subb_u32 s15, s15, 0
	s_cmp_lg_u32 s6, 0
	v_or_b32_e32 v7, 0x200, v2
	s_cselect_b32 s34, -1, 0
	v_mov_b32_e32 v14, 1.0
	s_waitcnt lgkmcnt(0)
	v_add_co_u32 v9, s0, s24, v6
	s_delay_alu instid0(VALU_DEP_1)
	v_add_co_ci_u32_e64 v10, null, s25, 0, s0
	v_add_co_u32 v11, s0, s26, v2
	s_add_u32 s24, s20, s4
	v_add_co_ci_u32_e64 v12, null, s27, 0, s0
	v_cmp_ne_u32_e64 s0, 0, v0
	s_addc_u32 s25, s21, 0
	s_cmp_eq_u32 s6, 0
	s_mov_b64 s[26:27], s[12:13]
	s_cselect_b32 s1, -1, 0
	s_branch .LBB84_10
.LBB84_9:                               ;   in Loop: Header=BB84_10 Depth=1
	s_add_u32 s26, s26, 1
	s_addc_u32 s27, s27, 0
	s_delay_alu instid0(SALU_CYCLE_1) | instskip(SKIP_2) | instid1(VALU_DEP_3)
	v_cmp_ge_i64_e64 s13, s[26:27], s[14:15]
	v_mov_b32_e32 v8, v15
	v_mov_b32_e32 v14, v3
	s_and_not1_b32 vcc_lo, exec_lo, s13
	s_cbranch_vccz .LBB84_49
.LBB84_10:                              ; =>This Loop Header: Depth=1
                                        ;     Child Loop BB84_46 Depth 2
                                        ;       Child Loop BB84_47 Depth 3
	s_sub_i32 s13, s26, s12
	s_delay_alu instid0(SALU_CYCLE_1) | instskip(NEXT) | instid1(SALU_CYCLE_1)
	s_and_b32 s13, s13, 63
	s_cmp_lg_u32 s13, 0
	s_cbranch_scc1 .LBB84_14
; %bb.11:                               ;   in Loop: Header=BB84_10 Depth=1
	s_sub_u32 s28, s14, s26
	s_subb_u32 s29, s15, s27
	v_dual_mov_b32 v2, -1 :: v_dual_mov_b32 v15, -1.0
	v_cmp_gt_i64_e32 vcc_lo, s[28:29], v[0:1]
	v_mov_b32_e32 v3, -1
	s_and_saveexec_b32 s28, vcc_lo
	s_cbranch_execz .LBB84_13
; %bb.12:                               ;   in Loop: Header=BB84_10 Depth=1
	s_lshl_b64 s[30:31], s[26:27], 3
	s_delay_alu instid0(SALU_CYCLE_1) | instskip(SKIP_2) | instid1(SALU_CYCLE_1)
	v_add_co_u32 v2, vcc_lo, v9, s30
	v_add_co_ci_u32_e32 v3, vcc_lo, s31, v10, vcc_lo
	s_lshl_b64 s[30:31], s[26:27], 2
	v_add_co_u32 v15, vcc_lo, v11, s30
	global_load_b64 v[2:3], v[2:3], off
	v_add_co_ci_u32_e32 v16, vcc_lo, s31, v12, vcc_lo
	global_load_b32 v15, v[15:16], off
	s_waitcnt vmcnt(1)
	v_sub_co_u32 v2, vcc_lo, v2, s4
	v_subrev_co_ci_u32_e32 v3, vcc_lo, 0, v3, vcc_lo
.LBB84_13:                              ;   in Loop: Header=BB84_10 Depth=1
	s_or_b32 exec_lo, exec_lo, s28
	ds_store_b64 v6, v[2:3]
	s_waitcnt vmcnt(0)
	ds_store_b32 v7, v15
.LBB84_14:                              ;   in Loop: Header=BB84_10 Depth=1
	s_lshl_b32 s28, s13, 3
	s_lshl_b32 s13, s13, 2
	s_delay_alu instid0(SALU_CYCLE_1)
	v_dual_mov_b32 v2, s28 :: v_dual_mov_b32 v15, s13
	s_waitcnt lgkmcnt(0)
	s_waitcnt_vscnt null, 0x0
	s_barrier
	buffer_gl0_inv
	ds_load_b64 v[2:3], v2
	ds_load_b32 v15, v15 offset:512
	s_waitcnt lgkmcnt(1)
	v_readfirstlane_b32 s28, v2
	v_readfirstlane_b32 s29, v3
	s_waitcnt lgkmcnt(0)
	v_cmp_neq_f32_e32 vcc_lo, 0, v15
	s_delay_alu instid0(VALU_DEP_2) | instskip(SKIP_1) | instid1(SALU_CYCLE_1)
	s_cmp_lg_u64 s[28:29], s[20:21]
	s_cselect_b32 s13, -1, 0
	s_or_b32 s13, s34, s13
	s_delay_alu instid0(SALU_CYCLE_1) | instskip(SKIP_2) | instid1(SALU_CYCLE_1)
	s_or_b32 vcc_lo, vcc_lo, s13
	v_cndmask_b32_e32 v2, 1.0, v15, vcc_lo
	s_or_b32 s13, s0, vcc_lo
	s_xor_b32 s30, s13, -1
	s_delay_alu instid0(SALU_CYCLE_1)
	s_and_saveexec_b32 s13, s30
	s_cbranch_execz .LBB84_18
; %bb.15:                               ;   in Loop: Header=BB84_10 Depth=1
	v_mbcnt_lo_u32_b32 v2, exec_lo, 0
	s_mov_b32 s30, exec_lo
	s_delay_alu instid0(VALU_DEP_1)
	v_cmpx_eq_u32_e32 0, v2
	s_cbranch_execz .LBB84_17
; %bb.16:                               ;   in Loop: Header=BB84_10 Depth=1
	v_dual_mov_b32 v2, s24 :: v_dual_mov_b32 v3, s25
	global_atomic_min_u64 v13, v[2:3], s[22:23]
.LBB84_17:                              ;   in Loop: Header=BB84_10 Depth=1
	s_or_b32 exec_lo, exec_lo, s30
	v_mov_b32_e32 v2, 1.0
.LBB84_18:                              ;   in Loop: Header=BB84_10 Depth=1
	s_or_b32 exec_lo, exec_lo, s13
	s_cmp_lt_i32 s5, 1
	s_mov_b32 s13, 0
	s_cbranch_scc1 .LBB84_23
; %bb.19:                               ;   in Loop: Header=BB84_10 Depth=1
	s_cmp_eq_u32 s5, 1
	s_cbranch_scc0 .LBB84_24
; %bb.20:                               ;   in Loop: Header=BB84_10 Depth=1
	v_cmp_ge_i64_e64 s30, s[28:29], s[20:21]
	v_mov_b32_e32 v3, v14
	s_delay_alu instid0(VALU_DEP_2)
	s_and_b32 vcc_lo, exec_lo, s30
	s_mov_b32 s30, 0
	s_cbranch_vccz .LBB84_26
; %bb.21:                               ;   in Loop: Header=BB84_10 Depth=1
	s_cmp_eq_u64 s[28:29], s[20:21]
	s_cbranch_scc0 .LBB84_25
; %bb.22:                               ;   in Loop: Header=BB84_10 Depth=1
	v_div_scale_f32 v3, null, v2, v2, 1.0
	s_delay_alu instid0(VALU_DEP_1) | instskip(SKIP_2) | instid1(VALU_DEP_1)
	v_rcp_f32_e32 v15, v3
	s_waitcnt_depctr 0xfff
	v_fma_f32 v16, -v3, v15, 1.0
	v_fmac_f32_e32 v15, v16, v15
	v_div_scale_f32 v16, vcc_lo, 1.0, v2, 1.0
	s_delay_alu instid0(VALU_DEP_1) | instskip(NEXT) | instid1(VALU_DEP_1)
	v_mul_f32_e32 v17, v16, v15
	v_fma_f32 v18, -v3, v17, v16
	s_delay_alu instid0(VALU_DEP_1) | instskip(NEXT) | instid1(VALU_DEP_1)
	v_fmac_f32_e32 v17, v18, v15
	v_fma_f32 v3, -v3, v17, v16
	s_delay_alu instid0(VALU_DEP_1) | instskip(NEXT) | instid1(VALU_DEP_1)
	v_div_fmas_f32 v3, v3, v15, v17
	v_div_fixup_f32 v3, v3, v2, 1.0
	s_delay_alu instid0(VALU_DEP_1)
	v_cndmask_b32_e64 v3, v14, v3, s1
	s_branch .LBB84_26
.LBB84_23:                              ;   in Loop: Header=BB84_10 Depth=1
	s_mov_b32 s30, 0
                                        ; implicit-def: $vgpr15
                                        ; implicit-def: $vgpr3
                                        ; implicit-def: $sgpr31
	s_cbranch_execnz .LBB84_27
	s_branch .LBB84_29
.LBB84_24:                              ;   in Loop: Header=BB84_10 Depth=1
	s_mov_b32 s30, -1
                                        ; implicit-def: $vgpr15
                                        ; implicit-def: $vgpr3
                                        ; implicit-def: $sgpr31
	s_branch .LBB84_29
.LBB84_25:                              ;   in Loop: Header=BB84_10 Depth=1
	s_mov_b32 s30, -1
                                        ; implicit-def: $vgpr3
.LBB84_26:                              ;   in Loop: Header=BB84_10 Depth=1
	v_mov_b32_e32 v15, v8
	s_mov_b32 s31, 4
	s_branch .LBB84_29
.LBB84_27:                              ;   in Loop: Header=BB84_10 Depth=1
	s_cmp_eq_u32 s5, 0
	s_cbranch_scc1 .LBB84_33
; %bb.28:                               ;   in Loop: Header=BB84_10 Depth=1
	s_mov_b32 s30, -1
                                        ; implicit-def: $vgpr15
                                        ; implicit-def: $vgpr3
                                        ; implicit-def: $sgpr31
.LBB84_29:                              ;   in Loop: Header=BB84_10 Depth=1
	s_delay_alu instid0(SALU_CYCLE_1)
	s_and_b32 vcc_lo, exec_lo, s30
	s_cbranch_vccnz .LBB84_36
.LBB84_30:                              ;   in Loop: Header=BB84_10 Depth=1
	s_and_b32 vcc_lo, exec_lo, s13
	s_cbranch_vccnz .LBB84_41
.LBB84_31:                              ;   in Loop: Header=BB84_10 Depth=1
	s_cmp_gt_i32 s31, 3
	s_mov_b32 s13, -1
	s_cbranch_scc1 .LBB84_42
.LBB84_32:                              ;   in Loop: Header=BB84_10 Depth=1
	s_cmp_eq_u32 s31, 0
	s_cselect_b32 s28, -1, 0
	s_delay_alu instid0(SALU_CYCLE_1)
	s_and_not1_b32 vcc_lo, exec_lo, s28
	s_cbranch_vccz .LBB84_9
	s_branch .LBB84_43
.LBB84_33:                              ;   in Loop: Header=BB84_10 Depth=1
	v_cmp_le_i64_e64 s30, s[28:29], s[20:21]
	s_delay_alu instid0(VALU_DEP_1)
	s_and_b32 vcc_lo, exec_lo, s30
	s_mov_b32 s30, 0
	s_cbranch_vccz .LBB84_35
; %bb.34:                               ;   in Loop: Header=BB84_10 Depth=1
	s_cmp_lg_u64 s[28:29], s[20:21]
	s_mov_b32 s13, -1
	s_cselect_b32 s30, -1, 0
.LBB84_35:                              ;   in Loop: Header=BB84_10 Depth=1
	v_mov_b32_e32 v15, v8
	v_mov_b32_e32 v3, v14
	s_mov_b32 s31, 2
	s_and_b32 vcc_lo, exec_lo, s30
	s_cbranch_vccz .LBB84_30
.LBB84_36:                              ;   in Loop: Header=BB84_10 Depth=1
	s_and_saveexec_b32 s13, s3
	s_cbranch_execz .LBB84_38
; %bb.37:                               ;   in Loop: Header=BB84_10 Depth=1
	s_lshl_b64 s[30:31], s[28:29], 2
	s_delay_alu instid0(SALU_CYCLE_1)
	s_add_u32 s30, s7, s30
	s_addc_u32 s31, s33, s31
	global_load_b32 v3, v13, s[30:31] glc
	s_waitcnt vmcnt(0)
	v_cmp_ne_u32_e32 vcc_lo, 0, v3
	s_cbranch_vccz .LBB84_44
.LBB84_38:                              ;   in Loop: Header=BB84_10 Depth=1
	s_or_b32 exec_lo, exec_lo, s13
	v_mov_b32_e32 v15, 0
	s_waitcnt_vscnt null, 0x0
	s_barrier
	buffer_gl0_inv
	buffer_gl1_inv
	buffer_gl0_inv
	s_and_saveexec_b32 s13, s2
	s_cbranch_execz .LBB84_40
; %bb.39:                               ;   in Loop: Header=BB84_10 Depth=1
	s_mul_i32 s30, s28, s9
	s_mul_hi_u32 s31, s28, s8
	s_mul_i32 s29, s29, s8
	s_add_i32 s30, s31, s30
	s_mul_i32 s28, s28, s8
	s_add_i32 s29, s30, s29
	s_delay_alu instid0(SALU_CYCLE_1) | instskip(NEXT) | instid1(SALU_CYCLE_1)
	s_lshl_b64 s[28:29], s[28:29], 2
	v_add_co_u32 v15, vcc_lo, v4, s28
	v_add_co_ci_u32_e32 v16, vcc_lo, s29, v5, vcc_lo
	global_load_b32 v3, v[15:16], off
	s_waitcnt vmcnt(0)
	v_fma_f32 v15, -v2, v3, v8
.LBB84_40:                              ;   in Loop: Header=BB84_10 Depth=1
	s_or_b32 exec_lo, exec_lo, s13
	v_mov_b32_e32 v3, v14
	s_mov_b32 s31, 0
	s_branch .LBB84_31
.LBB84_41:                              ;   in Loop: Header=BB84_10 Depth=1
	v_div_scale_f32 v3, null, v2, v2, 1.0
	v_div_scale_f32 v17, vcc_lo, 1.0, v2, 1.0
	s_mov_b32 s31, 2
	s_delay_alu instid0(VALU_DEP_2) | instskip(SKIP_2) | instid1(VALU_DEP_1)
	v_rcp_f32_e32 v15, v3
	s_waitcnt_depctr 0xfff
	v_fma_f32 v16, -v3, v15, 1.0
	v_fmac_f32_e32 v15, v16, v15
	s_delay_alu instid0(VALU_DEP_1) | instskip(NEXT) | instid1(VALU_DEP_1)
	v_mul_f32_e32 v16, v17, v15
	v_fma_f32 v18, -v3, v16, v17
	s_delay_alu instid0(VALU_DEP_1) | instskip(NEXT) | instid1(VALU_DEP_1)
	v_fmac_f32_e32 v16, v18, v15
	v_fma_f32 v3, -v3, v16, v17
	s_delay_alu instid0(VALU_DEP_1) | instskip(SKIP_1) | instid1(VALU_DEP_2)
	v_div_fmas_f32 v3, v3, v15, v16
	v_mov_b32_e32 v15, v8
	v_div_fixup_f32 v2, v3, v2, 1.0
	s_delay_alu instid0(VALU_DEP_1)
	v_cndmask_b32_e64 v3, v14, v2, s1
	s_cmp_gt_i32 s31, 3
	s_mov_b32 s13, -1
	s_cbranch_scc0 .LBB84_32
.LBB84_42:                              ;   in Loop: Header=BB84_10 Depth=1
	s_branch .LBB84_9
.LBB84_43:                              ;   in Loop: Header=BB84_10 Depth=1
                                        ; implicit-def: $sgpr26_sgpr27
	v_mov_b32_e32 v8, v15
	v_mov_b32_e32 v14, v3
	s_and_not1_b32 vcc_lo, exec_lo, s13
	s_cbranch_vccnz .LBB84_10
	s_branch .LBB84_49
.LBB84_44:                              ;   in Loop: Header=BB84_10 Depth=1
	s_mov_b32 s35, 0
	s_branch .LBB84_46
	.p2align	6
.LBB84_45:                              ;   in Loop: Header=BB84_46 Depth=2
	global_load_b32 v3, v13, s[30:31] glc
	s_cmpk_lt_u32 s35, 0xf43
	s_cselect_b32 s36, -1, 0
	s_delay_alu instid0(SALU_CYCLE_1)
	s_cmp_lg_u32 s36, 0
	s_addc_u32 s35, s35, 0
	s_waitcnt vmcnt(0)
	v_cmp_ne_u32_e32 vcc_lo, 0, v3
	s_cbranch_vccnz .LBB84_38
.LBB84_46:                              ;   Parent Loop BB84_10 Depth=1
                                        ; =>  This Loop Header: Depth=2
                                        ;       Child Loop BB84_47 Depth 3
	s_cmp_eq_u32 s35, 0
	s_mov_b32 s36, s35
	s_cbranch_scc1 .LBB84_45
.LBB84_47:                              ;   Parent Loop BB84_10 Depth=1
                                        ;     Parent Loop BB84_46 Depth=2
                                        ; =>    This Inner Loop Header: Depth=3
	s_add_i32 s36, s36, -1
	s_sleep 1
	s_cmp_eq_u32 s36, 0
	s_cbranch_scc0 .LBB84_47
	s_branch .LBB84_45
.LBB84_48:
	v_mov_b32_e32 v15, v8
.LBB84_49:
	s_and_saveexec_b32 s0, s2
	s_cbranch_execz .LBB84_51
; %bb.50:
	s_delay_alu instid0(VALU_DEP_1) | instskip(SKIP_3) | instid1(VALU_DEP_1)
	v_mul_f32_e32 v1, v3, v15
	s_cmp_eq_u32 s6, 0
	s_cselect_b32 vcc_lo, -1, 0
	s_lshl_b64 s[2:3], s[18:19], 2
	v_cndmask_b32_e32 v3, v15, v1, vcc_lo
	v_add_co_u32 v1, vcc_lo, v4, s2
	v_add_co_ci_u32_e32 v2, vcc_lo, s3, v5, vcc_lo
	global_store_b32 v[1:2], v3, off
.LBB84_51:
	s_or_b32 exec_lo, exec_lo, s0
	s_waitcnt_vscnt null, 0x0
	buffer_gl1_inv
	buffer_gl0_inv
	s_barrier
	buffer_gl0_inv
	s_mov_b32 s0, exec_lo
	v_cmpx_eq_u32_e32 0, v0
	s_cbranch_execz .LBB84_53
; %bb.52:
	s_lshl_b64 s[0:1], s[20:21], 2
	v_dual_mov_b32 v0, 0 :: v_dual_mov_b32 v1, 1
	s_add_u32 s2, s10, s0
	s_addc_u32 s3, s11, s1
	s_lshl_b64 s[0:1], s[16:17], 2
	s_delay_alu instid0(SALU_CYCLE_1)
	s_add_u32 s0, s2, s0
	s_addc_u32 s1, s3, s1
	global_store_b32 v0, v1, s[0:1]
.LBB84_53:
	s_nop 0
	s_sendmsg sendmsg(MSG_DEALLOC_VGPRS)
	s_endpgm
.LBB84_54:
                                        ; implicit-def: $sgpr26_sgpr27
	s_load_b64 s[24:25], s[0:1], 0x38
	s_branch .LBB84_4
	.section	.rodata,"a",@progbits
	.p2align	6, 0x0
	.amdhsa_kernel _ZN9rocsparseL5csrsmILj64ELj64ELb1EllfEEv20rocsparse_operation_T3_S2_NS_24const_host_device_scalarIT4_EEPKT2_PKS2_PKS4_PS4_lPiSA_PS2_21rocsparse_index_base_20rocsparse_fill_mode_20rocsparse_diag_type_b
		.amdhsa_group_segment_fixed_size 768
		.amdhsa_private_segment_fixed_size 0
		.amdhsa_kernarg_size 112
		.amdhsa_user_sgpr_count 15
		.amdhsa_user_sgpr_dispatch_ptr 0
		.amdhsa_user_sgpr_queue_ptr 0
		.amdhsa_user_sgpr_kernarg_segment_ptr 1
		.amdhsa_user_sgpr_dispatch_id 0
		.amdhsa_user_sgpr_private_segment_size 0
		.amdhsa_wavefront_size32 1
		.amdhsa_uses_dynamic_stack 0
		.amdhsa_enable_private_segment 0
		.amdhsa_system_sgpr_workgroup_id_x 1
		.amdhsa_system_sgpr_workgroup_id_y 0
		.amdhsa_system_sgpr_workgroup_id_z 0
		.amdhsa_system_sgpr_workgroup_info 0
		.amdhsa_system_vgpr_workitem_id 0
		.amdhsa_next_free_vgpr 19
		.amdhsa_next_free_sgpr 37
		.amdhsa_reserve_vcc 1
		.amdhsa_float_round_mode_32 0
		.amdhsa_float_round_mode_16_64 0
		.amdhsa_float_denorm_mode_32 3
		.amdhsa_float_denorm_mode_16_64 3
		.amdhsa_dx10_clamp 1
		.amdhsa_ieee_mode 1
		.amdhsa_fp16_overflow 0
		.amdhsa_workgroup_processor_mode 1
		.amdhsa_memory_ordered 1
		.amdhsa_forward_progress 0
		.amdhsa_shared_vgpr_count 0
		.amdhsa_exception_fp_ieee_invalid_op 0
		.amdhsa_exception_fp_denorm_src 0
		.amdhsa_exception_fp_ieee_div_zero 0
		.amdhsa_exception_fp_ieee_overflow 0
		.amdhsa_exception_fp_ieee_underflow 0
		.amdhsa_exception_fp_ieee_inexact 0
		.amdhsa_exception_int_div_zero 0
	.end_amdhsa_kernel
	.section	.text._ZN9rocsparseL5csrsmILj64ELj64ELb1EllfEEv20rocsparse_operation_T3_S2_NS_24const_host_device_scalarIT4_EEPKT2_PKS2_PKS4_PS4_lPiSA_PS2_21rocsparse_index_base_20rocsparse_fill_mode_20rocsparse_diag_type_b,"axG",@progbits,_ZN9rocsparseL5csrsmILj64ELj64ELb1EllfEEv20rocsparse_operation_T3_S2_NS_24const_host_device_scalarIT4_EEPKT2_PKS2_PKS4_PS4_lPiSA_PS2_21rocsparse_index_base_20rocsparse_fill_mode_20rocsparse_diag_type_b,comdat
.Lfunc_end84:
	.size	_ZN9rocsparseL5csrsmILj64ELj64ELb1EllfEEv20rocsparse_operation_T3_S2_NS_24const_host_device_scalarIT4_EEPKT2_PKS2_PKS4_PS4_lPiSA_PS2_21rocsparse_index_base_20rocsparse_fill_mode_20rocsparse_diag_type_b, .Lfunc_end84-_ZN9rocsparseL5csrsmILj64ELj64ELb1EllfEEv20rocsparse_operation_T3_S2_NS_24const_host_device_scalarIT4_EEPKT2_PKS2_PKS4_PS4_lPiSA_PS2_21rocsparse_index_base_20rocsparse_fill_mode_20rocsparse_diag_type_b
                                        ; -- End function
	.section	.AMDGPU.csdata,"",@progbits
; Kernel info:
; codeLenInByte = 2488
; NumSgprs: 39
; NumVgprs: 19
; ScratchSize: 0
; MemoryBound: 0
; FloatMode: 240
; IeeeMode: 1
; LDSByteSize: 768 bytes/workgroup (compile time only)
; SGPRBlocks: 4
; VGPRBlocks: 2
; NumSGPRsForWavesPerEU: 39
; NumVGPRsForWavesPerEU: 19
; Occupancy: 16
; WaveLimiterHint : 1
; COMPUTE_PGM_RSRC2:SCRATCH_EN: 0
; COMPUTE_PGM_RSRC2:USER_SGPR: 15
; COMPUTE_PGM_RSRC2:TRAP_HANDLER: 0
; COMPUTE_PGM_RSRC2:TGID_X_EN: 1
; COMPUTE_PGM_RSRC2:TGID_Y_EN: 0
; COMPUTE_PGM_RSRC2:TGID_Z_EN: 0
; COMPUTE_PGM_RSRC2:TIDIG_COMP_CNT: 0
	.section	.text._ZN9rocsparseL5csrsmILj64ELj64ELb0EllfEEv20rocsparse_operation_T3_S2_NS_24const_host_device_scalarIT4_EEPKT2_PKS2_PKS4_PS4_lPiSA_PS2_21rocsparse_index_base_20rocsparse_fill_mode_20rocsparse_diag_type_b,"axG",@progbits,_ZN9rocsparseL5csrsmILj64ELj64ELb0EllfEEv20rocsparse_operation_T3_S2_NS_24const_host_device_scalarIT4_EEPKT2_PKS2_PKS4_PS4_lPiSA_PS2_21rocsparse_index_base_20rocsparse_fill_mode_20rocsparse_diag_type_b,comdat
	.globl	_ZN9rocsparseL5csrsmILj64ELj64ELb0EllfEEv20rocsparse_operation_T3_S2_NS_24const_host_device_scalarIT4_EEPKT2_PKS2_PKS4_PS4_lPiSA_PS2_21rocsparse_index_base_20rocsparse_fill_mode_20rocsparse_diag_type_b ; -- Begin function _ZN9rocsparseL5csrsmILj64ELj64ELb0EllfEEv20rocsparse_operation_T3_S2_NS_24const_host_device_scalarIT4_EEPKT2_PKS2_PKS4_PS4_lPiSA_PS2_21rocsparse_index_base_20rocsparse_fill_mode_20rocsparse_diag_type_b
	.p2align	8
	.type	_ZN9rocsparseL5csrsmILj64ELj64ELb0EllfEEv20rocsparse_operation_T3_S2_NS_24const_host_device_scalarIT4_EEPKT2_PKS2_PKS4_PS4_lPiSA_PS2_21rocsparse_index_base_20rocsparse_fill_mode_20rocsparse_diag_type_b,@function
_ZN9rocsparseL5csrsmILj64ELj64ELb0EllfEEv20rocsparse_operation_T3_S2_NS_24const_host_device_scalarIT4_EEPKT2_PKS2_PKS4_PS4_lPiSA_PS2_21rocsparse_index_base_20rocsparse_fill_mode_20rocsparse_diag_type_b: ; @_ZN9rocsparseL5csrsmILj64ELj64ELb0EllfEEv20rocsparse_operation_T3_S2_NS_24const_host_device_scalarIT4_EEPKT2_PKS2_PKS4_PS4_lPiSA_PS2_21rocsparse_index_base_20rocsparse_fill_mode_20rocsparse_diag_type_b
; %bb.0:
	s_clause 0x2
	s_load_b128 s[4:7], s[0:1], 0x60
	s_load_b128 s[16:19], s[0:1], 0x8
	s_load_b64 s[22:23], s[0:1], 0x18
	s_waitcnt lgkmcnt(0)
	s_bitcmp1_b32 s7, 0
	s_cselect_b32 s2, -1, 0
	s_delay_alu instid0(SALU_CYCLE_1)
	s_and_b32 vcc_lo, exec_lo, s2
	s_cbranch_vccnz .LBB85_2
; %bb.1:
	s_load_b32 s22, s[22:23], 0x0
.LBB85_2:
	s_clause 0x1
	s_load_b64 s[8:9], s[0:1], 0x50
	s_load_b64 s[2:3], s[0:1], 0x20
	s_mov_b32 s10, 0
	s_mov_b32 s11, s17
	s_delay_alu instid0(SALU_CYCLE_1)
	s_cmp_lg_u64 s[10:11], 0
	s_cbranch_scc0 .LBB85_51
; %bb.3:
	s_ashr_i32 s12, s17, 31
	s_delay_alu instid0(SALU_CYCLE_1) | instskip(SKIP_2) | instid1(SALU_CYCLE_1)
	s_add_u32 s20, s16, s12
	s_mov_b32 s13, s12
	s_addc_u32 s21, s17, s12
	s_xor_b64 s[20:21], s[20:21], s[12:13]
	s_delay_alu instid0(SALU_CYCLE_1) | instskip(SKIP_3) | instid1(VALU_DEP_1)
	v_cvt_f32_u32_e32 v1, s20
	v_cvt_f32_u32_e32 v2, s21
	s_sub_u32 s14, 0, s20
	s_subb_u32 s23, 0, s21
	v_fmamk_f32 v1, v2, 0x4f800000, v1
	s_delay_alu instid0(VALU_DEP_1) | instskip(SKIP_2) | instid1(VALU_DEP_1)
	v_rcp_f32_e32 v1, v1
	s_waitcnt_depctr 0xfff
	v_mul_f32_e32 v1, 0x5f7ffffc, v1
	v_mul_f32_e32 v2, 0x2f800000, v1
	s_delay_alu instid0(VALU_DEP_1) | instskip(NEXT) | instid1(VALU_DEP_1)
	v_trunc_f32_e32 v2, v2
	v_fmamk_f32 v1, v2, 0xcf800000, v1
	v_cvt_u32_f32_e32 v2, v2
	s_delay_alu instid0(VALU_DEP_2) | instskip(NEXT) | instid1(VALU_DEP_2)
	v_cvt_u32_f32_e32 v1, v1
	v_readfirstlane_b32 s7, v2
	s_delay_alu instid0(VALU_DEP_2) | instskip(NEXT) | instid1(VALU_DEP_2)
	v_readfirstlane_b32 s11, v1
	s_mul_i32 s24, s14, s7
	s_delay_alu instid0(VALU_DEP_1)
	s_mul_hi_u32 s26, s14, s11
	s_mul_i32 s25, s23, s11
	s_add_i32 s24, s26, s24
	s_mul_i32 s27, s14, s11
	s_add_i32 s24, s24, s25
	s_mul_hi_u32 s26, s11, s27
	s_mul_hi_u32 s28, s7, s27
	s_mul_i32 s25, s7, s27
	s_mul_hi_u32 s27, s11, s24
	s_mul_i32 s11, s11, s24
	s_mul_hi_u32 s29, s7, s24
	s_add_u32 s11, s26, s11
	s_addc_u32 s26, 0, s27
	s_add_u32 s11, s11, s25
	s_mul_i32 s24, s7, s24
	s_addc_u32 s11, s26, s28
	s_addc_u32 s25, s29, 0
	s_add_u32 s11, s11, s24
	s_addc_u32 s24, 0, s25
	v_add_co_u32 v1, s11, v1, s11
	s_delay_alu instid0(VALU_DEP_1) | instskip(SKIP_1) | instid1(VALU_DEP_1)
	s_cmp_lg_u32 s11, 0
	s_addc_u32 s7, s7, s24
	v_readfirstlane_b32 s11, v1
	s_mul_i32 s24, s14, s7
	s_delay_alu instid0(VALU_DEP_1)
	s_mul_hi_u32 s25, s14, s11
	s_mul_i32 s23, s23, s11
	s_add_i32 s24, s25, s24
	s_mul_i32 s14, s14, s11
	s_add_i32 s24, s24, s23
	s_mul_hi_u32 s25, s7, s14
	s_mul_i32 s26, s7, s14
	s_mul_hi_u32 s14, s11, s14
	s_mul_hi_u32 s27, s11, s24
	s_mul_i32 s11, s11, s24
	s_mul_hi_u32 s23, s7, s24
	s_add_u32 s11, s14, s11
	s_addc_u32 s14, 0, s27
	s_add_u32 s11, s11, s26
	s_mul_i32 s24, s7, s24
	s_addc_u32 s11, s14, s25
	s_addc_u32 s14, s23, 0
	s_add_u32 s11, s11, s24
	s_addc_u32 s14, 0, s14
	v_add_co_u32 v1, s11, v1, s11
	s_delay_alu instid0(VALU_DEP_1) | instskip(SKIP_1) | instid1(VALU_DEP_1)
	s_cmp_lg_u32 s11, 0
	s_addc_u32 s7, s7, s14
	v_readfirstlane_b32 s11, v1
	s_mul_i32 s14, s15, s7
	s_mul_hi_u32 s7, s15, s7
	s_delay_alu instid0(VALU_DEP_1) | instskip(NEXT) | instid1(SALU_CYCLE_1)
	s_mul_hi_u32 s11, s15, s11
	s_add_u32 s11, s11, s14
	s_addc_u32 s7, 0, s7
	s_add_u32 s11, s11, 0
	s_addc_u32 s7, s7, 0
	s_addc_u32 s11, 0, 0
	s_add_u32 s7, s7, 0
	s_addc_u32 s11, 0, s11
	s_mul_hi_u32 s14, s20, s7
	s_mul_i32 s24, s20, s11
	s_mul_i32 s25, s20, s7
	s_add_i32 s14, s14, s24
	v_sub_co_u32 v1, s24, s15, s25
	s_mul_i32 s23, s21, s7
	s_delay_alu instid0(SALU_CYCLE_1) | instskip(NEXT) | instid1(VALU_DEP_1)
	s_add_i32 s14, s14, s23
	v_sub_co_u32 v2, s25, v1, s20
	s_sub_i32 s23, 0, s14
	s_cmp_lg_u32 s24, 0
	s_subb_u32 s23, s23, s21
	s_cmp_lg_u32 s25, 0
	v_readfirstlane_b32 s25, v2
	s_subb_u32 s23, s23, 0
	s_delay_alu instid0(SALU_CYCLE_1) | instskip(SKIP_1) | instid1(VALU_DEP_1)
	s_cmp_ge_u32 s23, s21
	s_cselect_b32 s26, -1, 0
	s_cmp_ge_u32 s25, s20
	s_cselect_b32 s25, -1, 0
	s_cmp_eq_u32 s23, s21
	s_cselect_b32 s23, s25, s26
	s_add_u32 s25, s7, 1
	s_addc_u32 s26, s11, 0
	s_add_u32 s27, s7, 2
	s_addc_u32 s28, s11, 0
	s_cmp_lg_u32 s23, 0
	s_cselect_b32 s23, s27, s25
	s_cselect_b32 s25, s28, s26
	s_cmp_lg_u32 s24, 0
	v_readfirstlane_b32 s24, v1
	s_subb_u32 s14, 0, s14
	s_delay_alu instid0(SALU_CYCLE_1) | instskip(SKIP_1) | instid1(VALU_DEP_1)
	s_cmp_ge_u32 s14, s21
	s_cselect_b32 s26, -1, 0
	s_cmp_ge_u32 s24, s20
	s_cselect_b32 s20, -1, 0
	s_cmp_eq_u32 s14, s21
	s_cselect_b32 s14, s20, s26
	s_delay_alu instid0(SALU_CYCLE_1) | instskip(SKIP_2) | instid1(SALU_CYCLE_1)
	s_cmp_lg_u32 s14, 0
	s_cselect_b32 s21, s25, s11
	s_cselect_b32 s20, s23, s7
	s_xor_b64 s[20:21], s[20:21], s[12:13]
	s_delay_alu instid0(SALU_CYCLE_1)
	s_sub_u32 s26, s20, s12
	s_subb_u32 s27, s21, s12
	s_load_b64 s[24:25], s[0:1], 0x38
	s_and_not1_b32 vcc_lo, exec_lo, s10
	s_cbranch_vccnz .LBB85_5
.LBB85_4:
	v_cvt_f32_u32_e32 v1, s16
	s_sub_i32 s10, 0, s16
	s_mov_b32 s27, 0
	s_delay_alu instid0(VALU_DEP_1) | instskip(SKIP_2) | instid1(VALU_DEP_1)
	v_rcp_iflag_f32_e32 v1, v1
	s_waitcnt_depctr 0xfff
	v_mul_f32_e32 v1, 0x4f7ffffe, v1
	v_cvt_u32_f32_e32 v1, v1
	s_delay_alu instid0(VALU_DEP_1) | instskip(NEXT) | instid1(VALU_DEP_1)
	v_readfirstlane_b32 s7, v1
	s_mul_i32 s10, s10, s7
	s_delay_alu instid0(SALU_CYCLE_1) | instskip(NEXT) | instid1(SALU_CYCLE_1)
	s_mul_hi_u32 s10, s7, s10
	s_add_i32 s7, s7, s10
	s_delay_alu instid0(SALU_CYCLE_1) | instskip(NEXT) | instid1(SALU_CYCLE_1)
	s_mul_hi_u32 s7, s15, s7
	s_mul_i32 s10, s7, s16
	s_add_i32 s11, s7, 1
	s_sub_i32 s10, s15, s10
	s_delay_alu instid0(SALU_CYCLE_1)
	s_sub_i32 s12, s10, s16
	s_cmp_ge_u32 s10, s16
	s_cselect_b32 s7, s11, s7
	s_cselect_b32 s10, s12, s10
	s_add_i32 s11, s7, 1
	s_cmp_ge_u32 s10, s16
	s_cselect_b32 s26, s11, s7
.LBB85_5:
	s_delay_alu instid0(SALU_CYCLE_1)
	s_mul_i32 s7, s26, s17
	s_mul_hi_u32 s10, s26, s16
	v_mov_b32_e32 v1, 0
	s_add_i32 s7, s10, s7
	s_mul_i32 s10, s27, s16
	s_mul_i32 s16, s26, s16
	s_add_i32 s17, s7, s10
	s_sub_u32 s10, s15, s16
	s_subb_u32 s11, 0, s17
	v_mov_b32_e32 v8, v1
	s_lshl_b64 s[10:11], s[10:11], 3
	s_waitcnt lgkmcnt(0)
	s_add_u32 s8, s8, s10
	s_addc_u32 s9, s9, s11
	s_load_b64 s[20:21], s[8:9], 0x0
	s_load_b128 s[8:11], s[0:1], 0x40
	s_waitcnt lgkmcnt(0)
	s_lshl_b64 s[12:13], s[20:21], 3
	s_mul_i32 s7, s21, s8
	s_add_u32 s2, s2, s12
	s_addc_u32 s3, s3, s13
	s_load_b128 s[12:15], s[2:3], 0x0
	s_lshl_b64 s[2:3], s[26:27], 6
	s_delay_alu instid0(SALU_CYCLE_1) | instskip(SKIP_3) | instid1(SALU_CYCLE_1)
	v_or_b32_e32 v2, s2, v0
	v_mov_b32_e32 v3, s3
	s_mul_i32 s2, s20, s9
	s_mul_hi_u32 s3, s20, s8
	s_add_i32 s3, s3, s2
	s_delay_alu instid0(VALU_DEP_1) | instskip(SKIP_2) | instid1(VALU_DEP_1)
	v_cmp_gt_i64_e64 s2, s[18:19], v[2:3]
	s_add_i32 s19, s3, s7
	s_mul_i32 s18, s20, s8
	s_and_saveexec_b32 s3, s2
	s_cbranch_execz .LBB85_7
; %bb.6:
	v_add_co_u32 v4, vcc_lo, v2, s18
	v_add_co_ci_u32_e32 v5, vcc_lo, s19, v3, vcc_lo
	s_delay_alu instid0(VALU_DEP_1) | instskip(NEXT) | instid1(VALU_DEP_1)
	v_lshlrev_b64 v[4:5], 2, v[4:5]
	v_add_co_u32 v4, vcc_lo, s24, v4
	s_delay_alu instid0(VALU_DEP_2)
	v_add_co_ci_u32_e32 v5, vcc_lo, s25, v5, vcc_lo
	global_load_b32 v4, v[4:5], off
	s_waitcnt vmcnt(0)
	v_mul_f32_e32 v8, s22, v4
.LBB85_7:
	s_or_b32 exec_lo, exec_lo, s3
	v_lshlrev_b64 v[2:3], 2, v[2:3]
	s_waitcnt lgkmcnt(0)
	v_cmp_ge_i64_e64 s3, s[12:13], s[14:15]
	s_delay_alu instid0(VALU_DEP_2) | instskip(NEXT) | instid1(VALU_DEP_3)
	v_add_co_u32 v4, vcc_lo, s24, v2
	v_add_co_ci_u32_e32 v5, vcc_lo, s25, v3, vcc_lo
	s_delay_alu instid0(VALU_DEP_3)
	s_and_b32 vcc_lo, exec_lo, s3
	v_mov_b32_e32 v3, 1.0
	v_cmp_eq_u32_e64 s3, 0, v0
	s_cbranch_vccnz .LBB85_45
; %bb.8:
	s_clause 0x1
	s_load_b128 s[24:27], s[0:1], 0x28
	s_load_b64 s[22:23], s[0:1], 0x58
	s_lshl_b64 s[0:1], s[16:17], 2
	v_dual_mov_b32 v13, 0 :: v_dual_lshlrev_b32 v6, 3, v0
	s_add_u32 s7, s10, s0
	s_addc_u32 s33, s11, s1
	v_lshlrev_b32_e32 v2, 2, v0
	s_sub_u32 s12, s12, s4
	s_subb_u32 s13, s13, 0
	s_sub_u32 s14, s14, s4
	s_subb_u32 s15, s15, 0
	s_cmp_lg_u32 s6, 0
	v_or_b32_e32 v7, 0x200, v2
	s_cselect_b32 s34, -1, 0
	v_mov_b32_e32 v14, 1.0
	s_waitcnt lgkmcnt(0)
	v_add_co_u32 v9, s0, s24, v6
	s_delay_alu instid0(VALU_DEP_1)
	v_add_co_ci_u32_e64 v10, null, s25, 0, s0
	v_add_co_u32 v11, s0, s26, v2
	s_add_u32 s24, s20, s4
	v_add_co_ci_u32_e64 v12, null, s27, 0, s0
	v_cmp_ne_u32_e64 s0, 0, v0
	s_addc_u32 s25, s21, 0
	s_cmp_eq_u32 s6, 0
	s_mov_b64 s[26:27], s[12:13]
	s_cselect_b32 s1, -1, 0
	s_branch .LBB85_10
.LBB85_9:                               ;   in Loop: Header=BB85_10 Depth=1
	s_add_u32 s26, s26, 1
	s_addc_u32 s27, s27, 0
	s_delay_alu instid0(SALU_CYCLE_1) | instskip(SKIP_2) | instid1(VALU_DEP_3)
	v_cmp_ge_i64_e64 s13, s[26:27], s[14:15]
	v_mov_b32_e32 v8, v15
	v_mov_b32_e32 v14, v3
	s_and_not1_b32 vcc_lo, exec_lo, s13
	s_cbranch_vccz .LBB85_46
.LBB85_10:                              ; =>This Loop Header: Depth=1
                                        ;     Child Loop BB85_38 Depth 2
	s_sub_i32 s13, s26, s12
	s_delay_alu instid0(SALU_CYCLE_1) | instskip(NEXT) | instid1(SALU_CYCLE_1)
	s_and_b32 s13, s13, 63
	s_cmp_lg_u32 s13, 0
	s_cbranch_scc1 .LBB85_14
; %bb.11:                               ;   in Loop: Header=BB85_10 Depth=1
	s_sub_u32 s28, s14, s26
	s_subb_u32 s29, s15, s27
	v_dual_mov_b32 v2, -1 :: v_dual_mov_b32 v15, -1.0
	v_cmp_gt_i64_e32 vcc_lo, s[28:29], v[0:1]
	v_mov_b32_e32 v3, -1
	s_and_saveexec_b32 s28, vcc_lo
	s_cbranch_execz .LBB85_13
; %bb.12:                               ;   in Loop: Header=BB85_10 Depth=1
	s_lshl_b64 s[30:31], s[26:27], 3
	s_delay_alu instid0(SALU_CYCLE_1) | instskip(SKIP_2) | instid1(SALU_CYCLE_1)
	v_add_co_u32 v2, vcc_lo, v9, s30
	v_add_co_ci_u32_e32 v3, vcc_lo, s31, v10, vcc_lo
	s_lshl_b64 s[30:31], s[26:27], 2
	v_add_co_u32 v15, vcc_lo, v11, s30
	global_load_b64 v[2:3], v[2:3], off
	v_add_co_ci_u32_e32 v16, vcc_lo, s31, v12, vcc_lo
	global_load_b32 v15, v[15:16], off
	s_waitcnt vmcnt(1)
	v_sub_co_u32 v2, vcc_lo, v2, s4
	v_subrev_co_ci_u32_e32 v3, vcc_lo, 0, v3, vcc_lo
.LBB85_13:                              ;   in Loop: Header=BB85_10 Depth=1
	s_or_b32 exec_lo, exec_lo, s28
	ds_store_b64 v6, v[2:3]
	s_waitcnt vmcnt(0)
	ds_store_b32 v7, v15
.LBB85_14:                              ;   in Loop: Header=BB85_10 Depth=1
	s_lshl_b32 s28, s13, 3
	s_lshl_b32 s13, s13, 2
	s_delay_alu instid0(SALU_CYCLE_1)
	v_dual_mov_b32 v2, s28 :: v_dual_mov_b32 v15, s13
	s_waitcnt lgkmcnt(0)
	s_waitcnt_vscnt null, 0x0
	s_barrier
	buffer_gl0_inv
	ds_load_b64 v[2:3], v2
	ds_load_b32 v15, v15 offset:512
	s_waitcnt lgkmcnt(1)
	v_readfirstlane_b32 s28, v2
	v_readfirstlane_b32 s29, v3
	s_waitcnt lgkmcnt(0)
	v_cmp_neq_f32_e32 vcc_lo, 0, v15
	s_delay_alu instid0(VALU_DEP_2) | instskip(SKIP_1) | instid1(SALU_CYCLE_1)
	s_cmp_lg_u64 s[28:29], s[20:21]
	s_cselect_b32 s13, -1, 0
	s_or_b32 s13, s34, s13
	s_delay_alu instid0(SALU_CYCLE_1) | instskip(SKIP_2) | instid1(SALU_CYCLE_1)
	s_or_b32 vcc_lo, vcc_lo, s13
	v_cndmask_b32_e32 v2, 1.0, v15, vcc_lo
	s_or_b32 s13, s0, vcc_lo
	s_xor_b32 s30, s13, -1
	s_delay_alu instid0(SALU_CYCLE_1)
	s_and_saveexec_b32 s13, s30
	s_cbranch_execz .LBB85_18
; %bb.15:                               ;   in Loop: Header=BB85_10 Depth=1
	v_mbcnt_lo_u32_b32 v2, exec_lo, 0
	s_mov_b32 s30, exec_lo
	s_delay_alu instid0(VALU_DEP_1)
	v_cmpx_eq_u32_e32 0, v2
	s_cbranch_execz .LBB85_17
; %bb.16:                               ;   in Loop: Header=BB85_10 Depth=1
	v_dual_mov_b32 v2, s24 :: v_dual_mov_b32 v3, s25
	global_atomic_min_u64 v13, v[2:3], s[22:23]
.LBB85_17:                              ;   in Loop: Header=BB85_10 Depth=1
	s_or_b32 exec_lo, exec_lo, s30
	v_mov_b32_e32 v2, 1.0
.LBB85_18:                              ;   in Loop: Header=BB85_10 Depth=1
	s_or_b32 exec_lo, exec_lo, s13
	s_cmp_lt_i32 s5, 1
	s_mov_b32 s13, 0
	s_cbranch_scc1 .LBB85_23
; %bb.19:                               ;   in Loop: Header=BB85_10 Depth=1
	s_cmp_eq_u32 s5, 1
	s_cbranch_scc0 .LBB85_24
; %bb.20:                               ;   in Loop: Header=BB85_10 Depth=1
	v_cmp_ge_i64_e64 s30, s[28:29], s[20:21]
	v_mov_b32_e32 v3, v14
	s_delay_alu instid0(VALU_DEP_2)
	s_and_b32 vcc_lo, exec_lo, s30
	s_mov_b32 s30, 0
	s_cbranch_vccz .LBB85_26
; %bb.21:                               ;   in Loop: Header=BB85_10 Depth=1
	s_cmp_eq_u64 s[28:29], s[20:21]
	s_cbranch_scc0 .LBB85_25
; %bb.22:                               ;   in Loop: Header=BB85_10 Depth=1
	v_div_scale_f32 v3, null, v2, v2, 1.0
	s_delay_alu instid0(VALU_DEP_1) | instskip(SKIP_2) | instid1(VALU_DEP_1)
	v_rcp_f32_e32 v15, v3
	s_waitcnt_depctr 0xfff
	v_fma_f32 v16, -v3, v15, 1.0
	v_fmac_f32_e32 v15, v16, v15
	v_div_scale_f32 v16, vcc_lo, 1.0, v2, 1.0
	s_delay_alu instid0(VALU_DEP_1) | instskip(NEXT) | instid1(VALU_DEP_1)
	v_mul_f32_e32 v17, v16, v15
	v_fma_f32 v18, -v3, v17, v16
	s_delay_alu instid0(VALU_DEP_1) | instskip(NEXT) | instid1(VALU_DEP_1)
	v_fmac_f32_e32 v17, v18, v15
	v_fma_f32 v3, -v3, v17, v16
	s_delay_alu instid0(VALU_DEP_1) | instskip(NEXT) | instid1(VALU_DEP_1)
	v_div_fmas_f32 v3, v3, v15, v17
	v_div_fixup_f32 v3, v3, v2, 1.0
	s_delay_alu instid0(VALU_DEP_1)
	v_cndmask_b32_e64 v3, v14, v3, s1
	s_branch .LBB85_26
.LBB85_23:                              ;   in Loop: Header=BB85_10 Depth=1
	s_mov_b32 s30, 0
                                        ; implicit-def: $vgpr15
                                        ; implicit-def: $vgpr3
                                        ; implicit-def: $sgpr31
	s_cbranch_execnz .LBB85_27
	s_branch .LBB85_29
.LBB85_24:                              ;   in Loop: Header=BB85_10 Depth=1
	s_mov_b32 s30, -1
                                        ; implicit-def: $vgpr15
                                        ; implicit-def: $vgpr3
                                        ; implicit-def: $sgpr31
	s_branch .LBB85_29
.LBB85_25:                              ;   in Loop: Header=BB85_10 Depth=1
	s_mov_b32 s30, -1
                                        ; implicit-def: $vgpr3
.LBB85_26:                              ;   in Loop: Header=BB85_10 Depth=1
	v_mov_b32_e32 v15, v8
	s_mov_b32 s31, 4
	s_branch .LBB85_29
.LBB85_27:                              ;   in Loop: Header=BB85_10 Depth=1
	s_cmp_eq_u32 s5, 0
	s_cbranch_scc1 .LBB85_33
; %bb.28:                               ;   in Loop: Header=BB85_10 Depth=1
	s_mov_b32 s30, -1
                                        ; implicit-def: $vgpr15
                                        ; implicit-def: $vgpr3
                                        ; implicit-def: $sgpr31
.LBB85_29:                              ;   in Loop: Header=BB85_10 Depth=1
	s_delay_alu instid0(SALU_CYCLE_1)
	s_and_b32 vcc_lo, exec_lo, s30
	s_cbranch_vccnz .LBB85_36
.LBB85_30:                              ;   in Loop: Header=BB85_10 Depth=1
	s_and_b32 vcc_lo, exec_lo, s13
	s_cbranch_vccnz .LBB85_42
.LBB85_31:                              ;   in Loop: Header=BB85_10 Depth=1
	s_cmp_gt_i32 s31, 3
	s_mov_b32 s13, -1
	s_cbranch_scc1 .LBB85_43
.LBB85_32:                              ;   in Loop: Header=BB85_10 Depth=1
	s_cmp_eq_u32 s31, 0
	s_cselect_b32 s28, -1, 0
	s_delay_alu instid0(SALU_CYCLE_1)
	s_and_not1_b32 vcc_lo, exec_lo, s28
	s_cbranch_vccz .LBB85_9
	s_branch .LBB85_44
.LBB85_33:                              ;   in Loop: Header=BB85_10 Depth=1
	v_cmp_le_i64_e64 s30, s[28:29], s[20:21]
	s_delay_alu instid0(VALU_DEP_1)
	s_and_b32 vcc_lo, exec_lo, s30
	s_mov_b32 s30, 0
	s_cbranch_vccz .LBB85_35
; %bb.34:                               ;   in Loop: Header=BB85_10 Depth=1
	s_cmp_lg_u64 s[28:29], s[20:21]
	s_mov_b32 s13, -1
	s_cselect_b32 s30, -1, 0
.LBB85_35:                              ;   in Loop: Header=BB85_10 Depth=1
	v_mov_b32_e32 v15, v8
	v_mov_b32_e32 v3, v14
	s_mov_b32 s31, 2
	s_and_b32 vcc_lo, exec_lo, s30
	s_cbranch_vccz .LBB85_30
.LBB85_36:                              ;   in Loop: Header=BB85_10 Depth=1
	s_and_saveexec_b32 s13, s3
	s_cbranch_execz .LBB85_39
; %bb.37:                               ;   in Loop: Header=BB85_10 Depth=1
	s_lshl_b64 s[30:31], s[28:29], 2
	s_delay_alu instid0(SALU_CYCLE_1)
	s_add_u32 s30, s7, s30
	s_addc_u32 s31, s33, s31
	global_load_b32 v3, v13, s[30:31] glc
	s_waitcnt vmcnt(0)
	v_cmp_ne_u32_e32 vcc_lo, 0, v3
	s_cbranch_vccnz .LBB85_39
.LBB85_38:                              ;   Parent Loop BB85_10 Depth=1
                                        ; =>  This Inner Loop Header: Depth=2
	global_load_b32 v3, v13, s[30:31] glc
	s_waitcnt vmcnt(0)
	v_cmp_eq_u32_e32 vcc_lo, 0, v3
	s_cbranch_vccnz .LBB85_38
.LBB85_39:                              ;   in Loop: Header=BB85_10 Depth=1
	s_or_b32 exec_lo, exec_lo, s13
	v_mov_b32_e32 v15, 0
	s_waitcnt_vscnt null, 0x0
	s_barrier
	buffer_gl0_inv
	buffer_gl1_inv
	buffer_gl0_inv
	s_and_saveexec_b32 s13, s2
	s_cbranch_execz .LBB85_41
; %bb.40:                               ;   in Loop: Header=BB85_10 Depth=1
	s_mul_i32 s30, s28, s9
	s_mul_hi_u32 s31, s28, s8
	s_mul_i32 s29, s29, s8
	s_add_i32 s30, s31, s30
	s_mul_i32 s28, s28, s8
	s_add_i32 s29, s30, s29
	s_delay_alu instid0(SALU_CYCLE_1) | instskip(NEXT) | instid1(SALU_CYCLE_1)
	s_lshl_b64 s[28:29], s[28:29], 2
	v_add_co_u32 v15, vcc_lo, v4, s28
	v_add_co_ci_u32_e32 v16, vcc_lo, s29, v5, vcc_lo
	global_load_b32 v3, v[15:16], off
	s_waitcnt vmcnt(0)
	v_fma_f32 v15, -v2, v3, v8
.LBB85_41:                              ;   in Loop: Header=BB85_10 Depth=1
	s_or_b32 exec_lo, exec_lo, s13
	v_mov_b32_e32 v3, v14
	s_mov_b32 s31, 0
	s_branch .LBB85_31
.LBB85_42:                              ;   in Loop: Header=BB85_10 Depth=1
	v_div_scale_f32 v3, null, v2, v2, 1.0
	v_div_scale_f32 v17, vcc_lo, 1.0, v2, 1.0
	s_mov_b32 s31, 2
	s_delay_alu instid0(VALU_DEP_2) | instskip(SKIP_2) | instid1(VALU_DEP_1)
	v_rcp_f32_e32 v15, v3
	s_waitcnt_depctr 0xfff
	v_fma_f32 v16, -v3, v15, 1.0
	v_fmac_f32_e32 v15, v16, v15
	s_delay_alu instid0(VALU_DEP_1) | instskip(NEXT) | instid1(VALU_DEP_1)
	v_mul_f32_e32 v16, v17, v15
	v_fma_f32 v18, -v3, v16, v17
	s_delay_alu instid0(VALU_DEP_1) | instskip(NEXT) | instid1(VALU_DEP_1)
	v_fmac_f32_e32 v16, v18, v15
	v_fma_f32 v3, -v3, v16, v17
	s_delay_alu instid0(VALU_DEP_1) | instskip(SKIP_1) | instid1(VALU_DEP_2)
	v_div_fmas_f32 v3, v3, v15, v16
	v_mov_b32_e32 v15, v8
	v_div_fixup_f32 v2, v3, v2, 1.0
	s_delay_alu instid0(VALU_DEP_1)
	v_cndmask_b32_e64 v3, v14, v2, s1
	s_cmp_gt_i32 s31, 3
	s_mov_b32 s13, -1
	s_cbranch_scc0 .LBB85_32
.LBB85_43:                              ;   in Loop: Header=BB85_10 Depth=1
	s_branch .LBB85_9
.LBB85_44:                              ;   in Loop: Header=BB85_10 Depth=1
                                        ; implicit-def: $sgpr26_sgpr27
	v_mov_b32_e32 v8, v15
	v_mov_b32_e32 v14, v3
	s_and_not1_b32 vcc_lo, exec_lo, s13
	s_cbranch_vccnz .LBB85_10
	s_branch .LBB85_46
.LBB85_45:
	v_mov_b32_e32 v15, v8
.LBB85_46:
	s_and_saveexec_b32 s0, s2
	s_cbranch_execz .LBB85_48
; %bb.47:
	s_delay_alu instid0(VALU_DEP_1) | instskip(SKIP_3) | instid1(VALU_DEP_1)
	v_mul_f32_e32 v1, v3, v15
	s_cmp_eq_u32 s6, 0
	s_cselect_b32 vcc_lo, -1, 0
	s_lshl_b64 s[2:3], s[18:19], 2
	v_cndmask_b32_e32 v3, v15, v1, vcc_lo
	v_add_co_u32 v1, vcc_lo, v4, s2
	v_add_co_ci_u32_e32 v2, vcc_lo, s3, v5, vcc_lo
	global_store_b32 v[1:2], v3, off
.LBB85_48:
	s_or_b32 exec_lo, exec_lo, s0
	s_waitcnt_vscnt null, 0x0
	buffer_gl1_inv
	buffer_gl0_inv
	s_barrier
	buffer_gl0_inv
	s_mov_b32 s0, exec_lo
	v_cmpx_eq_u32_e32 0, v0
	s_cbranch_execz .LBB85_50
; %bb.49:
	s_lshl_b64 s[0:1], s[20:21], 2
	v_dual_mov_b32 v0, 0 :: v_dual_mov_b32 v1, 1
	s_add_u32 s2, s10, s0
	s_addc_u32 s3, s11, s1
	s_lshl_b64 s[0:1], s[16:17], 2
	s_delay_alu instid0(SALU_CYCLE_1)
	s_add_u32 s0, s2, s0
	s_addc_u32 s1, s3, s1
	global_store_b32 v0, v1, s[0:1]
.LBB85_50:
	s_nop 0
	s_sendmsg sendmsg(MSG_DEALLOC_VGPRS)
	s_endpgm
.LBB85_51:
                                        ; implicit-def: $sgpr26_sgpr27
	s_load_b64 s[24:25], s[0:1], 0x38
	s_branch .LBB85_4
	.section	.rodata,"a",@progbits
	.p2align	6, 0x0
	.amdhsa_kernel _ZN9rocsparseL5csrsmILj64ELj64ELb0EllfEEv20rocsparse_operation_T3_S2_NS_24const_host_device_scalarIT4_EEPKT2_PKS2_PKS4_PS4_lPiSA_PS2_21rocsparse_index_base_20rocsparse_fill_mode_20rocsparse_diag_type_b
		.amdhsa_group_segment_fixed_size 768
		.amdhsa_private_segment_fixed_size 0
		.amdhsa_kernarg_size 112
		.amdhsa_user_sgpr_count 15
		.amdhsa_user_sgpr_dispatch_ptr 0
		.amdhsa_user_sgpr_queue_ptr 0
		.amdhsa_user_sgpr_kernarg_segment_ptr 1
		.amdhsa_user_sgpr_dispatch_id 0
		.amdhsa_user_sgpr_private_segment_size 0
		.amdhsa_wavefront_size32 1
		.amdhsa_uses_dynamic_stack 0
		.amdhsa_enable_private_segment 0
		.amdhsa_system_sgpr_workgroup_id_x 1
		.amdhsa_system_sgpr_workgroup_id_y 0
		.amdhsa_system_sgpr_workgroup_id_z 0
		.amdhsa_system_sgpr_workgroup_info 0
		.amdhsa_system_vgpr_workitem_id 0
		.amdhsa_next_free_vgpr 19
		.amdhsa_next_free_sgpr 35
		.amdhsa_reserve_vcc 1
		.amdhsa_float_round_mode_32 0
		.amdhsa_float_round_mode_16_64 0
		.amdhsa_float_denorm_mode_32 3
		.amdhsa_float_denorm_mode_16_64 3
		.amdhsa_dx10_clamp 1
		.amdhsa_ieee_mode 1
		.amdhsa_fp16_overflow 0
		.amdhsa_workgroup_processor_mode 1
		.amdhsa_memory_ordered 1
		.amdhsa_forward_progress 0
		.amdhsa_shared_vgpr_count 0
		.amdhsa_exception_fp_ieee_invalid_op 0
		.amdhsa_exception_fp_denorm_src 0
		.amdhsa_exception_fp_ieee_div_zero 0
		.amdhsa_exception_fp_ieee_overflow 0
		.amdhsa_exception_fp_ieee_underflow 0
		.amdhsa_exception_fp_ieee_inexact 0
		.amdhsa_exception_int_div_zero 0
	.end_amdhsa_kernel
	.section	.text._ZN9rocsparseL5csrsmILj64ELj64ELb0EllfEEv20rocsparse_operation_T3_S2_NS_24const_host_device_scalarIT4_EEPKT2_PKS2_PKS4_PS4_lPiSA_PS2_21rocsparse_index_base_20rocsparse_fill_mode_20rocsparse_diag_type_b,"axG",@progbits,_ZN9rocsparseL5csrsmILj64ELj64ELb0EllfEEv20rocsparse_operation_T3_S2_NS_24const_host_device_scalarIT4_EEPKT2_PKS2_PKS4_PS4_lPiSA_PS2_21rocsparse_index_base_20rocsparse_fill_mode_20rocsparse_diag_type_b,comdat
.Lfunc_end85:
	.size	_ZN9rocsparseL5csrsmILj64ELj64ELb0EllfEEv20rocsparse_operation_T3_S2_NS_24const_host_device_scalarIT4_EEPKT2_PKS2_PKS4_PS4_lPiSA_PS2_21rocsparse_index_base_20rocsparse_fill_mode_20rocsparse_diag_type_b, .Lfunc_end85-_ZN9rocsparseL5csrsmILj64ELj64ELb0EllfEEv20rocsparse_operation_T3_S2_NS_24const_host_device_scalarIT4_EEPKT2_PKS2_PKS4_PS4_lPiSA_PS2_21rocsparse_index_base_20rocsparse_fill_mode_20rocsparse_diag_type_b
                                        ; -- End function
	.section	.AMDGPU.csdata,"",@progbits
; Kernel info:
; codeLenInByte = 2428
; NumSgprs: 37
; NumVgprs: 19
; ScratchSize: 0
; MemoryBound: 0
; FloatMode: 240
; IeeeMode: 1
; LDSByteSize: 768 bytes/workgroup (compile time only)
; SGPRBlocks: 4
; VGPRBlocks: 2
; NumSGPRsForWavesPerEU: 37
; NumVGPRsForWavesPerEU: 19
; Occupancy: 16
; WaveLimiterHint : 1
; COMPUTE_PGM_RSRC2:SCRATCH_EN: 0
; COMPUTE_PGM_RSRC2:USER_SGPR: 15
; COMPUTE_PGM_RSRC2:TRAP_HANDLER: 0
; COMPUTE_PGM_RSRC2:TGID_X_EN: 1
; COMPUTE_PGM_RSRC2:TGID_Y_EN: 0
; COMPUTE_PGM_RSRC2:TGID_Z_EN: 0
; COMPUTE_PGM_RSRC2:TIDIG_COMP_CNT: 0
	.section	.text._ZN9rocsparseL5csrsmILj128ELj64ELb1EllfEEv20rocsparse_operation_T3_S2_NS_24const_host_device_scalarIT4_EEPKT2_PKS2_PKS4_PS4_lPiSA_PS2_21rocsparse_index_base_20rocsparse_fill_mode_20rocsparse_diag_type_b,"axG",@progbits,_ZN9rocsparseL5csrsmILj128ELj64ELb1EllfEEv20rocsparse_operation_T3_S2_NS_24const_host_device_scalarIT4_EEPKT2_PKS2_PKS4_PS4_lPiSA_PS2_21rocsparse_index_base_20rocsparse_fill_mode_20rocsparse_diag_type_b,comdat
	.globl	_ZN9rocsparseL5csrsmILj128ELj64ELb1EllfEEv20rocsparse_operation_T3_S2_NS_24const_host_device_scalarIT4_EEPKT2_PKS2_PKS4_PS4_lPiSA_PS2_21rocsparse_index_base_20rocsparse_fill_mode_20rocsparse_diag_type_b ; -- Begin function _ZN9rocsparseL5csrsmILj128ELj64ELb1EllfEEv20rocsparse_operation_T3_S2_NS_24const_host_device_scalarIT4_EEPKT2_PKS2_PKS4_PS4_lPiSA_PS2_21rocsparse_index_base_20rocsparse_fill_mode_20rocsparse_diag_type_b
	.p2align	8
	.type	_ZN9rocsparseL5csrsmILj128ELj64ELb1EllfEEv20rocsparse_operation_T3_S2_NS_24const_host_device_scalarIT4_EEPKT2_PKS2_PKS4_PS4_lPiSA_PS2_21rocsparse_index_base_20rocsparse_fill_mode_20rocsparse_diag_type_b,@function
_ZN9rocsparseL5csrsmILj128ELj64ELb1EllfEEv20rocsparse_operation_T3_S2_NS_24const_host_device_scalarIT4_EEPKT2_PKS2_PKS4_PS4_lPiSA_PS2_21rocsparse_index_base_20rocsparse_fill_mode_20rocsparse_diag_type_b: ; @_ZN9rocsparseL5csrsmILj128ELj64ELb1EllfEEv20rocsparse_operation_T3_S2_NS_24const_host_device_scalarIT4_EEPKT2_PKS2_PKS4_PS4_lPiSA_PS2_21rocsparse_index_base_20rocsparse_fill_mode_20rocsparse_diag_type_b
; %bb.0:
	s_clause 0x2
	s_load_b128 s[4:7], s[0:1], 0x60
	s_load_b128 s[16:19], s[0:1], 0x8
	s_load_b64 s[22:23], s[0:1], 0x18
	s_waitcnt lgkmcnt(0)
	s_bitcmp1_b32 s7, 0
	s_cselect_b32 s2, -1, 0
	s_delay_alu instid0(SALU_CYCLE_1)
	s_and_b32 vcc_lo, exec_lo, s2
	s_cbranch_vccnz .LBB86_2
; %bb.1:
	s_load_b32 s22, s[22:23], 0x0
.LBB86_2:
	s_clause 0x1
	s_load_b64 s[8:9], s[0:1], 0x50
	s_load_b64 s[2:3], s[0:1], 0x20
	s_mov_b32 s10, 0
	s_mov_b32 s11, s17
	s_delay_alu instid0(SALU_CYCLE_1)
	s_cmp_lg_u64 s[10:11], 0
	s_cbranch_scc0 .LBB86_54
; %bb.3:
	s_ashr_i32 s12, s17, 31
	s_delay_alu instid0(SALU_CYCLE_1) | instskip(SKIP_2) | instid1(SALU_CYCLE_1)
	s_add_u32 s20, s16, s12
	s_mov_b32 s13, s12
	s_addc_u32 s21, s17, s12
	s_xor_b64 s[20:21], s[20:21], s[12:13]
	s_delay_alu instid0(SALU_CYCLE_1) | instskip(SKIP_3) | instid1(VALU_DEP_1)
	v_cvt_f32_u32_e32 v1, s20
	v_cvt_f32_u32_e32 v2, s21
	s_sub_u32 s14, 0, s20
	s_subb_u32 s23, 0, s21
	v_fmamk_f32 v1, v2, 0x4f800000, v1
	s_delay_alu instid0(VALU_DEP_1) | instskip(SKIP_2) | instid1(VALU_DEP_1)
	v_rcp_f32_e32 v1, v1
	s_waitcnt_depctr 0xfff
	v_mul_f32_e32 v1, 0x5f7ffffc, v1
	v_mul_f32_e32 v2, 0x2f800000, v1
	s_delay_alu instid0(VALU_DEP_1) | instskip(NEXT) | instid1(VALU_DEP_1)
	v_trunc_f32_e32 v2, v2
	v_fmamk_f32 v1, v2, 0xcf800000, v1
	v_cvt_u32_f32_e32 v2, v2
	s_delay_alu instid0(VALU_DEP_2) | instskip(NEXT) | instid1(VALU_DEP_2)
	v_cvt_u32_f32_e32 v1, v1
	v_readfirstlane_b32 s7, v2
	s_delay_alu instid0(VALU_DEP_2) | instskip(NEXT) | instid1(VALU_DEP_2)
	v_readfirstlane_b32 s11, v1
	s_mul_i32 s24, s14, s7
	s_delay_alu instid0(VALU_DEP_1)
	s_mul_hi_u32 s26, s14, s11
	s_mul_i32 s25, s23, s11
	s_add_i32 s24, s26, s24
	s_mul_i32 s27, s14, s11
	s_add_i32 s24, s24, s25
	s_mul_hi_u32 s26, s11, s27
	s_mul_hi_u32 s28, s7, s27
	s_mul_i32 s25, s7, s27
	s_mul_hi_u32 s27, s11, s24
	s_mul_i32 s11, s11, s24
	s_mul_hi_u32 s29, s7, s24
	s_add_u32 s11, s26, s11
	s_addc_u32 s26, 0, s27
	s_add_u32 s11, s11, s25
	s_mul_i32 s24, s7, s24
	s_addc_u32 s11, s26, s28
	s_addc_u32 s25, s29, 0
	s_add_u32 s11, s11, s24
	s_addc_u32 s24, 0, s25
	v_add_co_u32 v1, s11, v1, s11
	s_delay_alu instid0(VALU_DEP_1) | instskip(SKIP_1) | instid1(VALU_DEP_1)
	s_cmp_lg_u32 s11, 0
	s_addc_u32 s7, s7, s24
	v_readfirstlane_b32 s11, v1
	s_mul_i32 s24, s14, s7
	s_delay_alu instid0(VALU_DEP_1)
	s_mul_hi_u32 s25, s14, s11
	s_mul_i32 s23, s23, s11
	s_add_i32 s24, s25, s24
	s_mul_i32 s14, s14, s11
	s_add_i32 s24, s24, s23
	s_mul_hi_u32 s25, s7, s14
	s_mul_i32 s26, s7, s14
	s_mul_hi_u32 s14, s11, s14
	s_mul_hi_u32 s27, s11, s24
	s_mul_i32 s11, s11, s24
	s_mul_hi_u32 s23, s7, s24
	s_add_u32 s11, s14, s11
	s_addc_u32 s14, 0, s27
	s_add_u32 s11, s11, s26
	s_mul_i32 s24, s7, s24
	s_addc_u32 s11, s14, s25
	s_addc_u32 s14, s23, 0
	s_add_u32 s11, s11, s24
	s_addc_u32 s14, 0, s14
	v_add_co_u32 v1, s11, v1, s11
	s_delay_alu instid0(VALU_DEP_1) | instskip(SKIP_1) | instid1(VALU_DEP_1)
	s_cmp_lg_u32 s11, 0
	s_addc_u32 s7, s7, s14
	v_readfirstlane_b32 s11, v1
	s_mul_i32 s14, s15, s7
	s_mul_hi_u32 s7, s15, s7
	s_delay_alu instid0(VALU_DEP_1) | instskip(NEXT) | instid1(SALU_CYCLE_1)
	s_mul_hi_u32 s11, s15, s11
	s_add_u32 s11, s11, s14
	s_addc_u32 s7, 0, s7
	s_add_u32 s11, s11, 0
	s_addc_u32 s7, s7, 0
	s_addc_u32 s11, 0, 0
	s_add_u32 s7, s7, 0
	s_addc_u32 s11, 0, s11
	s_mul_hi_u32 s14, s20, s7
	s_mul_i32 s24, s20, s11
	s_mul_i32 s25, s20, s7
	s_add_i32 s14, s14, s24
	v_sub_co_u32 v1, s24, s15, s25
	s_mul_i32 s23, s21, s7
	s_delay_alu instid0(SALU_CYCLE_1) | instskip(NEXT) | instid1(VALU_DEP_1)
	s_add_i32 s14, s14, s23
	v_sub_co_u32 v2, s25, v1, s20
	s_sub_i32 s23, 0, s14
	s_cmp_lg_u32 s24, 0
	s_subb_u32 s23, s23, s21
	s_cmp_lg_u32 s25, 0
	v_readfirstlane_b32 s25, v2
	s_subb_u32 s23, s23, 0
	s_delay_alu instid0(SALU_CYCLE_1) | instskip(SKIP_1) | instid1(VALU_DEP_1)
	s_cmp_ge_u32 s23, s21
	s_cselect_b32 s26, -1, 0
	s_cmp_ge_u32 s25, s20
	s_cselect_b32 s25, -1, 0
	s_cmp_eq_u32 s23, s21
	s_cselect_b32 s23, s25, s26
	s_add_u32 s25, s7, 1
	s_addc_u32 s26, s11, 0
	s_add_u32 s27, s7, 2
	s_addc_u32 s28, s11, 0
	s_cmp_lg_u32 s23, 0
	s_cselect_b32 s23, s27, s25
	s_cselect_b32 s25, s28, s26
	s_cmp_lg_u32 s24, 0
	v_readfirstlane_b32 s24, v1
	s_subb_u32 s14, 0, s14
	s_delay_alu instid0(SALU_CYCLE_1) | instskip(SKIP_1) | instid1(VALU_DEP_1)
	s_cmp_ge_u32 s14, s21
	s_cselect_b32 s26, -1, 0
	s_cmp_ge_u32 s24, s20
	s_cselect_b32 s20, -1, 0
	s_cmp_eq_u32 s14, s21
	s_cselect_b32 s14, s20, s26
	s_delay_alu instid0(SALU_CYCLE_1) | instskip(SKIP_2) | instid1(SALU_CYCLE_1)
	s_cmp_lg_u32 s14, 0
	s_cselect_b32 s21, s25, s11
	s_cselect_b32 s20, s23, s7
	s_xor_b64 s[20:21], s[20:21], s[12:13]
	s_delay_alu instid0(SALU_CYCLE_1)
	s_sub_u32 s26, s20, s12
	s_subb_u32 s27, s21, s12
	s_load_b64 s[24:25], s[0:1], 0x38
	s_and_not1_b32 vcc_lo, exec_lo, s10
	s_cbranch_vccnz .LBB86_5
.LBB86_4:
	v_cvt_f32_u32_e32 v1, s16
	s_sub_i32 s10, 0, s16
	s_mov_b32 s27, 0
	s_delay_alu instid0(VALU_DEP_1) | instskip(SKIP_2) | instid1(VALU_DEP_1)
	v_rcp_iflag_f32_e32 v1, v1
	s_waitcnt_depctr 0xfff
	v_mul_f32_e32 v1, 0x4f7ffffe, v1
	v_cvt_u32_f32_e32 v1, v1
	s_delay_alu instid0(VALU_DEP_1) | instskip(NEXT) | instid1(VALU_DEP_1)
	v_readfirstlane_b32 s7, v1
	s_mul_i32 s10, s10, s7
	s_delay_alu instid0(SALU_CYCLE_1) | instskip(NEXT) | instid1(SALU_CYCLE_1)
	s_mul_hi_u32 s10, s7, s10
	s_add_i32 s7, s7, s10
	s_delay_alu instid0(SALU_CYCLE_1) | instskip(NEXT) | instid1(SALU_CYCLE_1)
	s_mul_hi_u32 s7, s15, s7
	s_mul_i32 s10, s7, s16
	s_add_i32 s11, s7, 1
	s_sub_i32 s10, s15, s10
	s_delay_alu instid0(SALU_CYCLE_1)
	s_sub_i32 s12, s10, s16
	s_cmp_ge_u32 s10, s16
	s_cselect_b32 s7, s11, s7
	s_cselect_b32 s10, s12, s10
	s_add_i32 s11, s7, 1
	s_cmp_ge_u32 s10, s16
	s_cselect_b32 s26, s11, s7
.LBB86_5:
	s_delay_alu instid0(SALU_CYCLE_1)
	s_mul_i32 s7, s26, s17
	s_mul_hi_u32 s10, s26, s16
	v_mov_b32_e32 v1, 0
	s_add_i32 s7, s10, s7
	s_mul_i32 s10, s27, s16
	s_mul_i32 s16, s26, s16
	s_add_i32 s17, s7, s10
	s_sub_u32 s10, s15, s16
	s_subb_u32 s11, 0, s17
	v_mov_b32_e32 v8, v1
	s_lshl_b64 s[10:11], s[10:11], 3
	s_waitcnt lgkmcnt(0)
	s_add_u32 s8, s8, s10
	s_addc_u32 s9, s9, s11
	s_load_b64 s[20:21], s[8:9], 0x0
	s_load_b128 s[8:11], s[0:1], 0x40
	s_waitcnt lgkmcnt(0)
	s_lshl_b64 s[12:13], s[20:21], 3
	s_mul_i32 s7, s21, s8
	s_add_u32 s2, s2, s12
	s_addc_u32 s3, s3, s13
	s_load_b128 s[12:15], s[2:3], 0x0
	s_lshl_b64 s[2:3], s[26:27], 7
	s_delay_alu instid0(SALU_CYCLE_1) | instskip(SKIP_3) | instid1(SALU_CYCLE_1)
	v_or_b32_e32 v2, s2, v0
	v_mov_b32_e32 v3, s3
	s_mul_i32 s2, s20, s9
	s_mul_hi_u32 s3, s20, s8
	s_add_i32 s3, s3, s2
	s_delay_alu instid0(VALU_DEP_1) | instskip(SKIP_2) | instid1(VALU_DEP_1)
	v_cmp_gt_i64_e64 s2, s[18:19], v[2:3]
	s_add_i32 s19, s3, s7
	s_mul_i32 s18, s20, s8
	s_and_saveexec_b32 s3, s2
	s_cbranch_execz .LBB86_7
; %bb.6:
	v_add_co_u32 v4, vcc_lo, v2, s18
	v_add_co_ci_u32_e32 v5, vcc_lo, s19, v3, vcc_lo
	s_delay_alu instid0(VALU_DEP_1) | instskip(NEXT) | instid1(VALU_DEP_1)
	v_lshlrev_b64 v[4:5], 2, v[4:5]
	v_add_co_u32 v4, vcc_lo, s24, v4
	s_delay_alu instid0(VALU_DEP_2)
	v_add_co_ci_u32_e32 v5, vcc_lo, s25, v5, vcc_lo
	global_load_b32 v4, v[4:5], off
	s_waitcnt vmcnt(0)
	v_mul_f32_e32 v8, s22, v4
.LBB86_7:
	s_or_b32 exec_lo, exec_lo, s3
	v_lshlrev_b64 v[2:3], 2, v[2:3]
	s_waitcnt lgkmcnt(0)
	v_cmp_ge_i64_e64 s3, s[12:13], s[14:15]
	s_delay_alu instid0(VALU_DEP_2) | instskip(NEXT) | instid1(VALU_DEP_3)
	v_add_co_u32 v4, vcc_lo, s24, v2
	v_add_co_ci_u32_e32 v5, vcc_lo, s25, v3, vcc_lo
	s_delay_alu instid0(VALU_DEP_3)
	s_and_b32 vcc_lo, exec_lo, s3
	v_mov_b32_e32 v3, 1.0
	v_cmp_eq_u32_e64 s3, 0, v0
	s_cbranch_vccnz .LBB86_48
; %bb.8:
	s_clause 0x1
	s_load_b128 s[24:27], s[0:1], 0x28
	s_load_b64 s[22:23], s[0:1], 0x58
	s_lshl_b64 s[0:1], s[16:17], 2
	v_dual_mov_b32 v13, 0 :: v_dual_lshlrev_b32 v6, 3, v0
	s_add_u32 s7, s10, s0
	s_addc_u32 s33, s11, s1
	v_lshlrev_b32_e32 v2, 2, v0
	s_sub_u32 s12, s12, s4
	s_subb_u32 s13, s13, 0
	s_sub_u32 s14, s14, s4
	s_subb_u32 s15, s15, 0
	s_cmp_lg_u32 s6, 0
	v_or_b32_e32 v7, 0x400, v2
	s_cselect_b32 s34, -1, 0
	v_mov_b32_e32 v14, 1.0
	s_waitcnt lgkmcnt(0)
	v_add_co_u32 v9, s0, s24, v6
	s_delay_alu instid0(VALU_DEP_1)
	v_add_co_ci_u32_e64 v10, null, s25, 0, s0
	v_add_co_u32 v11, s0, s26, v2
	s_add_u32 s24, s20, s4
	v_add_co_ci_u32_e64 v12, null, s27, 0, s0
	v_cmp_ne_u32_e64 s0, 0, v0
	s_addc_u32 s25, s21, 0
	s_cmp_eq_u32 s6, 0
	s_mov_b64 s[26:27], s[12:13]
	s_cselect_b32 s1, -1, 0
	s_branch .LBB86_10
.LBB86_9:                               ;   in Loop: Header=BB86_10 Depth=1
	s_add_u32 s26, s26, 1
	s_addc_u32 s27, s27, 0
	s_delay_alu instid0(SALU_CYCLE_1) | instskip(SKIP_2) | instid1(VALU_DEP_3)
	v_cmp_ge_i64_e64 s13, s[26:27], s[14:15]
	v_mov_b32_e32 v8, v15
	v_mov_b32_e32 v14, v3
	s_and_not1_b32 vcc_lo, exec_lo, s13
	s_cbranch_vccz .LBB86_49
.LBB86_10:                              ; =>This Loop Header: Depth=1
                                        ;     Child Loop BB86_46 Depth 2
                                        ;       Child Loop BB86_47 Depth 3
	s_sub_i32 s13, s26, s12
	s_delay_alu instid0(SALU_CYCLE_1) | instskip(NEXT) | instid1(SALU_CYCLE_1)
	s_and_b32 s13, s13, 0x7f
	s_cmp_lg_u32 s13, 0
	s_cbranch_scc1 .LBB86_14
; %bb.11:                               ;   in Loop: Header=BB86_10 Depth=1
	s_sub_u32 s28, s14, s26
	s_subb_u32 s29, s15, s27
	v_dual_mov_b32 v2, -1 :: v_dual_mov_b32 v15, -1.0
	v_cmp_gt_i64_e32 vcc_lo, s[28:29], v[0:1]
	v_mov_b32_e32 v3, -1
	s_and_saveexec_b32 s28, vcc_lo
	s_cbranch_execz .LBB86_13
; %bb.12:                               ;   in Loop: Header=BB86_10 Depth=1
	s_lshl_b64 s[30:31], s[26:27], 3
	s_delay_alu instid0(SALU_CYCLE_1) | instskip(SKIP_2) | instid1(SALU_CYCLE_1)
	v_add_co_u32 v2, vcc_lo, v9, s30
	v_add_co_ci_u32_e32 v3, vcc_lo, s31, v10, vcc_lo
	s_lshl_b64 s[30:31], s[26:27], 2
	v_add_co_u32 v15, vcc_lo, v11, s30
	global_load_b64 v[2:3], v[2:3], off
	v_add_co_ci_u32_e32 v16, vcc_lo, s31, v12, vcc_lo
	global_load_b32 v15, v[15:16], off
	s_waitcnt vmcnt(1)
	v_sub_co_u32 v2, vcc_lo, v2, s4
	v_subrev_co_ci_u32_e32 v3, vcc_lo, 0, v3, vcc_lo
.LBB86_13:                              ;   in Loop: Header=BB86_10 Depth=1
	s_or_b32 exec_lo, exec_lo, s28
	ds_store_b64 v6, v[2:3]
	s_waitcnt vmcnt(0)
	ds_store_b32 v7, v15
.LBB86_14:                              ;   in Loop: Header=BB86_10 Depth=1
	s_lshl_b32 s28, s13, 3
	s_lshl_b32 s13, s13, 2
	s_delay_alu instid0(SALU_CYCLE_1)
	v_dual_mov_b32 v2, s28 :: v_dual_mov_b32 v15, s13
	s_waitcnt lgkmcnt(0)
	s_waitcnt_vscnt null, 0x0
	s_barrier
	buffer_gl0_inv
	ds_load_b64 v[2:3], v2
	ds_load_b32 v15, v15 offset:1024
	s_waitcnt lgkmcnt(1)
	v_readfirstlane_b32 s28, v2
	v_readfirstlane_b32 s29, v3
	s_waitcnt lgkmcnt(0)
	v_cmp_neq_f32_e32 vcc_lo, 0, v15
	s_delay_alu instid0(VALU_DEP_2) | instskip(SKIP_1) | instid1(SALU_CYCLE_1)
	s_cmp_lg_u64 s[28:29], s[20:21]
	s_cselect_b32 s13, -1, 0
	s_or_b32 s13, s34, s13
	s_delay_alu instid0(SALU_CYCLE_1) | instskip(SKIP_2) | instid1(SALU_CYCLE_1)
	s_or_b32 vcc_lo, vcc_lo, s13
	v_cndmask_b32_e32 v2, 1.0, v15, vcc_lo
	s_or_b32 s13, s0, vcc_lo
	s_xor_b32 s30, s13, -1
	s_delay_alu instid0(SALU_CYCLE_1)
	s_and_saveexec_b32 s13, s30
	s_cbranch_execz .LBB86_18
; %bb.15:                               ;   in Loop: Header=BB86_10 Depth=1
	v_mbcnt_lo_u32_b32 v2, exec_lo, 0
	s_mov_b32 s30, exec_lo
	s_delay_alu instid0(VALU_DEP_1)
	v_cmpx_eq_u32_e32 0, v2
	s_cbranch_execz .LBB86_17
; %bb.16:                               ;   in Loop: Header=BB86_10 Depth=1
	v_dual_mov_b32 v2, s24 :: v_dual_mov_b32 v3, s25
	global_atomic_min_u64 v13, v[2:3], s[22:23]
.LBB86_17:                              ;   in Loop: Header=BB86_10 Depth=1
	s_or_b32 exec_lo, exec_lo, s30
	v_mov_b32_e32 v2, 1.0
.LBB86_18:                              ;   in Loop: Header=BB86_10 Depth=1
	s_or_b32 exec_lo, exec_lo, s13
	s_cmp_lt_i32 s5, 1
	s_mov_b32 s13, 0
	s_cbranch_scc1 .LBB86_23
; %bb.19:                               ;   in Loop: Header=BB86_10 Depth=1
	s_cmp_eq_u32 s5, 1
	s_cbranch_scc0 .LBB86_24
; %bb.20:                               ;   in Loop: Header=BB86_10 Depth=1
	v_cmp_ge_i64_e64 s30, s[28:29], s[20:21]
	v_mov_b32_e32 v3, v14
	s_delay_alu instid0(VALU_DEP_2)
	s_and_b32 vcc_lo, exec_lo, s30
	s_mov_b32 s30, 0
	s_cbranch_vccz .LBB86_26
; %bb.21:                               ;   in Loop: Header=BB86_10 Depth=1
	s_cmp_eq_u64 s[28:29], s[20:21]
	s_cbranch_scc0 .LBB86_25
; %bb.22:                               ;   in Loop: Header=BB86_10 Depth=1
	v_div_scale_f32 v3, null, v2, v2, 1.0
	s_delay_alu instid0(VALU_DEP_1) | instskip(SKIP_2) | instid1(VALU_DEP_1)
	v_rcp_f32_e32 v15, v3
	s_waitcnt_depctr 0xfff
	v_fma_f32 v16, -v3, v15, 1.0
	v_fmac_f32_e32 v15, v16, v15
	v_div_scale_f32 v16, vcc_lo, 1.0, v2, 1.0
	s_delay_alu instid0(VALU_DEP_1) | instskip(NEXT) | instid1(VALU_DEP_1)
	v_mul_f32_e32 v17, v16, v15
	v_fma_f32 v18, -v3, v17, v16
	s_delay_alu instid0(VALU_DEP_1) | instskip(NEXT) | instid1(VALU_DEP_1)
	v_fmac_f32_e32 v17, v18, v15
	v_fma_f32 v3, -v3, v17, v16
	s_delay_alu instid0(VALU_DEP_1) | instskip(NEXT) | instid1(VALU_DEP_1)
	v_div_fmas_f32 v3, v3, v15, v17
	v_div_fixup_f32 v3, v3, v2, 1.0
	s_delay_alu instid0(VALU_DEP_1)
	v_cndmask_b32_e64 v3, v14, v3, s1
	s_branch .LBB86_26
.LBB86_23:                              ;   in Loop: Header=BB86_10 Depth=1
	s_mov_b32 s30, 0
                                        ; implicit-def: $vgpr15
                                        ; implicit-def: $vgpr3
                                        ; implicit-def: $sgpr31
	s_cbranch_execnz .LBB86_27
	s_branch .LBB86_29
.LBB86_24:                              ;   in Loop: Header=BB86_10 Depth=1
	s_mov_b32 s30, -1
                                        ; implicit-def: $vgpr15
                                        ; implicit-def: $vgpr3
                                        ; implicit-def: $sgpr31
	s_branch .LBB86_29
.LBB86_25:                              ;   in Loop: Header=BB86_10 Depth=1
	s_mov_b32 s30, -1
                                        ; implicit-def: $vgpr3
.LBB86_26:                              ;   in Loop: Header=BB86_10 Depth=1
	v_mov_b32_e32 v15, v8
	s_mov_b32 s31, 4
	s_branch .LBB86_29
.LBB86_27:                              ;   in Loop: Header=BB86_10 Depth=1
	s_cmp_eq_u32 s5, 0
	s_cbranch_scc1 .LBB86_33
; %bb.28:                               ;   in Loop: Header=BB86_10 Depth=1
	s_mov_b32 s30, -1
                                        ; implicit-def: $vgpr15
                                        ; implicit-def: $vgpr3
                                        ; implicit-def: $sgpr31
.LBB86_29:                              ;   in Loop: Header=BB86_10 Depth=1
	s_delay_alu instid0(SALU_CYCLE_1)
	s_and_b32 vcc_lo, exec_lo, s30
	s_cbranch_vccnz .LBB86_36
.LBB86_30:                              ;   in Loop: Header=BB86_10 Depth=1
	s_and_b32 vcc_lo, exec_lo, s13
	s_cbranch_vccnz .LBB86_41
.LBB86_31:                              ;   in Loop: Header=BB86_10 Depth=1
	s_cmp_gt_i32 s31, 3
	s_mov_b32 s13, -1
	s_cbranch_scc1 .LBB86_42
.LBB86_32:                              ;   in Loop: Header=BB86_10 Depth=1
	s_cmp_eq_u32 s31, 0
	s_cselect_b32 s28, -1, 0
	s_delay_alu instid0(SALU_CYCLE_1)
	s_and_not1_b32 vcc_lo, exec_lo, s28
	s_cbranch_vccz .LBB86_9
	s_branch .LBB86_43
.LBB86_33:                              ;   in Loop: Header=BB86_10 Depth=1
	v_cmp_le_i64_e64 s30, s[28:29], s[20:21]
	s_delay_alu instid0(VALU_DEP_1)
	s_and_b32 vcc_lo, exec_lo, s30
	s_mov_b32 s30, 0
	s_cbranch_vccz .LBB86_35
; %bb.34:                               ;   in Loop: Header=BB86_10 Depth=1
	s_cmp_lg_u64 s[28:29], s[20:21]
	s_mov_b32 s13, -1
	s_cselect_b32 s30, -1, 0
.LBB86_35:                              ;   in Loop: Header=BB86_10 Depth=1
	v_mov_b32_e32 v15, v8
	v_mov_b32_e32 v3, v14
	s_mov_b32 s31, 2
	s_and_b32 vcc_lo, exec_lo, s30
	s_cbranch_vccz .LBB86_30
.LBB86_36:                              ;   in Loop: Header=BB86_10 Depth=1
	s_and_saveexec_b32 s13, s3
	s_cbranch_execz .LBB86_38
; %bb.37:                               ;   in Loop: Header=BB86_10 Depth=1
	s_lshl_b64 s[30:31], s[28:29], 2
	s_delay_alu instid0(SALU_CYCLE_1)
	s_add_u32 s30, s7, s30
	s_addc_u32 s31, s33, s31
	global_load_b32 v3, v13, s[30:31] glc
	s_waitcnt vmcnt(0)
	v_cmp_ne_u32_e32 vcc_lo, 0, v3
	s_cbranch_vccz .LBB86_44
.LBB86_38:                              ;   in Loop: Header=BB86_10 Depth=1
	s_or_b32 exec_lo, exec_lo, s13
	v_mov_b32_e32 v15, 0
	s_waitcnt_vscnt null, 0x0
	s_barrier
	buffer_gl0_inv
	buffer_gl1_inv
	buffer_gl0_inv
	s_and_saveexec_b32 s13, s2
	s_cbranch_execz .LBB86_40
; %bb.39:                               ;   in Loop: Header=BB86_10 Depth=1
	s_mul_i32 s30, s28, s9
	s_mul_hi_u32 s31, s28, s8
	s_mul_i32 s29, s29, s8
	s_add_i32 s30, s31, s30
	s_mul_i32 s28, s28, s8
	s_add_i32 s29, s30, s29
	s_delay_alu instid0(SALU_CYCLE_1) | instskip(NEXT) | instid1(SALU_CYCLE_1)
	s_lshl_b64 s[28:29], s[28:29], 2
	v_add_co_u32 v15, vcc_lo, v4, s28
	v_add_co_ci_u32_e32 v16, vcc_lo, s29, v5, vcc_lo
	global_load_b32 v3, v[15:16], off
	s_waitcnt vmcnt(0)
	v_fma_f32 v15, -v2, v3, v8
.LBB86_40:                              ;   in Loop: Header=BB86_10 Depth=1
	s_or_b32 exec_lo, exec_lo, s13
	v_mov_b32_e32 v3, v14
	s_mov_b32 s31, 0
	s_branch .LBB86_31
.LBB86_41:                              ;   in Loop: Header=BB86_10 Depth=1
	v_div_scale_f32 v3, null, v2, v2, 1.0
	v_div_scale_f32 v17, vcc_lo, 1.0, v2, 1.0
	s_mov_b32 s31, 2
	s_delay_alu instid0(VALU_DEP_2) | instskip(SKIP_2) | instid1(VALU_DEP_1)
	v_rcp_f32_e32 v15, v3
	s_waitcnt_depctr 0xfff
	v_fma_f32 v16, -v3, v15, 1.0
	v_fmac_f32_e32 v15, v16, v15
	s_delay_alu instid0(VALU_DEP_1) | instskip(NEXT) | instid1(VALU_DEP_1)
	v_mul_f32_e32 v16, v17, v15
	v_fma_f32 v18, -v3, v16, v17
	s_delay_alu instid0(VALU_DEP_1) | instskip(NEXT) | instid1(VALU_DEP_1)
	v_fmac_f32_e32 v16, v18, v15
	v_fma_f32 v3, -v3, v16, v17
	s_delay_alu instid0(VALU_DEP_1) | instskip(SKIP_1) | instid1(VALU_DEP_2)
	v_div_fmas_f32 v3, v3, v15, v16
	v_mov_b32_e32 v15, v8
	v_div_fixup_f32 v2, v3, v2, 1.0
	s_delay_alu instid0(VALU_DEP_1)
	v_cndmask_b32_e64 v3, v14, v2, s1
	s_cmp_gt_i32 s31, 3
	s_mov_b32 s13, -1
	s_cbranch_scc0 .LBB86_32
.LBB86_42:                              ;   in Loop: Header=BB86_10 Depth=1
	s_branch .LBB86_9
.LBB86_43:                              ;   in Loop: Header=BB86_10 Depth=1
                                        ; implicit-def: $sgpr26_sgpr27
	v_mov_b32_e32 v8, v15
	v_mov_b32_e32 v14, v3
	s_and_not1_b32 vcc_lo, exec_lo, s13
	s_cbranch_vccnz .LBB86_10
	s_branch .LBB86_49
.LBB86_44:                              ;   in Loop: Header=BB86_10 Depth=1
	s_mov_b32 s35, 0
	s_branch .LBB86_46
	.p2align	6
.LBB86_45:                              ;   in Loop: Header=BB86_46 Depth=2
	global_load_b32 v3, v13, s[30:31] glc
	s_cmpk_lt_u32 s35, 0xf43
	s_cselect_b32 s36, -1, 0
	s_delay_alu instid0(SALU_CYCLE_1)
	s_cmp_lg_u32 s36, 0
	s_addc_u32 s35, s35, 0
	s_waitcnt vmcnt(0)
	v_cmp_ne_u32_e32 vcc_lo, 0, v3
	s_cbranch_vccnz .LBB86_38
.LBB86_46:                              ;   Parent Loop BB86_10 Depth=1
                                        ; =>  This Loop Header: Depth=2
                                        ;       Child Loop BB86_47 Depth 3
	s_cmp_eq_u32 s35, 0
	s_mov_b32 s36, s35
	s_cbranch_scc1 .LBB86_45
.LBB86_47:                              ;   Parent Loop BB86_10 Depth=1
                                        ;     Parent Loop BB86_46 Depth=2
                                        ; =>    This Inner Loop Header: Depth=3
	s_add_i32 s36, s36, -1
	s_sleep 1
	s_cmp_eq_u32 s36, 0
	s_cbranch_scc0 .LBB86_47
	s_branch .LBB86_45
.LBB86_48:
	v_mov_b32_e32 v15, v8
.LBB86_49:
	s_and_saveexec_b32 s0, s2
	s_cbranch_execz .LBB86_51
; %bb.50:
	s_delay_alu instid0(VALU_DEP_1) | instskip(SKIP_3) | instid1(VALU_DEP_1)
	v_mul_f32_e32 v1, v3, v15
	s_cmp_eq_u32 s6, 0
	s_cselect_b32 vcc_lo, -1, 0
	s_lshl_b64 s[2:3], s[18:19], 2
	v_cndmask_b32_e32 v3, v15, v1, vcc_lo
	v_add_co_u32 v1, vcc_lo, v4, s2
	v_add_co_ci_u32_e32 v2, vcc_lo, s3, v5, vcc_lo
	global_store_b32 v[1:2], v3, off
.LBB86_51:
	s_or_b32 exec_lo, exec_lo, s0
	s_waitcnt_vscnt null, 0x0
	buffer_gl1_inv
	buffer_gl0_inv
	s_barrier
	buffer_gl0_inv
	s_mov_b32 s0, exec_lo
	v_cmpx_eq_u32_e32 0, v0
	s_cbranch_execz .LBB86_53
; %bb.52:
	s_lshl_b64 s[0:1], s[20:21], 2
	v_dual_mov_b32 v0, 0 :: v_dual_mov_b32 v1, 1
	s_add_u32 s2, s10, s0
	s_addc_u32 s3, s11, s1
	s_lshl_b64 s[0:1], s[16:17], 2
	s_delay_alu instid0(SALU_CYCLE_1)
	s_add_u32 s0, s2, s0
	s_addc_u32 s1, s3, s1
	global_store_b32 v0, v1, s[0:1]
.LBB86_53:
	s_nop 0
	s_sendmsg sendmsg(MSG_DEALLOC_VGPRS)
	s_endpgm
.LBB86_54:
                                        ; implicit-def: $sgpr26_sgpr27
	s_load_b64 s[24:25], s[0:1], 0x38
	s_branch .LBB86_4
	.section	.rodata,"a",@progbits
	.p2align	6, 0x0
	.amdhsa_kernel _ZN9rocsparseL5csrsmILj128ELj64ELb1EllfEEv20rocsparse_operation_T3_S2_NS_24const_host_device_scalarIT4_EEPKT2_PKS2_PKS4_PS4_lPiSA_PS2_21rocsparse_index_base_20rocsparse_fill_mode_20rocsparse_diag_type_b
		.amdhsa_group_segment_fixed_size 1536
		.amdhsa_private_segment_fixed_size 0
		.amdhsa_kernarg_size 112
		.amdhsa_user_sgpr_count 15
		.amdhsa_user_sgpr_dispatch_ptr 0
		.amdhsa_user_sgpr_queue_ptr 0
		.amdhsa_user_sgpr_kernarg_segment_ptr 1
		.amdhsa_user_sgpr_dispatch_id 0
		.amdhsa_user_sgpr_private_segment_size 0
		.amdhsa_wavefront_size32 1
		.amdhsa_uses_dynamic_stack 0
		.amdhsa_enable_private_segment 0
		.amdhsa_system_sgpr_workgroup_id_x 1
		.amdhsa_system_sgpr_workgroup_id_y 0
		.amdhsa_system_sgpr_workgroup_id_z 0
		.amdhsa_system_sgpr_workgroup_info 0
		.amdhsa_system_vgpr_workitem_id 0
		.amdhsa_next_free_vgpr 19
		.amdhsa_next_free_sgpr 37
		.amdhsa_reserve_vcc 1
		.amdhsa_float_round_mode_32 0
		.amdhsa_float_round_mode_16_64 0
		.amdhsa_float_denorm_mode_32 3
		.amdhsa_float_denorm_mode_16_64 3
		.amdhsa_dx10_clamp 1
		.amdhsa_ieee_mode 1
		.amdhsa_fp16_overflow 0
		.amdhsa_workgroup_processor_mode 1
		.amdhsa_memory_ordered 1
		.amdhsa_forward_progress 0
		.amdhsa_shared_vgpr_count 0
		.amdhsa_exception_fp_ieee_invalid_op 0
		.amdhsa_exception_fp_denorm_src 0
		.amdhsa_exception_fp_ieee_div_zero 0
		.amdhsa_exception_fp_ieee_overflow 0
		.amdhsa_exception_fp_ieee_underflow 0
		.amdhsa_exception_fp_ieee_inexact 0
		.amdhsa_exception_int_div_zero 0
	.end_amdhsa_kernel
	.section	.text._ZN9rocsparseL5csrsmILj128ELj64ELb1EllfEEv20rocsparse_operation_T3_S2_NS_24const_host_device_scalarIT4_EEPKT2_PKS2_PKS4_PS4_lPiSA_PS2_21rocsparse_index_base_20rocsparse_fill_mode_20rocsparse_diag_type_b,"axG",@progbits,_ZN9rocsparseL5csrsmILj128ELj64ELb1EllfEEv20rocsparse_operation_T3_S2_NS_24const_host_device_scalarIT4_EEPKT2_PKS2_PKS4_PS4_lPiSA_PS2_21rocsparse_index_base_20rocsparse_fill_mode_20rocsparse_diag_type_b,comdat
.Lfunc_end86:
	.size	_ZN9rocsparseL5csrsmILj128ELj64ELb1EllfEEv20rocsparse_operation_T3_S2_NS_24const_host_device_scalarIT4_EEPKT2_PKS2_PKS4_PS4_lPiSA_PS2_21rocsparse_index_base_20rocsparse_fill_mode_20rocsparse_diag_type_b, .Lfunc_end86-_ZN9rocsparseL5csrsmILj128ELj64ELb1EllfEEv20rocsparse_operation_T3_S2_NS_24const_host_device_scalarIT4_EEPKT2_PKS2_PKS4_PS4_lPiSA_PS2_21rocsparse_index_base_20rocsparse_fill_mode_20rocsparse_diag_type_b
                                        ; -- End function
	.section	.AMDGPU.csdata,"",@progbits
; Kernel info:
; codeLenInByte = 2492
; NumSgprs: 39
; NumVgprs: 19
; ScratchSize: 0
; MemoryBound: 0
; FloatMode: 240
; IeeeMode: 1
; LDSByteSize: 1536 bytes/workgroup (compile time only)
; SGPRBlocks: 4
; VGPRBlocks: 2
; NumSGPRsForWavesPerEU: 39
; NumVGPRsForWavesPerEU: 19
; Occupancy: 16
; WaveLimiterHint : 1
; COMPUTE_PGM_RSRC2:SCRATCH_EN: 0
; COMPUTE_PGM_RSRC2:USER_SGPR: 15
; COMPUTE_PGM_RSRC2:TRAP_HANDLER: 0
; COMPUTE_PGM_RSRC2:TGID_X_EN: 1
; COMPUTE_PGM_RSRC2:TGID_Y_EN: 0
; COMPUTE_PGM_RSRC2:TGID_Z_EN: 0
; COMPUTE_PGM_RSRC2:TIDIG_COMP_CNT: 0
	.section	.text._ZN9rocsparseL5csrsmILj128ELj64ELb0EllfEEv20rocsparse_operation_T3_S2_NS_24const_host_device_scalarIT4_EEPKT2_PKS2_PKS4_PS4_lPiSA_PS2_21rocsparse_index_base_20rocsparse_fill_mode_20rocsparse_diag_type_b,"axG",@progbits,_ZN9rocsparseL5csrsmILj128ELj64ELb0EllfEEv20rocsparse_operation_T3_S2_NS_24const_host_device_scalarIT4_EEPKT2_PKS2_PKS4_PS4_lPiSA_PS2_21rocsparse_index_base_20rocsparse_fill_mode_20rocsparse_diag_type_b,comdat
	.globl	_ZN9rocsparseL5csrsmILj128ELj64ELb0EllfEEv20rocsparse_operation_T3_S2_NS_24const_host_device_scalarIT4_EEPKT2_PKS2_PKS4_PS4_lPiSA_PS2_21rocsparse_index_base_20rocsparse_fill_mode_20rocsparse_diag_type_b ; -- Begin function _ZN9rocsparseL5csrsmILj128ELj64ELb0EllfEEv20rocsparse_operation_T3_S2_NS_24const_host_device_scalarIT4_EEPKT2_PKS2_PKS4_PS4_lPiSA_PS2_21rocsparse_index_base_20rocsparse_fill_mode_20rocsparse_diag_type_b
	.p2align	8
	.type	_ZN9rocsparseL5csrsmILj128ELj64ELb0EllfEEv20rocsparse_operation_T3_S2_NS_24const_host_device_scalarIT4_EEPKT2_PKS2_PKS4_PS4_lPiSA_PS2_21rocsparse_index_base_20rocsparse_fill_mode_20rocsparse_diag_type_b,@function
_ZN9rocsparseL5csrsmILj128ELj64ELb0EllfEEv20rocsparse_operation_T3_S2_NS_24const_host_device_scalarIT4_EEPKT2_PKS2_PKS4_PS4_lPiSA_PS2_21rocsparse_index_base_20rocsparse_fill_mode_20rocsparse_diag_type_b: ; @_ZN9rocsparseL5csrsmILj128ELj64ELb0EllfEEv20rocsparse_operation_T3_S2_NS_24const_host_device_scalarIT4_EEPKT2_PKS2_PKS4_PS4_lPiSA_PS2_21rocsparse_index_base_20rocsparse_fill_mode_20rocsparse_diag_type_b
; %bb.0:
	s_clause 0x2
	s_load_b128 s[4:7], s[0:1], 0x60
	s_load_b128 s[16:19], s[0:1], 0x8
	s_load_b64 s[22:23], s[0:1], 0x18
	s_waitcnt lgkmcnt(0)
	s_bitcmp1_b32 s7, 0
	s_cselect_b32 s2, -1, 0
	s_delay_alu instid0(SALU_CYCLE_1)
	s_and_b32 vcc_lo, exec_lo, s2
	s_cbranch_vccnz .LBB87_2
; %bb.1:
	s_load_b32 s22, s[22:23], 0x0
.LBB87_2:
	s_clause 0x1
	s_load_b64 s[8:9], s[0:1], 0x50
	s_load_b64 s[2:3], s[0:1], 0x20
	s_mov_b32 s10, 0
	s_mov_b32 s11, s17
	s_delay_alu instid0(SALU_CYCLE_1)
	s_cmp_lg_u64 s[10:11], 0
	s_cbranch_scc0 .LBB87_51
; %bb.3:
	s_ashr_i32 s12, s17, 31
	s_delay_alu instid0(SALU_CYCLE_1) | instskip(SKIP_2) | instid1(SALU_CYCLE_1)
	s_add_u32 s20, s16, s12
	s_mov_b32 s13, s12
	s_addc_u32 s21, s17, s12
	s_xor_b64 s[20:21], s[20:21], s[12:13]
	s_delay_alu instid0(SALU_CYCLE_1) | instskip(SKIP_3) | instid1(VALU_DEP_1)
	v_cvt_f32_u32_e32 v1, s20
	v_cvt_f32_u32_e32 v2, s21
	s_sub_u32 s14, 0, s20
	s_subb_u32 s23, 0, s21
	v_fmamk_f32 v1, v2, 0x4f800000, v1
	s_delay_alu instid0(VALU_DEP_1) | instskip(SKIP_2) | instid1(VALU_DEP_1)
	v_rcp_f32_e32 v1, v1
	s_waitcnt_depctr 0xfff
	v_mul_f32_e32 v1, 0x5f7ffffc, v1
	v_mul_f32_e32 v2, 0x2f800000, v1
	s_delay_alu instid0(VALU_DEP_1) | instskip(NEXT) | instid1(VALU_DEP_1)
	v_trunc_f32_e32 v2, v2
	v_fmamk_f32 v1, v2, 0xcf800000, v1
	v_cvt_u32_f32_e32 v2, v2
	s_delay_alu instid0(VALU_DEP_2) | instskip(NEXT) | instid1(VALU_DEP_2)
	v_cvt_u32_f32_e32 v1, v1
	v_readfirstlane_b32 s7, v2
	s_delay_alu instid0(VALU_DEP_2) | instskip(NEXT) | instid1(VALU_DEP_2)
	v_readfirstlane_b32 s11, v1
	s_mul_i32 s24, s14, s7
	s_delay_alu instid0(VALU_DEP_1)
	s_mul_hi_u32 s26, s14, s11
	s_mul_i32 s25, s23, s11
	s_add_i32 s24, s26, s24
	s_mul_i32 s27, s14, s11
	s_add_i32 s24, s24, s25
	s_mul_hi_u32 s26, s11, s27
	s_mul_hi_u32 s28, s7, s27
	s_mul_i32 s25, s7, s27
	s_mul_hi_u32 s27, s11, s24
	s_mul_i32 s11, s11, s24
	s_mul_hi_u32 s29, s7, s24
	s_add_u32 s11, s26, s11
	s_addc_u32 s26, 0, s27
	s_add_u32 s11, s11, s25
	s_mul_i32 s24, s7, s24
	s_addc_u32 s11, s26, s28
	s_addc_u32 s25, s29, 0
	s_add_u32 s11, s11, s24
	s_addc_u32 s24, 0, s25
	v_add_co_u32 v1, s11, v1, s11
	s_delay_alu instid0(VALU_DEP_1) | instskip(SKIP_1) | instid1(VALU_DEP_1)
	s_cmp_lg_u32 s11, 0
	s_addc_u32 s7, s7, s24
	v_readfirstlane_b32 s11, v1
	s_mul_i32 s24, s14, s7
	s_delay_alu instid0(VALU_DEP_1)
	s_mul_hi_u32 s25, s14, s11
	s_mul_i32 s23, s23, s11
	s_add_i32 s24, s25, s24
	s_mul_i32 s14, s14, s11
	s_add_i32 s24, s24, s23
	s_mul_hi_u32 s25, s7, s14
	s_mul_i32 s26, s7, s14
	s_mul_hi_u32 s14, s11, s14
	s_mul_hi_u32 s27, s11, s24
	s_mul_i32 s11, s11, s24
	s_mul_hi_u32 s23, s7, s24
	s_add_u32 s11, s14, s11
	s_addc_u32 s14, 0, s27
	s_add_u32 s11, s11, s26
	s_mul_i32 s24, s7, s24
	s_addc_u32 s11, s14, s25
	s_addc_u32 s14, s23, 0
	s_add_u32 s11, s11, s24
	s_addc_u32 s14, 0, s14
	v_add_co_u32 v1, s11, v1, s11
	s_delay_alu instid0(VALU_DEP_1) | instskip(SKIP_1) | instid1(VALU_DEP_1)
	s_cmp_lg_u32 s11, 0
	s_addc_u32 s7, s7, s14
	v_readfirstlane_b32 s11, v1
	s_mul_i32 s14, s15, s7
	s_mul_hi_u32 s7, s15, s7
	s_delay_alu instid0(VALU_DEP_1) | instskip(NEXT) | instid1(SALU_CYCLE_1)
	s_mul_hi_u32 s11, s15, s11
	s_add_u32 s11, s11, s14
	s_addc_u32 s7, 0, s7
	s_add_u32 s11, s11, 0
	s_addc_u32 s7, s7, 0
	s_addc_u32 s11, 0, 0
	s_add_u32 s7, s7, 0
	s_addc_u32 s11, 0, s11
	s_mul_hi_u32 s14, s20, s7
	s_mul_i32 s24, s20, s11
	s_mul_i32 s25, s20, s7
	s_add_i32 s14, s14, s24
	v_sub_co_u32 v1, s24, s15, s25
	s_mul_i32 s23, s21, s7
	s_delay_alu instid0(SALU_CYCLE_1) | instskip(NEXT) | instid1(VALU_DEP_1)
	s_add_i32 s14, s14, s23
	v_sub_co_u32 v2, s25, v1, s20
	s_sub_i32 s23, 0, s14
	s_cmp_lg_u32 s24, 0
	s_subb_u32 s23, s23, s21
	s_cmp_lg_u32 s25, 0
	v_readfirstlane_b32 s25, v2
	s_subb_u32 s23, s23, 0
	s_delay_alu instid0(SALU_CYCLE_1) | instskip(SKIP_1) | instid1(VALU_DEP_1)
	s_cmp_ge_u32 s23, s21
	s_cselect_b32 s26, -1, 0
	s_cmp_ge_u32 s25, s20
	s_cselect_b32 s25, -1, 0
	s_cmp_eq_u32 s23, s21
	s_cselect_b32 s23, s25, s26
	s_add_u32 s25, s7, 1
	s_addc_u32 s26, s11, 0
	s_add_u32 s27, s7, 2
	s_addc_u32 s28, s11, 0
	s_cmp_lg_u32 s23, 0
	s_cselect_b32 s23, s27, s25
	s_cselect_b32 s25, s28, s26
	s_cmp_lg_u32 s24, 0
	v_readfirstlane_b32 s24, v1
	s_subb_u32 s14, 0, s14
	s_delay_alu instid0(SALU_CYCLE_1) | instskip(SKIP_1) | instid1(VALU_DEP_1)
	s_cmp_ge_u32 s14, s21
	s_cselect_b32 s26, -1, 0
	s_cmp_ge_u32 s24, s20
	s_cselect_b32 s20, -1, 0
	s_cmp_eq_u32 s14, s21
	s_cselect_b32 s14, s20, s26
	s_delay_alu instid0(SALU_CYCLE_1) | instskip(SKIP_2) | instid1(SALU_CYCLE_1)
	s_cmp_lg_u32 s14, 0
	s_cselect_b32 s21, s25, s11
	s_cselect_b32 s20, s23, s7
	s_xor_b64 s[20:21], s[20:21], s[12:13]
	s_delay_alu instid0(SALU_CYCLE_1)
	s_sub_u32 s26, s20, s12
	s_subb_u32 s27, s21, s12
	s_load_b64 s[24:25], s[0:1], 0x38
	s_and_not1_b32 vcc_lo, exec_lo, s10
	s_cbranch_vccnz .LBB87_5
.LBB87_4:
	v_cvt_f32_u32_e32 v1, s16
	s_sub_i32 s10, 0, s16
	s_mov_b32 s27, 0
	s_delay_alu instid0(VALU_DEP_1) | instskip(SKIP_2) | instid1(VALU_DEP_1)
	v_rcp_iflag_f32_e32 v1, v1
	s_waitcnt_depctr 0xfff
	v_mul_f32_e32 v1, 0x4f7ffffe, v1
	v_cvt_u32_f32_e32 v1, v1
	s_delay_alu instid0(VALU_DEP_1) | instskip(NEXT) | instid1(VALU_DEP_1)
	v_readfirstlane_b32 s7, v1
	s_mul_i32 s10, s10, s7
	s_delay_alu instid0(SALU_CYCLE_1) | instskip(NEXT) | instid1(SALU_CYCLE_1)
	s_mul_hi_u32 s10, s7, s10
	s_add_i32 s7, s7, s10
	s_delay_alu instid0(SALU_CYCLE_1) | instskip(NEXT) | instid1(SALU_CYCLE_1)
	s_mul_hi_u32 s7, s15, s7
	s_mul_i32 s10, s7, s16
	s_add_i32 s11, s7, 1
	s_sub_i32 s10, s15, s10
	s_delay_alu instid0(SALU_CYCLE_1)
	s_sub_i32 s12, s10, s16
	s_cmp_ge_u32 s10, s16
	s_cselect_b32 s7, s11, s7
	s_cselect_b32 s10, s12, s10
	s_add_i32 s11, s7, 1
	s_cmp_ge_u32 s10, s16
	s_cselect_b32 s26, s11, s7
.LBB87_5:
	s_delay_alu instid0(SALU_CYCLE_1)
	s_mul_i32 s7, s26, s17
	s_mul_hi_u32 s10, s26, s16
	v_mov_b32_e32 v1, 0
	s_add_i32 s7, s10, s7
	s_mul_i32 s10, s27, s16
	s_mul_i32 s16, s26, s16
	s_add_i32 s17, s7, s10
	s_sub_u32 s10, s15, s16
	s_subb_u32 s11, 0, s17
	v_mov_b32_e32 v8, v1
	s_lshl_b64 s[10:11], s[10:11], 3
	s_waitcnt lgkmcnt(0)
	s_add_u32 s8, s8, s10
	s_addc_u32 s9, s9, s11
	s_load_b64 s[20:21], s[8:9], 0x0
	s_load_b128 s[8:11], s[0:1], 0x40
	s_waitcnt lgkmcnt(0)
	s_lshl_b64 s[12:13], s[20:21], 3
	s_mul_i32 s7, s21, s8
	s_add_u32 s2, s2, s12
	s_addc_u32 s3, s3, s13
	s_load_b128 s[12:15], s[2:3], 0x0
	s_lshl_b64 s[2:3], s[26:27], 7
	s_delay_alu instid0(SALU_CYCLE_1) | instskip(SKIP_3) | instid1(SALU_CYCLE_1)
	v_or_b32_e32 v2, s2, v0
	v_mov_b32_e32 v3, s3
	s_mul_i32 s2, s20, s9
	s_mul_hi_u32 s3, s20, s8
	s_add_i32 s3, s3, s2
	s_delay_alu instid0(VALU_DEP_1) | instskip(SKIP_2) | instid1(VALU_DEP_1)
	v_cmp_gt_i64_e64 s2, s[18:19], v[2:3]
	s_add_i32 s19, s3, s7
	s_mul_i32 s18, s20, s8
	s_and_saveexec_b32 s3, s2
	s_cbranch_execz .LBB87_7
; %bb.6:
	v_add_co_u32 v4, vcc_lo, v2, s18
	v_add_co_ci_u32_e32 v5, vcc_lo, s19, v3, vcc_lo
	s_delay_alu instid0(VALU_DEP_1) | instskip(NEXT) | instid1(VALU_DEP_1)
	v_lshlrev_b64 v[4:5], 2, v[4:5]
	v_add_co_u32 v4, vcc_lo, s24, v4
	s_delay_alu instid0(VALU_DEP_2)
	v_add_co_ci_u32_e32 v5, vcc_lo, s25, v5, vcc_lo
	global_load_b32 v4, v[4:5], off
	s_waitcnt vmcnt(0)
	v_mul_f32_e32 v8, s22, v4
.LBB87_7:
	s_or_b32 exec_lo, exec_lo, s3
	v_lshlrev_b64 v[2:3], 2, v[2:3]
	s_waitcnt lgkmcnt(0)
	v_cmp_ge_i64_e64 s3, s[12:13], s[14:15]
	s_delay_alu instid0(VALU_DEP_2) | instskip(NEXT) | instid1(VALU_DEP_3)
	v_add_co_u32 v4, vcc_lo, s24, v2
	v_add_co_ci_u32_e32 v5, vcc_lo, s25, v3, vcc_lo
	s_delay_alu instid0(VALU_DEP_3)
	s_and_b32 vcc_lo, exec_lo, s3
	v_mov_b32_e32 v3, 1.0
	v_cmp_eq_u32_e64 s3, 0, v0
	s_cbranch_vccnz .LBB87_45
; %bb.8:
	s_clause 0x1
	s_load_b128 s[24:27], s[0:1], 0x28
	s_load_b64 s[22:23], s[0:1], 0x58
	s_lshl_b64 s[0:1], s[16:17], 2
	v_dual_mov_b32 v13, 0 :: v_dual_lshlrev_b32 v6, 3, v0
	s_add_u32 s7, s10, s0
	s_addc_u32 s33, s11, s1
	v_lshlrev_b32_e32 v2, 2, v0
	s_sub_u32 s12, s12, s4
	s_subb_u32 s13, s13, 0
	s_sub_u32 s14, s14, s4
	s_subb_u32 s15, s15, 0
	s_cmp_lg_u32 s6, 0
	v_or_b32_e32 v7, 0x400, v2
	s_cselect_b32 s34, -1, 0
	v_mov_b32_e32 v14, 1.0
	s_waitcnt lgkmcnt(0)
	v_add_co_u32 v9, s0, s24, v6
	s_delay_alu instid0(VALU_DEP_1)
	v_add_co_ci_u32_e64 v10, null, s25, 0, s0
	v_add_co_u32 v11, s0, s26, v2
	s_add_u32 s24, s20, s4
	v_add_co_ci_u32_e64 v12, null, s27, 0, s0
	v_cmp_ne_u32_e64 s0, 0, v0
	s_addc_u32 s25, s21, 0
	s_cmp_eq_u32 s6, 0
	s_mov_b64 s[26:27], s[12:13]
	s_cselect_b32 s1, -1, 0
	s_branch .LBB87_10
.LBB87_9:                               ;   in Loop: Header=BB87_10 Depth=1
	s_add_u32 s26, s26, 1
	s_addc_u32 s27, s27, 0
	s_delay_alu instid0(SALU_CYCLE_1) | instskip(SKIP_2) | instid1(VALU_DEP_3)
	v_cmp_ge_i64_e64 s13, s[26:27], s[14:15]
	v_mov_b32_e32 v8, v15
	v_mov_b32_e32 v14, v3
	s_and_not1_b32 vcc_lo, exec_lo, s13
	s_cbranch_vccz .LBB87_46
.LBB87_10:                              ; =>This Loop Header: Depth=1
                                        ;     Child Loop BB87_38 Depth 2
	s_sub_i32 s13, s26, s12
	s_delay_alu instid0(SALU_CYCLE_1) | instskip(NEXT) | instid1(SALU_CYCLE_1)
	s_and_b32 s13, s13, 0x7f
	s_cmp_lg_u32 s13, 0
	s_cbranch_scc1 .LBB87_14
; %bb.11:                               ;   in Loop: Header=BB87_10 Depth=1
	s_sub_u32 s28, s14, s26
	s_subb_u32 s29, s15, s27
	v_dual_mov_b32 v2, -1 :: v_dual_mov_b32 v15, -1.0
	v_cmp_gt_i64_e32 vcc_lo, s[28:29], v[0:1]
	v_mov_b32_e32 v3, -1
	s_and_saveexec_b32 s28, vcc_lo
	s_cbranch_execz .LBB87_13
; %bb.12:                               ;   in Loop: Header=BB87_10 Depth=1
	s_lshl_b64 s[30:31], s[26:27], 3
	s_delay_alu instid0(SALU_CYCLE_1) | instskip(SKIP_2) | instid1(SALU_CYCLE_1)
	v_add_co_u32 v2, vcc_lo, v9, s30
	v_add_co_ci_u32_e32 v3, vcc_lo, s31, v10, vcc_lo
	s_lshl_b64 s[30:31], s[26:27], 2
	v_add_co_u32 v15, vcc_lo, v11, s30
	global_load_b64 v[2:3], v[2:3], off
	v_add_co_ci_u32_e32 v16, vcc_lo, s31, v12, vcc_lo
	global_load_b32 v15, v[15:16], off
	s_waitcnt vmcnt(1)
	v_sub_co_u32 v2, vcc_lo, v2, s4
	v_subrev_co_ci_u32_e32 v3, vcc_lo, 0, v3, vcc_lo
.LBB87_13:                              ;   in Loop: Header=BB87_10 Depth=1
	s_or_b32 exec_lo, exec_lo, s28
	ds_store_b64 v6, v[2:3]
	s_waitcnt vmcnt(0)
	ds_store_b32 v7, v15
.LBB87_14:                              ;   in Loop: Header=BB87_10 Depth=1
	s_lshl_b32 s28, s13, 3
	s_lshl_b32 s13, s13, 2
	s_delay_alu instid0(SALU_CYCLE_1)
	v_dual_mov_b32 v2, s28 :: v_dual_mov_b32 v15, s13
	s_waitcnt lgkmcnt(0)
	s_waitcnt_vscnt null, 0x0
	s_barrier
	buffer_gl0_inv
	ds_load_b64 v[2:3], v2
	ds_load_b32 v15, v15 offset:1024
	s_waitcnt lgkmcnt(1)
	v_readfirstlane_b32 s28, v2
	v_readfirstlane_b32 s29, v3
	s_waitcnt lgkmcnt(0)
	v_cmp_neq_f32_e32 vcc_lo, 0, v15
	s_delay_alu instid0(VALU_DEP_2) | instskip(SKIP_1) | instid1(SALU_CYCLE_1)
	s_cmp_lg_u64 s[28:29], s[20:21]
	s_cselect_b32 s13, -1, 0
	s_or_b32 s13, s34, s13
	s_delay_alu instid0(SALU_CYCLE_1) | instskip(SKIP_2) | instid1(SALU_CYCLE_1)
	s_or_b32 vcc_lo, vcc_lo, s13
	v_cndmask_b32_e32 v2, 1.0, v15, vcc_lo
	s_or_b32 s13, s0, vcc_lo
	s_xor_b32 s30, s13, -1
	s_delay_alu instid0(SALU_CYCLE_1)
	s_and_saveexec_b32 s13, s30
	s_cbranch_execz .LBB87_18
; %bb.15:                               ;   in Loop: Header=BB87_10 Depth=1
	v_mbcnt_lo_u32_b32 v2, exec_lo, 0
	s_mov_b32 s30, exec_lo
	s_delay_alu instid0(VALU_DEP_1)
	v_cmpx_eq_u32_e32 0, v2
	s_cbranch_execz .LBB87_17
; %bb.16:                               ;   in Loop: Header=BB87_10 Depth=1
	v_dual_mov_b32 v2, s24 :: v_dual_mov_b32 v3, s25
	global_atomic_min_u64 v13, v[2:3], s[22:23]
.LBB87_17:                              ;   in Loop: Header=BB87_10 Depth=1
	s_or_b32 exec_lo, exec_lo, s30
	v_mov_b32_e32 v2, 1.0
.LBB87_18:                              ;   in Loop: Header=BB87_10 Depth=1
	s_or_b32 exec_lo, exec_lo, s13
	s_cmp_lt_i32 s5, 1
	s_mov_b32 s13, 0
	s_cbranch_scc1 .LBB87_23
; %bb.19:                               ;   in Loop: Header=BB87_10 Depth=1
	s_cmp_eq_u32 s5, 1
	s_cbranch_scc0 .LBB87_24
; %bb.20:                               ;   in Loop: Header=BB87_10 Depth=1
	v_cmp_ge_i64_e64 s30, s[28:29], s[20:21]
	v_mov_b32_e32 v3, v14
	s_delay_alu instid0(VALU_DEP_2)
	s_and_b32 vcc_lo, exec_lo, s30
	s_mov_b32 s30, 0
	s_cbranch_vccz .LBB87_26
; %bb.21:                               ;   in Loop: Header=BB87_10 Depth=1
	s_cmp_eq_u64 s[28:29], s[20:21]
	s_cbranch_scc0 .LBB87_25
; %bb.22:                               ;   in Loop: Header=BB87_10 Depth=1
	v_div_scale_f32 v3, null, v2, v2, 1.0
	s_delay_alu instid0(VALU_DEP_1) | instskip(SKIP_2) | instid1(VALU_DEP_1)
	v_rcp_f32_e32 v15, v3
	s_waitcnt_depctr 0xfff
	v_fma_f32 v16, -v3, v15, 1.0
	v_fmac_f32_e32 v15, v16, v15
	v_div_scale_f32 v16, vcc_lo, 1.0, v2, 1.0
	s_delay_alu instid0(VALU_DEP_1) | instskip(NEXT) | instid1(VALU_DEP_1)
	v_mul_f32_e32 v17, v16, v15
	v_fma_f32 v18, -v3, v17, v16
	s_delay_alu instid0(VALU_DEP_1) | instskip(NEXT) | instid1(VALU_DEP_1)
	v_fmac_f32_e32 v17, v18, v15
	v_fma_f32 v3, -v3, v17, v16
	s_delay_alu instid0(VALU_DEP_1) | instskip(NEXT) | instid1(VALU_DEP_1)
	v_div_fmas_f32 v3, v3, v15, v17
	v_div_fixup_f32 v3, v3, v2, 1.0
	s_delay_alu instid0(VALU_DEP_1)
	v_cndmask_b32_e64 v3, v14, v3, s1
	s_branch .LBB87_26
.LBB87_23:                              ;   in Loop: Header=BB87_10 Depth=1
	s_mov_b32 s30, 0
                                        ; implicit-def: $vgpr15
                                        ; implicit-def: $vgpr3
                                        ; implicit-def: $sgpr31
	s_cbranch_execnz .LBB87_27
	s_branch .LBB87_29
.LBB87_24:                              ;   in Loop: Header=BB87_10 Depth=1
	s_mov_b32 s30, -1
                                        ; implicit-def: $vgpr15
                                        ; implicit-def: $vgpr3
                                        ; implicit-def: $sgpr31
	s_branch .LBB87_29
.LBB87_25:                              ;   in Loop: Header=BB87_10 Depth=1
	s_mov_b32 s30, -1
                                        ; implicit-def: $vgpr3
.LBB87_26:                              ;   in Loop: Header=BB87_10 Depth=1
	v_mov_b32_e32 v15, v8
	s_mov_b32 s31, 4
	s_branch .LBB87_29
.LBB87_27:                              ;   in Loop: Header=BB87_10 Depth=1
	s_cmp_eq_u32 s5, 0
	s_cbranch_scc1 .LBB87_33
; %bb.28:                               ;   in Loop: Header=BB87_10 Depth=1
	s_mov_b32 s30, -1
                                        ; implicit-def: $vgpr15
                                        ; implicit-def: $vgpr3
                                        ; implicit-def: $sgpr31
.LBB87_29:                              ;   in Loop: Header=BB87_10 Depth=1
	s_delay_alu instid0(SALU_CYCLE_1)
	s_and_b32 vcc_lo, exec_lo, s30
	s_cbranch_vccnz .LBB87_36
.LBB87_30:                              ;   in Loop: Header=BB87_10 Depth=1
	s_and_b32 vcc_lo, exec_lo, s13
	s_cbranch_vccnz .LBB87_42
.LBB87_31:                              ;   in Loop: Header=BB87_10 Depth=1
	s_cmp_gt_i32 s31, 3
	s_mov_b32 s13, -1
	s_cbranch_scc1 .LBB87_43
.LBB87_32:                              ;   in Loop: Header=BB87_10 Depth=1
	s_cmp_eq_u32 s31, 0
	s_cselect_b32 s28, -1, 0
	s_delay_alu instid0(SALU_CYCLE_1)
	s_and_not1_b32 vcc_lo, exec_lo, s28
	s_cbranch_vccz .LBB87_9
	s_branch .LBB87_44
.LBB87_33:                              ;   in Loop: Header=BB87_10 Depth=1
	v_cmp_le_i64_e64 s30, s[28:29], s[20:21]
	s_delay_alu instid0(VALU_DEP_1)
	s_and_b32 vcc_lo, exec_lo, s30
	s_mov_b32 s30, 0
	s_cbranch_vccz .LBB87_35
; %bb.34:                               ;   in Loop: Header=BB87_10 Depth=1
	s_cmp_lg_u64 s[28:29], s[20:21]
	s_mov_b32 s13, -1
	s_cselect_b32 s30, -1, 0
.LBB87_35:                              ;   in Loop: Header=BB87_10 Depth=1
	v_mov_b32_e32 v15, v8
	v_mov_b32_e32 v3, v14
	s_mov_b32 s31, 2
	s_and_b32 vcc_lo, exec_lo, s30
	s_cbranch_vccz .LBB87_30
.LBB87_36:                              ;   in Loop: Header=BB87_10 Depth=1
	s_and_saveexec_b32 s13, s3
	s_cbranch_execz .LBB87_39
; %bb.37:                               ;   in Loop: Header=BB87_10 Depth=1
	s_lshl_b64 s[30:31], s[28:29], 2
	s_delay_alu instid0(SALU_CYCLE_1)
	s_add_u32 s30, s7, s30
	s_addc_u32 s31, s33, s31
	global_load_b32 v3, v13, s[30:31] glc
	s_waitcnt vmcnt(0)
	v_cmp_ne_u32_e32 vcc_lo, 0, v3
	s_cbranch_vccnz .LBB87_39
.LBB87_38:                              ;   Parent Loop BB87_10 Depth=1
                                        ; =>  This Inner Loop Header: Depth=2
	global_load_b32 v3, v13, s[30:31] glc
	s_waitcnt vmcnt(0)
	v_cmp_eq_u32_e32 vcc_lo, 0, v3
	s_cbranch_vccnz .LBB87_38
.LBB87_39:                              ;   in Loop: Header=BB87_10 Depth=1
	s_or_b32 exec_lo, exec_lo, s13
	v_mov_b32_e32 v15, 0
	s_waitcnt_vscnt null, 0x0
	s_barrier
	buffer_gl0_inv
	buffer_gl1_inv
	buffer_gl0_inv
	s_and_saveexec_b32 s13, s2
	s_cbranch_execz .LBB87_41
; %bb.40:                               ;   in Loop: Header=BB87_10 Depth=1
	s_mul_i32 s30, s28, s9
	s_mul_hi_u32 s31, s28, s8
	s_mul_i32 s29, s29, s8
	s_add_i32 s30, s31, s30
	s_mul_i32 s28, s28, s8
	s_add_i32 s29, s30, s29
	s_delay_alu instid0(SALU_CYCLE_1) | instskip(NEXT) | instid1(SALU_CYCLE_1)
	s_lshl_b64 s[28:29], s[28:29], 2
	v_add_co_u32 v15, vcc_lo, v4, s28
	v_add_co_ci_u32_e32 v16, vcc_lo, s29, v5, vcc_lo
	global_load_b32 v3, v[15:16], off
	s_waitcnt vmcnt(0)
	v_fma_f32 v15, -v2, v3, v8
.LBB87_41:                              ;   in Loop: Header=BB87_10 Depth=1
	s_or_b32 exec_lo, exec_lo, s13
	v_mov_b32_e32 v3, v14
	s_mov_b32 s31, 0
	s_branch .LBB87_31
.LBB87_42:                              ;   in Loop: Header=BB87_10 Depth=1
	v_div_scale_f32 v3, null, v2, v2, 1.0
	v_div_scale_f32 v17, vcc_lo, 1.0, v2, 1.0
	s_mov_b32 s31, 2
	s_delay_alu instid0(VALU_DEP_2) | instskip(SKIP_2) | instid1(VALU_DEP_1)
	v_rcp_f32_e32 v15, v3
	s_waitcnt_depctr 0xfff
	v_fma_f32 v16, -v3, v15, 1.0
	v_fmac_f32_e32 v15, v16, v15
	s_delay_alu instid0(VALU_DEP_1) | instskip(NEXT) | instid1(VALU_DEP_1)
	v_mul_f32_e32 v16, v17, v15
	v_fma_f32 v18, -v3, v16, v17
	s_delay_alu instid0(VALU_DEP_1) | instskip(NEXT) | instid1(VALU_DEP_1)
	v_fmac_f32_e32 v16, v18, v15
	v_fma_f32 v3, -v3, v16, v17
	s_delay_alu instid0(VALU_DEP_1) | instskip(SKIP_1) | instid1(VALU_DEP_2)
	v_div_fmas_f32 v3, v3, v15, v16
	v_mov_b32_e32 v15, v8
	v_div_fixup_f32 v2, v3, v2, 1.0
	s_delay_alu instid0(VALU_DEP_1)
	v_cndmask_b32_e64 v3, v14, v2, s1
	s_cmp_gt_i32 s31, 3
	s_mov_b32 s13, -1
	s_cbranch_scc0 .LBB87_32
.LBB87_43:                              ;   in Loop: Header=BB87_10 Depth=1
	s_branch .LBB87_9
.LBB87_44:                              ;   in Loop: Header=BB87_10 Depth=1
                                        ; implicit-def: $sgpr26_sgpr27
	v_mov_b32_e32 v8, v15
	v_mov_b32_e32 v14, v3
	s_and_not1_b32 vcc_lo, exec_lo, s13
	s_cbranch_vccnz .LBB87_10
	s_branch .LBB87_46
.LBB87_45:
	v_mov_b32_e32 v15, v8
.LBB87_46:
	s_and_saveexec_b32 s0, s2
	s_cbranch_execz .LBB87_48
; %bb.47:
	s_delay_alu instid0(VALU_DEP_1) | instskip(SKIP_3) | instid1(VALU_DEP_1)
	v_mul_f32_e32 v1, v3, v15
	s_cmp_eq_u32 s6, 0
	s_cselect_b32 vcc_lo, -1, 0
	s_lshl_b64 s[2:3], s[18:19], 2
	v_cndmask_b32_e32 v3, v15, v1, vcc_lo
	v_add_co_u32 v1, vcc_lo, v4, s2
	v_add_co_ci_u32_e32 v2, vcc_lo, s3, v5, vcc_lo
	global_store_b32 v[1:2], v3, off
.LBB87_48:
	s_or_b32 exec_lo, exec_lo, s0
	s_waitcnt_vscnt null, 0x0
	buffer_gl1_inv
	buffer_gl0_inv
	s_barrier
	buffer_gl0_inv
	s_mov_b32 s0, exec_lo
	v_cmpx_eq_u32_e32 0, v0
	s_cbranch_execz .LBB87_50
; %bb.49:
	s_lshl_b64 s[0:1], s[20:21], 2
	v_dual_mov_b32 v0, 0 :: v_dual_mov_b32 v1, 1
	s_add_u32 s2, s10, s0
	s_addc_u32 s3, s11, s1
	s_lshl_b64 s[0:1], s[16:17], 2
	s_delay_alu instid0(SALU_CYCLE_1)
	s_add_u32 s0, s2, s0
	s_addc_u32 s1, s3, s1
	global_store_b32 v0, v1, s[0:1]
.LBB87_50:
	s_nop 0
	s_sendmsg sendmsg(MSG_DEALLOC_VGPRS)
	s_endpgm
.LBB87_51:
                                        ; implicit-def: $sgpr26_sgpr27
	s_load_b64 s[24:25], s[0:1], 0x38
	s_branch .LBB87_4
	.section	.rodata,"a",@progbits
	.p2align	6, 0x0
	.amdhsa_kernel _ZN9rocsparseL5csrsmILj128ELj64ELb0EllfEEv20rocsparse_operation_T3_S2_NS_24const_host_device_scalarIT4_EEPKT2_PKS2_PKS4_PS4_lPiSA_PS2_21rocsparse_index_base_20rocsparse_fill_mode_20rocsparse_diag_type_b
		.amdhsa_group_segment_fixed_size 1536
		.amdhsa_private_segment_fixed_size 0
		.amdhsa_kernarg_size 112
		.amdhsa_user_sgpr_count 15
		.amdhsa_user_sgpr_dispatch_ptr 0
		.amdhsa_user_sgpr_queue_ptr 0
		.amdhsa_user_sgpr_kernarg_segment_ptr 1
		.amdhsa_user_sgpr_dispatch_id 0
		.amdhsa_user_sgpr_private_segment_size 0
		.amdhsa_wavefront_size32 1
		.amdhsa_uses_dynamic_stack 0
		.amdhsa_enable_private_segment 0
		.amdhsa_system_sgpr_workgroup_id_x 1
		.amdhsa_system_sgpr_workgroup_id_y 0
		.amdhsa_system_sgpr_workgroup_id_z 0
		.amdhsa_system_sgpr_workgroup_info 0
		.amdhsa_system_vgpr_workitem_id 0
		.amdhsa_next_free_vgpr 19
		.amdhsa_next_free_sgpr 35
		.amdhsa_reserve_vcc 1
		.amdhsa_float_round_mode_32 0
		.amdhsa_float_round_mode_16_64 0
		.amdhsa_float_denorm_mode_32 3
		.amdhsa_float_denorm_mode_16_64 3
		.amdhsa_dx10_clamp 1
		.amdhsa_ieee_mode 1
		.amdhsa_fp16_overflow 0
		.amdhsa_workgroup_processor_mode 1
		.amdhsa_memory_ordered 1
		.amdhsa_forward_progress 0
		.amdhsa_shared_vgpr_count 0
		.amdhsa_exception_fp_ieee_invalid_op 0
		.amdhsa_exception_fp_denorm_src 0
		.amdhsa_exception_fp_ieee_div_zero 0
		.amdhsa_exception_fp_ieee_overflow 0
		.amdhsa_exception_fp_ieee_underflow 0
		.amdhsa_exception_fp_ieee_inexact 0
		.amdhsa_exception_int_div_zero 0
	.end_amdhsa_kernel
	.section	.text._ZN9rocsparseL5csrsmILj128ELj64ELb0EllfEEv20rocsparse_operation_T3_S2_NS_24const_host_device_scalarIT4_EEPKT2_PKS2_PKS4_PS4_lPiSA_PS2_21rocsparse_index_base_20rocsparse_fill_mode_20rocsparse_diag_type_b,"axG",@progbits,_ZN9rocsparseL5csrsmILj128ELj64ELb0EllfEEv20rocsparse_operation_T3_S2_NS_24const_host_device_scalarIT4_EEPKT2_PKS2_PKS4_PS4_lPiSA_PS2_21rocsparse_index_base_20rocsparse_fill_mode_20rocsparse_diag_type_b,comdat
.Lfunc_end87:
	.size	_ZN9rocsparseL5csrsmILj128ELj64ELb0EllfEEv20rocsparse_operation_T3_S2_NS_24const_host_device_scalarIT4_EEPKT2_PKS2_PKS4_PS4_lPiSA_PS2_21rocsparse_index_base_20rocsparse_fill_mode_20rocsparse_diag_type_b, .Lfunc_end87-_ZN9rocsparseL5csrsmILj128ELj64ELb0EllfEEv20rocsparse_operation_T3_S2_NS_24const_host_device_scalarIT4_EEPKT2_PKS2_PKS4_PS4_lPiSA_PS2_21rocsparse_index_base_20rocsparse_fill_mode_20rocsparse_diag_type_b
                                        ; -- End function
	.section	.AMDGPU.csdata,"",@progbits
; Kernel info:
; codeLenInByte = 2432
; NumSgprs: 37
; NumVgprs: 19
; ScratchSize: 0
; MemoryBound: 0
; FloatMode: 240
; IeeeMode: 1
; LDSByteSize: 1536 bytes/workgroup (compile time only)
; SGPRBlocks: 4
; VGPRBlocks: 2
; NumSGPRsForWavesPerEU: 37
; NumVGPRsForWavesPerEU: 19
; Occupancy: 16
; WaveLimiterHint : 1
; COMPUTE_PGM_RSRC2:SCRATCH_EN: 0
; COMPUTE_PGM_RSRC2:USER_SGPR: 15
; COMPUTE_PGM_RSRC2:TRAP_HANDLER: 0
; COMPUTE_PGM_RSRC2:TGID_X_EN: 1
; COMPUTE_PGM_RSRC2:TGID_Y_EN: 0
; COMPUTE_PGM_RSRC2:TGID_Z_EN: 0
; COMPUTE_PGM_RSRC2:TIDIG_COMP_CNT: 0
	.section	.text._ZN9rocsparseL5csrsmILj256ELj64ELb1EllfEEv20rocsparse_operation_T3_S2_NS_24const_host_device_scalarIT4_EEPKT2_PKS2_PKS4_PS4_lPiSA_PS2_21rocsparse_index_base_20rocsparse_fill_mode_20rocsparse_diag_type_b,"axG",@progbits,_ZN9rocsparseL5csrsmILj256ELj64ELb1EllfEEv20rocsparse_operation_T3_S2_NS_24const_host_device_scalarIT4_EEPKT2_PKS2_PKS4_PS4_lPiSA_PS2_21rocsparse_index_base_20rocsparse_fill_mode_20rocsparse_diag_type_b,comdat
	.globl	_ZN9rocsparseL5csrsmILj256ELj64ELb1EllfEEv20rocsparse_operation_T3_S2_NS_24const_host_device_scalarIT4_EEPKT2_PKS2_PKS4_PS4_lPiSA_PS2_21rocsparse_index_base_20rocsparse_fill_mode_20rocsparse_diag_type_b ; -- Begin function _ZN9rocsparseL5csrsmILj256ELj64ELb1EllfEEv20rocsparse_operation_T3_S2_NS_24const_host_device_scalarIT4_EEPKT2_PKS2_PKS4_PS4_lPiSA_PS2_21rocsparse_index_base_20rocsparse_fill_mode_20rocsparse_diag_type_b
	.p2align	8
	.type	_ZN9rocsparseL5csrsmILj256ELj64ELb1EllfEEv20rocsparse_operation_T3_S2_NS_24const_host_device_scalarIT4_EEPKT2_PKS2_PKS4_PS4_lPiSA_PS2_21rocsparse_index_base_20rocsparse_fill_mode_20rocsparse_diag_type_b,@function
_ZN9rocsparseL5csrsmILj256ELj64ELb1EllfEEv20rocsparse_operation_T3_S2_NS_24const_host_device_scalarIT4_EEPKT2_PKS2_PKS4_PS4_lPiSA_PS2_21rocsparse_index_base_20rocsparse_fill_mode_20rocsparse_diag_type_b: ; @_ZN9rocsparseL5csrsmILj256ELj64ELb1EllfEEv20rocsparse_operation_T3_S2_NS_24const_host_device_scalarIT4_EEPKT2_PKS2_PKS4_PS4_lPiSA_PS2_21rocsparse_index_base_20rocsparse_fill_mode_20rocsparse_diag_type_b
; %bb.0:
	s_clause 0x2
	s_load_b128 s[4:7], s[0:1], 0x60
	s_load_b128 s[16:19], s[0:1], 0x8
	s_load_b64 s[22:23], s[0:1], 0x18
	s_waitcnt lgkmcnt(0)
	s_bitcmp1_b32 s7, 0
	s_cselect_b32 s2, -1, 0
	s_delay_alu instid0(SALU_CYCLE_1)
	s_and_b32 vcc_lo, exec_lo, s2
	s_cbranch_vccnz .LBB88_2
; %bb.1:
	s_load_b32 s22, s[22:23], 0x0
.LBB88_2:
	s_clause 0x1
	s_load_b64 s[8:9], s[0:1], 0x50
	s_load_b64 s[2:3], s[0:1], 0x20
	s_mov_b32 s10, 0
	s_mov_b32 s11, s17
	s_delay_alu instid0(SALU_CYCLE_1)
	s_cmp_lg_u64 s[10:11], 0
	s_cbranch_scc0 .LBB88_54
; %bb.3:
	s_ashr_i32 s12, s17, 31
	s_delay_alu instid0(SALU_CYCLE_1) | instskip(SKIP_2) | instid1(SALU_CYCLE_1)
	s_add_u32 s20, s16, s12
	s_mov_b32 s13, s12
	s_addc_u32 s21, s17, s12
	s_xor_b64 s[20:21], s[20:21], s[12:13]
	s_delay_alu instid0(SALU_CYCLE_1) | instskip(SKIP_3) | instid1(VALU_DEP_1)
	v_cvt_f32_u32_e32 v1, s20
	v_cvt_f32_u32_e32 v2, s21
	s_sub_u32 s14, 0, s20
	s_subb_u32 s23, 0, s21
	v_fmamk_f32 v1, v2, 0x4f800000, v1
	s_delay_alu instid0(VALU_DEP_1) | instskip(SKIP_2) | instid1(VALU_DEP_1)
	v_rcp_f32_e32 v1, v1
	s_waitcnt_depctr 0xfff
	v_mul_f32_e32 v1, 0x5f7ffffc, v1
	v_mul_f32_e32 v2, 0x2f800000, v1
	s_delay_alu instid0(VALU_DEP_1) | instskip(NEXT) | instid1(VALU_DEP_1)
	v_trunc_f32_e32 v2, v2
	v_fmamk_f32 v1, v2, 0xcf800000, v1
	v_cvt_u32_f32_e32 v2, v2
	s_delay_alu instid0(VALU_DEP_2) | instskip(NEXT) | instid1(VALU_DEP_2)
	v_cvt_u32_f32_e32 v1, v1
	v_readfirstlane_b32 s7, v2
	s_delay_alu instid0(VALU_DEP_2) | instskip(NEXT) | instid1(VALU_DEP_2)
	v_readfirstlane_b32 s11, v1
	s_mul_i32 s24, s14, s7
	s_delay_alu instid0(VALU_DEP_1)
	s_mul_hi_u32 s26, s14, s11
	s_mul_i32 s25, s23, s11
	s_add_i32 s24, s26, s24
	s_mul_i32 s27, s14, s11
	s_add_i32 s24, s24, s25
	s_mul_hi_u32 s26, s11, s27
	s_mul_hi_u32 s28, s7, s27
	s_mul_i32 s25, s7, s27
	s_mul_hi_u32 s27, s11, s24
	s_mul_i32 s11, s11, s24
	s_mul_hi_u32 s29, s7, s24
	s_add_u32 s11, s26, s11
	s_addc_u32 s26, 0, s27
	s_add_u32 s11, s11, s25
	s_mul_i32 s24, s7, s24
	s_addc_u32 s11, s26, s28
	s_addc_u32 s25, s29, 0
	s_add_u32 s11, s11, s24
	s_addc_u32 s24, 0, s25
	v_add_co_u32 v1, s11, v1, s11
	s_delay_alu instid0(VALU_DEP_1) | instskip(SKIP_1) | instid1(VALU_DEP_1)
	s_cmp_lg_u32 s11, 0
	s_addc_u32 s7, s7, s24
	v_readfirstlane_b32 s11, v1
	s_mul_i32 s24, s14, s7
	s_delay_alu instid0(VALU_DEP_1)
	s_mul_hi_u32 s25, s14, s11
	s_mul_i32 s23, s23, s11
	s_add_i32 s24, s25, s24
	s_mul_i32 s14, s14, s11
	s_add_i32 s24, s24, s23
	s_mul_hi_u32 s25, s7, s14
	s_mul_i32 s26, s7, s14
	s_mul_hi_u32 s14, s11, s14
	s_mul_hi_u32 s27, s11, s24
	s_mul_i32 s11, s11, s24
	s_mul_hi_u32 s23, s7, s24
	s_add_u32 s11, s14, s11
	s_addc_u32 s14, 0, s27
	s_add_u32 s11, s11, s26
	s_mul_i32 s24, s7, s24
	s_addc_u32 s11, s14, s25
	s_addc_u32 s14, s23, 0
	s_add_u32 s11, s11, s24
	s_addc_u32 s14, 0, s14
	v_add_co_u32 v1, s11, v1, s11
	s_delay_alu instid0(VALU_DEP_1) | instskip(SKIP_1) | instid1(VALU_DEP_1)
	s_cmp_lg_u32 s11, 0
	s_addc_u32 s7, s7, s14
	v_readfirstlane_b32 s11, v1
	s_mul_i32 s14, s15, s7
	s_mul_hi_u32 s7, s15, s7
	s_delay_alu instid0(VALU_DEP_1) | instskip(NEXT) | instid1(SALU_CYCLE_1)
	s_mul_hi_u32 s11, s15, s11
	s_add_u32 s11, s11, s14
	s_addc_u32 s7, 0, s7
	s_add_u32 s11, s11, 0
	s_addc_u32 s7, s7, 0
	s_addc_u32 s11, 0, 0
	s_add_u32 s7, s7, 0
	s_addc_u32 s11, 0, s11
	s_mul_hi_u32 s14, s20, s7
	s_mul_i32 s24, s20, s11
	s_mul_i32 s25, s20, s7
	s_add_i32 s14, s14, s24
	v_sub_co_u32 v1, s24, s15, s25
	s_mul_i32 s23, s21, s7
	s_delay_alu instid0(SALU_CYCLE_1) | instskip(NEXT) | instid1(VALU_DEP_1)
	s_add_i32 s14, s14, s23
	v_sub_co_u32 v2, s25, v1, s20
	s_sub_i32 s23, 0, s14
	s_cmp_lg_u32 s24, 0
	s_subb_u32 s23, s23, s21
	s_cmp_lg_u32 s25, 0
	v_readfirstlane_b32 s25, v2
	s_subb_u32 s23, s23, 0
	s_delay_alu instid0(SALU_CYCLE_1) | instskip(SKIP_1) | instid1(VALU_DEP_1)
	s_cmp_ge_u32 s23, s21
	s_cselect_b32 s26, -1, 0
	s_cmp_ge_u32 s25, s20
	s_cselect_b32 s25, -1, 0
	s_cmp_eq_u32 s23, s21
	s_cselect_b32 s23, s25, s26
	s_add_u32 s25, s7, 1
	s_addc_u32 s26, s11, 0
	s_add_u32 s27, s7, 2
	s_addc_u32 s28, s11, 0
	s_cmp_lg_u32 s23, 0
	s_cselect_b32 s23, s27, s25
	s_cselect_b32 s25, s28, s26
	s_cmp_lg_u32 s24, 0
	v_readfirstlane_b32 s24, v1
	s_subb_u32 s14, 0, s14
	s_delay_alu instid0(SALU_CYCLE_1) | instskip(SKIP_1) | instid1(VALU_DEP_1)
	s_cmp_ge_u32 s14, s21
	s_cselect_b32 s26, -1, 0
	s_cmp_ge_u32 s24, s20
	s_cselect_b32 s20, -1, 0
	s_cmp_eq_u32 s14, s21
	s_cselect_b32 s14, s20, s26
	s_delay_alu instid0(SALU_CYCLE_1) | instskip(SKIP_2) | instid1(SALU_CYCLE_1)
	s_cmp_lg_u32 s14, 0
	s_cselect_b32 s21, s25, s11
	s_cselect_b32 s20, s23, s7
	s_xor_b64 s[20:21], s[20:21], s[12:13]
	s_delay_alu instid0(SALU_CYCLE_1)
	s_sub_u32 s26, s20, s12
	s_subb_u32 s27, s21, s12
	s_load_b64 s[24:25], s[0:1], 0x38
	s_and_not1_b32 vcc_lo, exec_lo, s10
	s_cbranch_vccnz .LBB88_5
.LBB88_4:
	v_cvt_f32_u32_e32 v1, s16
	s_sub_i32 s10, 0, s16
	s_mov_b32 s27, 0
	s_delay_alu instid0(VALU_DEP_1) | instskip(SKIP_2) | instid1(VALU_DEP_1)
	v_rcp_iflag_f32_e32 v1, v1
	s_waitcnt_depctr 0xfff
	v_mul_f32_e32 v1, 0x4f7ffffe, v1
	v_cvt_u32_f32_e32 v1, v1
	s_delay_alu instid0(VALU_DEP_1) | instskip(NEXT) | instid1(VALU_DEP_1)
	v_readfirstlane_b32 s7, v1
	s_mul_i32 s10, s10, s7
	s_delay_alu instid0(SALU_CYCLE_1) | instskip(NEXT) | instid1(SALU_CYCLE_1)
	s_mul_hi_u32 s10, s7, s10
	s_add_i32 s7, s7, s10
	s_delay_alu instid0(SALU_CYCLE_1) | instskip(NEXT) | instid1(SALU_CYCLE_1)
	s_mul_hi_u32 s7, s15, s7
	s_mul_i32 s10, s7, s16
	s_add_i32 s11, s7, 1
	s_sub_i32 s10, s15, s10
	s_delay_alu instid0(SALU_CYCLE_1)
	s_sub_i32 s12, s10, s16
	s_cmp_ge_u32 s10, s16
	s_cselect_b32 s7, s11, s7
	s_cselect_b32 s10, s12, s10
	s_add_i32 s11, s7, 1
	s_cmp_ge_u32 s10, s16
	s_cselect_b32 s26, s11, s7
.LBB88_5:
	s_delay_alu instid0(SALU_CYCLE_1)
	s_mul_i32 s7, s26, s17
	s_mul_hi_u32 s10, s26, s16
	v_mov_b32_e32 v1, 0
	s_add_i32 s7, s10, s7
	s_mul_i32 s10, s27, s16
	s_mul_i32 s16, s26, s16
	s_add_i32 s17, s7, s10
	s_sub_u32 s10, s15, s16
	s_subb_u32 s11, 0, s17
	v_mov_b32_e32 v8, v1
	s_lshl_b64 s[10:11], s[10:11], 3
	s_waitcnt lgkmcnt(0)
	s_add_u32 s8, s8, s10
	s_addc_u32 s9, s9, s11
	s_load_b64 s[20:21], s[8:9], 0x0
	s_load_b128 s[8:11], s[0:1], 0x40
	s_waitcnt lgkmcnt(0)
	s_lshl_b64 s[12:13], s[20:21], 3
	s_mul_i32 s7, s21, s8
	s_add_u32 s2, s2, s12
	s_addc_u32 s3, s3, s13
	s_load_b128 s[12:15], s[2:3], 0x0
	s_lshl_b64 s[2:3], s[26:27], 8
	s_delay_alu instid0(SALU_CYCLE_1) | instskip(SKIP_3) | instid1(SALU_CYCLE_1)
	v_or_b32_e32 v2, s2, v0
	v_mov_b32_e32 v3, s3
	s_mul_i32 s2, s20, s9
	s_mul_hi_u32 s3, s20, s8
	s_add_i32 s3, s3, s2
	s_delay_alu instid0(VALU_DEP_1) | instskip(SKIP_2) | instid1(VALU_DEP_1)
	v_cmp_gt_i64_e64 s2, s[18:19], v[2:3]
	s_add_i32 s19, s3, s7
	s_mul_i32 s18, s20, s8
	s_and_saveexec_b32 s3, s2
	s_cbranch_execz .LBB88_7
; %bb.6:
	v_add_co_u32 v4, vcc_lo, v2, s18
	v_add_co_ci_u32_e32 v5, vcc_lo, s19, v3, vcc_lo
	s_delay_alu instid0(VALU_DEP_1) | instskip(NEXT) | instid1(VALU_DEP_1)
	v_lshlrev_b64 v[4:5], 2, v[4:5]
	v_add_co_u32 v4, vcc_lo, s24, v4
	s_delay_alu instid0(VALU_DEP_2)
	v_add_co_ci_u32_e32 v5, vcc_lo, s25, v5, vcc_lo
	global_load_b32 v4, v[4:5], off
	s_waitcnt vmcnt(0)
	v_mul_f32_e32 v8, s22, v4
.LBB88_7:
	s_or_b32 exec_lo, exec_lo, s3
	v_lshlrev_b64 v[2:3], 2, v[2:3]
	s_waitcnt lgkmcnt(0)
	v_cmp_ge_i64_e64 s3, s[12:13], s[14:15]
	s_delay_alu instid0(VALU_DEP_2) | instskip(NEXT) | instid1(VALU_DEP_3)
	v_add_co_u32 v4, vcc_lo, s24, v2
	v_add_co_ci_u32_e32 v5, vcc_lo, s25, v3, vcc_lo
	s_delay_alu instid0(VALU_DEP_3)
	s_and_b32 vcc_lo, exec_lo, s3
	v_mov_b32_e32 v3, 1.0
	v_cmp_eq_u32_e64 s3, 0, v0
	s_cbranch_vccnz .LBB88_48
; %bb.8:
	s_clause 0x1
	s_load_b128 s[24:27], s[0:1], 0x28
	s_load_b64 s[22:23], s[0:1], 0x58
	s_lshl_b64 s[0:1], s[16:17], 2
	v_dual_mov_b32 v13, 0 :: v_dual_lshlrev_b32 v6, 3, v0
	s_add_u32 s7, s10, s0
	s_addc_u32 s33, s11, s1
	v_lshlrev_b32_e32 v2, 2, v0
	s_sub_u32 s12, s12, s4
	s_subb_u32 s13, s13, 0
	s_sub_u32 s14, s14, s4
	s_subb_u32 s15, s15, 0
	s_cmp_lg_u32 s6, 0
	v_or_b32_e32 v7, 0x800, v2
	s_cselect_b32 s34, -1, 0
	v_mov_b32_e32 v14, 1.0
	s_waitcnt lgkmcnt(0)
	v_add_co_u32 v9, s0, s24, v6
	s_delay_alu instid0(VALU_DEP_1)
	v_add_co_ci_u32_e64 v10, null, s25, 0, s0
	v_add_co_u32 v11, s0, s26, v2
	s_add_u32 s24, s20, s4
	v_add_co_ci_u32_e64 v12, null, s27, 0, s0
	v_cmp_ne_u32_e64 s0, 0, v0
	s_addc_u32 s25, s21, 0
	s_cmp_eq_u32 s6, 0
	s_mov_b64 s[26:27], s[12:13]
	s_cselect_b32 s1, -1, 0
	s_branch .LBB88_10
.LBB88_9:                               ;   in Loop: Header=BB88_10 Depth=1
	s_add_u32 s26, s26, 1
	s_addc_u32 s27, s27, 0
	s_delay_alu instid0(SALU_CYCLE_1) | instskip(SKIP_2) | instid1(VALU_DEP_3)
	v_cmp_ge_i64_e64 s13, s[26:27], s[14:15]
	v_mov_b32_e32 v8, v15
	v_mov_b32_e32 v14, v3
	s_and_not1_b32 vcc_lo, exec_lo, s13
	s_cbranch_vccz .LBB88_49
.LBB88_10:                              ; =>This Loop Header: Depth=1
                                        ;     Child Loop BB88_46 Depth 2
                                        ;       Child Loop BB88_47 Depth 3
	s_sub_i32 s13, s26, s12
	s_delay_alu instid0(SALU_CYCLE_1) | instskip(NEXT) | instid1(SALU_CYCLE_1)
	s_and_b32 s13, s13, 0xff
	s_cmp_lg_u32 s13, 0
	s_cbranch_scc1 .LBB88_14
; %bb.11:                               ;   in Loop: Header=BB88_10 Depth=1
	s_sub_u32 s28, s14, s26
	s_subb_u32 s29, s15, s27
	v_dual_mov_b32 v2, -1 :: v_dual_mov_b32 v15, -1.0
	v_cmp_gt_i64_e32 vcc_lo, s[28:29], v[0:1]
	v_mov_b32_e32 v3, -1
	s_and_saveexec_b32 s28, vcc_lo
	s_cbranch_execz .LBB88_13
; %bb.12:                               ;   in Loop: Header=BB88_10 Depth=1
	s_lshl_b64 s[30:31], s[26:27], 3
	s_delay_alu instid0(SALU_CYCLE_1) | instskip(SKIP_2) | instid1(SALU_CYCLE_1)
	v_add_co_u32 v2, vcc_lo, v9, s30
	v_add_co_ci_u32_e32 v3, vcc_lo, s31, v10, vcc_lo
	s_lshl_b64 s[30:31], s[26:27], 2
	v_add_co_u32 v15, vcc_lo, v11, s30
	global_load_b64 v[2:3], v[2:3], off
	v_add_co_ci_u32_e32 v16, vcc_lo, s31, v12, vcc_lo
	global_load_b32 v15, v[15:16], off
	s_waitcnt vmcnt(1)
	v_sub_co_u32 v2, vcc_lo, v2, s4
	v_subrev_co_ci_u32_e32 v3, vcc_lo, 0, v3, vcc_lo
.LBB88_13:                              ;   in Loop: Header=BB88_10 Depth=1
	s_or_b32 exec_lo, exec_lo, s28
	ds_store_b64 v6, v[2:3]
	s_waitcnt vmcnt(0)
	ds_store_b32 v7, v15
.LBB88_14:                              ;   in Loop: Header=BB88_10 Depth=1
	s_lshl_b32 s28, s13, 3
	s_lshl_b32 s13, s13, 2
	s_delay_alu instid0(SALU_CYCLE_1)
	v_dual_mov_b32 v2, s28 :: v_dual_mov_b32 v15, s13
	s_waitcnt lgkmcnt(0)
	s_waitcnt_vscnt null, 0x0
	s_barrier
	buffer_gl0_inv
	ds_load_b64 v[2:3], v2
	ds_load_b32 v15, v15 offset:2048
	s_waitcnt lgkmcnt(1)
	v_readfirstlane_b32 s28, v2
	v_readfirstlane_b32 s29, v3
	s_waitcnt lgkmcnt(0)
	v_cmp_neq_f32_e32 vcc_lo, 0, v15
	s_delay_alu instid0(VALU_DEP_2) | instskip(SKIP_1) | instid1(SALU_CYCLE_1)
	s_cmp_lg_u64 s[28:29], s[20:21]
	s_cselect_b32 s13, -1, 0
	s_or_b32 s13, s34, s13
	s_delay_alu instid0(SALU_CYCLE_1) | instskip(SKIP_2) | instid1(SALU_CYCLE_1)
	s_or_b32 vcc_lo, vcc_lo, s13
	v_cndmask_b32_e32 v2, 1.0, v15, vcc_lo
	s_or_b32 s13, s0, vcc_lo
	s_xor_b32 s30, s13, -1
	s_delay_alu instid0(SALU_CYCLE_1)
	s_and_saveexec_b32 s13, s30
	s_cbranch_execz .LBB88_18
; %bb.15:                               ;   in Loop: Header=BB88_10 Depth=1
	v_mbcnt_lo_u32_b32 v2, exec_lo, 0
	s_mov_b32 s30, exec_lo
	s_delay_alu instid0(VALU_DEP_1)
	v_cmpx_eq_u32_e32 0, v2
	s_cbranch_execz .LBB88_17
; %bb.16:                               ;   in Loop: Header=BB88_10 Depth=1
	v_dual_mov_b32 v2, s24 :: v_dual_mov_b32 v3, s25
	global_atomic_min_u64 v13, v[2:3], s[22:23]
.LBB88_17:                              ;   in Loop: Header=BB88_10 Depth=1
	s_or_b32 exec_lo, exec_lo, s30
	v_mov_b32_e32 v2, 1.0
.LBB88_18:                              ;   in Loop: Header=BB88_10 Depth=1
	s_or_b32 exec_lo, exec_lo, s13
	s_cmp_lt_i32 s5, 1
	s_mov_b32 s13, 0
	s_cbranch_scc1 .LBB88_23
; %bb.19:                               ;   in Loop: Header=BB88_10 Depth=1
	s_cmp_eq_u32 s5, 1
	s_cbranch_scc0 .LBB88_24
; %bb.20:                               ;   in Loop: Header=BB88_10 Depth=1
	v_cmp_ge_i64_e64 s30, s[28:29], s[20:21]
	v_mov_b32_e32 v3, v14
	s_delay_alu instid0(VALU_DEP_2)
	s_and_b32 vcc_lo, exec_lo, s30
	s_mov_b32 s30, 0
	s_cbranch_vccz .LBB88_26
; %bb.21:                               ;   in Loop: Header=BB88_10 Depth=1
	s_cmp_eq_u64 s[28:29], s[20:21]
	s_cbranch_scc0 .LBB88_25
; %bb.22:                               ;   in Loop: Header=BB88_10 Depth=1
	v_div_scale_f32 v3, null, v2, v2, 1.0
	s_delay_alu instid0(VALU_DEP_1) | instskip(SKIP_2) | instid1(VALU_DEP_1)
	v_rcp_f32_e32 v15, v3
	s_waitcnt_depctr 0xfff
	v_fma_f32 v16, -v3, v15, 1.0
	v_fmac_f32_e32 v15, v16, v15
	v_div_scale_f32 v16, vcc_lo, 1.0, v2, 1.0
	s_delay_alu instid0(VALU_DEP_1) | instskip(NEXT) | instid1(VALU_DEP_1)
	v_mul_f32_e32 v17, v16, v15
	v_fma_f32 v18, -v3, v17, v16
	s_delay_alu instid0(VALU_DEP_1) | instskip(NEXT) | instid1(VALU_DEP_1)
	v_fmac_f32_e32 v17, v18, v15
	v_fma_f32 v3, -v3, v17, v16
	s_delay_alu instid0(VALU_DEP_1) | instskip(NEXT) | instid1(VALU_DEP_1)
	v_div_fmas_f32 v3, v3, v15, v17
	v_div_fixup_f32 v3, v3, v2, 1.0
	s_delay_alu instid0(VALU_DEP_1)
	v_cndmask_b32_e64 v3, v14, v3, s1
	s_branch .LBB88_26
.LBB88_23:                              ;   in Loop: Header=BB88_10 Depth=1
	s_mov_b32 s30, 0
                                        ; implicit-def: $vgpr15
                                        ; implicit-def: $vgpr3
                                        ; implicit-def: $sgpr31
	s_cbranch_execnz .LBB88_27
	s_branch .LBB88_29
.LBB88_24:                              ;   in Loop: Header=BB88_10 Depth=1
	s_mov_b32 s30, -1
                                        ; implicit-def: $vgpr15
                                        ; implicit-def: $vgpr3
                                        ; implicit-def: $sgpr31
	s_branch .LBB88_29
.LBB88_25:                              ;   in Loop: Header=BB88_10 Depth=1
	s_mov_b32 s30, -1
                                        ; implicit-def: $vgpr3
.LBB88_26:                              ;   in Loop: Header=BB88_10 Depth=1
	v_mov_b32_e32 v15, v8
	s_mov_b32 s31, 4
	s_branch .LBB88_29
.LBB88_27:                              ;   in Loop: Header=BB88_10 Depth=1
	s_cmp_eq_u32 s5, 0
	s_cbranch_scc1 .LBB88_33
; %bb.28:                               ;   in Loop: Header=BB88_10 Depth=1
	s_mov_b32 s30, -1
                                        ; implicit-def: $vgpr15
                                        ; implicit-def: $vgpr3
                                        ; implicit-def: $sgpr31
.LBB88_29:                              ;   in Loop: Header=BB88_10 Depth=1
	s_delay_alu instid0(SALU_CYCLE_1)
	s_and_b32 vcc_lo, exec_lo, s30
	s_cbranch_vccnz .LBB88_36
.LBB88_30:                              ;   in Loop: Header=BB88_10 Depth=1
	s_and_b32 vcc_lo, exec_lo, s13
	s_cbranch_vccnz .LBB88_41
.LBB88_31:                              ;   in Loop: Header=BB88_10 Depth=1
	s_cmp_gt_i32 s31, 3
	s_mov_b32 s13, -1
	s_cbranch_scc1 .LBB88_42
.LBB88_32:                              ;   in Loop: Header=BB88_10 Depth=1
	s_cmp_eq_u32 s31, 0
	s_cselect_b32 s28, -1, 0
	s_delay_alu instid0(SALU_CYCLE_1)
	s_and_not1_b32 vcc_lo, exec_lo, s28
	s_cbranch_vccz .LBB88_9
	s_branch .LBB88_43
.LBB88_33:                              ;   in Loop: Header=BB88_10 Depth=1
	v_cmp_le_i64_e64 s30, s[28:29], s[20:21]
	s_delay_alu instid0(VALU_DEP_1)
	s_and_b32 vcc_lo, exec_lo, s30
	s_mov_b32 s30, 0
	s_cbranch_vccz .LBB88_35
; %bb.34:                               ;   in Loop: Header=BB88_10 Depth=1
	s_cmp_lg_u64 s[28:29], s[20:21]
	s_mov_b32 s13, -1
	s_cselect_b32 s30, -1, 0
.LBB88_35:                              ;   in Loop: Header=BB88_10 Depth=1
	v_mov_b32_e32 v15, v8
	v_mov_b32_e32 v3, v14
	s_mov_b32 s31, 2
	s_and_b32 vcc_lo, exec_lo, s30
	s_cbranch_vccz .LBB88_30
.LBB88_36:                              ;   in Loop: Header=BB88_10 Depth=1
	s_and_saveexec_b32 s13, s3
	s_cbranch_execz .LBB88_38
; %bb.37:                               ;   in Loop: Header=BB88_10 Depth=1
	s_lshl_b64 s[30:31], s[28:29], 2
	s_delay_alu instid0(SALU_CYCLE_1)
	s_add_u32 s30, s7, s30
	s_addc_u32 s31, s33, s31
	global_load_b32 v3, v13, s[30:31] glc
	s_waitcnt vmcnt(0)
	v_cmp_ne_u32_e32 vcc_lo, 0, v3
	s_cbranch_vccz .LBB88_44
.LBB88_38:                              ;   in Loop: Header=BB88_10 Depth=1
	s_or_b32 exec_lo, exec_lo, s13
	v_mov_b32_e32 v15, 0
	s_waitcnt_vscnt null, 0x0
	s_barrier
	buffer_gl0_inv
	buffer_gl1_inv
	buffer_gl0_inv
	s_and_saveexec_b32 s13, s2
	s_cbranch_execz .LBB88_40
; %bb.39:                               ;   in Loop: Header=BB88_10 Depth=1
	s_mul_i32 s30, s28, s9
	s_mul_hi_u32 s31, s28, s8
	s_mul_i32 s29, s29, s8
	s_add_i32 s30, s31, s30
	s_mul_i32 s28, s28, s8
	s_add_i32 s29, s30, s29
	s_delay_alu instid0(SALU_CYCLE_1) | instskip(NEXT) | instid1(SALU_CYCLE_1)
	s_lshl_b64 s[28:29], s[28:29], 2
	v_add_co_u32 v15, vcc_lo, v4, s28
	v_add_co_ci_u32_e32 v16, vcc_lo, s29, v5, vcc_lo
	global_load_b32 v3, v[15:16], off
	s_waitcnt vmcnt(0)
	v_fma_f32 v15, -v2, v3, v8
.LBB88_40:                              ;   in Loop: Header=BB88_10 Depth=1
	s_or_b32 exec_lo, exec_lo, s13
	v_mov_b32_e32 v3, v14
	s_mov_b32 s31, 0
	s_branch .LBB88_31
.LBB88_41:                              ;   in Loop: Header=BB88_10 Depth=1
	v_div_scale_f32 v3, null, v2, v2, 1.0
	v_div_scale_f32 v17, vcc_lo, 1.0, v2, 1.0
	s_mov_b32 s31, 2
	s_delay_alu instid0(VALU_DEP_2) | instskip(SKIP_2) | instid1(VALU_DEP_1)
	v_rcp_f32_e32 v15, v3
	s_waitcnt_depctr 0xfff
	v_fma_f32 v16, -v3, v15, 1.0
	v_fmac_f32_e32 v15, v16, v15
	s_delay_alu instid0(VALU_DEP_1) | instskip(NEXT) | instid1(VALU_DEP_1)
	v_mul_f32_e32 v16, v17, v15
	v_fma_f32 v18, -v3, v16, v17
	s_delay_alu instid0(VALU_DEP_1) | instskip(NEXT) | instid1(VALU_DEP_1)
	v_fmac_f32_e32 v16, v18, v15
	v_fma_f32 v3, -v3, v16, v17
	s_delay_alu instid0(VALU_DEP_1) | instskip(SKIP_1) | instid1(VALU_DEP_2)
	v_div_fmas_f32 v3, v3, v15, v16
	v_mov_b32_e32 v15, v8
	v_div_fixup_f32 v2, v3, v2, 1.0
	s_delay_alu instid0(VALU_DEP_1)
	v_cndmask_b32_e64 v3, v14, v2, s1
	s_cmp_gt_i32 s31, 3
	s_mov_b32 s13, -1
	s_cbranch_scc0 .LBB88_32
.LBB88_42:                              ;   in Loop: Header=BB88_10 Depth=1
	s_branch .LBB88_9
.LBB88_43:                              ;   in Loop: Header=BB88_10 Depth=1
                                        ; implicit-def: $sgpr26_sgpr27
	v_mov_b32_e32 v8, v15
	v_mov_b32_e32 v14, v3
	s_and_not1_b32 vcc_lo, exec_lo, s13
	s_cbranch_vccnz .LBB88_10
	s_branch .LBB88_49
.LBB88_44:                              ;   in Loop: Header=BB88_10 Depth=1
	s_mov_b32 s35, 0
	s_branch .LBB88_46
	.p2align	6
.LBB88_45:                              ;   in Loop: Header=BB88_46 Depth=2
	global_load_b32 v3, v13, s[30:31] glc
	s_cmpk_lt_u32 s35, 0xf43
	s_cselect_b32 s36, -1, 0
	s_delay_alu instid0(SALU_CYCLE_1)
	s_cmp_lg_u32 s36, 0
	s_addc_u32 s35, s35, 0
	s_waitcnt vmcnt(0)
	v_cmp_ne_u32_e32 vcc_lo, 0, v3
	s_cbranch_vccnz .LBB88_38
.LBB88_46:                              ;   Parent Loop BB88_10 Depth=1
                                        ; =>  This Loop Header: Depth=2
                                        ;       Child Loop BB88_47 Depth 3
	s_cmp_eq_u32 s35, 0
	s_mov_b32 s36, s35
	s_cbranch_scc1 .LBB88_45
.LBB88_47:                              ;   Parent Loop BB88_10 Depth=1
                                        ;     Parent Loop BB88_46 Depth=2
                                        ; =>    This Inner Loop Header: Depth=3
	s_add_i32 s36, s36, -1
	s_sleep 1
	s_cmp_eq_u32 s36, 0
	s_cbranch_scc0 .LBB88_47
	s_branch .LBB88_45
.LBB88_48:
	v_mov_b32_e32 v15, v8
.LBB88_49:
	s_and_saveexec_b32 s0, s2
	s_cbranch_execz .LBB88_51
; %bb.50:
	s_delay_alu instid0(VALU_DEP_1) | instskip(SKIP_3) | instid1(VALU_DEP_1)
	v_mul_f32_e32 v1, v3, v15
	s_cmp_eq_u32 s6, 0
	s_cselect_b32 vcc_lo, -1, 0
	s_lshl_b64 s[2:3], s[18:19], 2
	v_cndmask_b32_e32 v3, v15, v1, vcc_lo
	v_add_co_u32 v1, vcc_lo, v4, s2
	v_add_co_ci_u32_e32 v2, vcc_lo, s3, v5, vcc_lo
	global_store_b32 v[1:2], v3, off
.LBB88_51:
	s_or_b32 exec_lo, exec_lo, s0
	s_waitcnt_vscnt null, 0x0
	buffer_gl1_inv
	buffer_gl0_inv
	s_barrier
	buffer_gl0_inv
	s_mov_b32 s0, exec_lo
	v_cmpx_eq_u32_e32 0, v0
	s_cbranch_execz .LBB88_53
; %bb.52:
	s_lshl_b64 s[0:1], s[20:21], 2
	v_dual_mov_b32 v0, 0 :: v_dual_mov_b32 v1, 1
	s_add_u32 s2, s10, s0
	s_addc_u32 s3, s11, s1
	s_lshl_b64 s[0:1], s[16:17], 2
	s_delay_alu instid0(SALU_CYCLE_1)
	s_add_u32 s0, s2, s0
	s_addc_u32 s1, s3, s1
	global_store_b32 v0, v1, s[0:1]
.LBB88_53:
	s_nop 0
	s_sendmsg sendmsg(MSG_DEALLOC_VGPRS)
	s_endpgm
.LBB88_54:
                                        ; implicit-def: $sgpr26_sgpr27
	s_load_b64 s[24:25], s[0:1], 0x38
	s_branch .LBB88_4
	.section	.rodata,"a",@progbits
	.p2align	6, 0x0
	.amdhsa_kernel _ZN9rocsparseL5csrsmILj256ELj64ELb1EllfEEv20rocsparse_operation_T3_S2_NS_24const_host_device_scalarIT4_EEPKT2_PKS2_PKS4_PS4_lPiSA_PS2_21rocsparse_index_base_20rocsparse_fill_mode_20rocsparse_diag_type_b
		.amdhsa_group_segment_fixed_size 3072
		.amdhsa_private_segment_fixed_size 0
		.amdhsa_kernarg_size 112
		.amdhsa_user_sgpr_count 15
		.amdhsa_user_sgpr_dispatch_ptr 0
		.amdhsa_user_sgpr_queue_ptr 0
		.amdhsa_user_sgpr_kernarg_segment_ptr 1
		.amdhsa_user_sgpr_dispatch_id 0
		.amdhsa_user_sgpr_private_segment_size 0
		.amdhsa_wavefront_size32 1
		.amdhsa_uses_dynamic_stack 0
		.amdhsa_enable_private_segment 0
		.amdhsa_system_sgpr_workgroup_id_x 1
		.amdhsa_system_sgpr_workgroup_id_y 0
		.amdhsa_system_sgpr_workgroup_id_z 0
		.amdhsa_system_sgpr_workgroup_info 0
		.amdhsa_system_vgpr_workitem_id 0
		.amdhsa_next_free_vgpr 19
		.amdhsa_next_free_sgpr 37
		.amdhsa_reserve_vcc 1
		.amdhsa_float_round_mode_32 0
		.amdhsa_float_round_mode_16_64 0
		.amdhsa_float_denorm_mode_32 3
		.amdhsa_float_denorm_mode_16_64 3
		.amdhsa_dx10_clamp 1
		.amdhsa_ieee_mode 1
		.amdhsa_fp16_overflow 0
		.amdhsa_workgroup_processor_mode 1
		.amdhsa_memory_ordered 1
		.amdhsa_forward_progress 0
		.amdhsa_shared_vgpr_count 0
		.amdhsa_exception_fp_ieee_invalid_op 0
		.amdhsa_exception_fp_denorm_src 0
		.amdhsa_exception_fp_ieee_div_zero 0
		.amdhsa_exception_fp_ieee_overflow 0
		.amdhsa_exception_fp_ieee_underflow 0
		.amdhsa_exception_fp_ieee_inexact 0
		.amdhsa_exception_int_div_zero 0
	.end_amdhsa_kernel
	.section	.text._ZN9rocsparseL5csrsmILj256ELj64ELb1EllfEEv20rocsparse_operation_T3_S2_NS_24const_host_device_scalarIT4_EEPKT2_PKS2_PKS4_PS4_lPiSA_PS2_21rocsparse_index_base_20rocsparse_fill_mode_20rocsparse_diag_type_b,"axG",@progbits,_ZN9rocsparseL5csrsmILj256ELj64ELb1EllfEEv20rocsparse_operation_T3_S2_NS_24const_host_device_scalarIT4_EEPKT2_PKS2_PKS4_PS4_lPiSA_PS2_21rocsparse_index_base_20rocsparse_fill_mode_20rocsparse_diag_type_b,comdat
.Lfunc_end88:
	.size	_ZN9rocsparseL5csrsmILj256ELj64ELb1EllfEEv20rocsparse_operation_T3_S2_NS_24const_host_device_scalarIT4_EEPKT2_PKS2_PKS4_PS4_lPiSA_PS2_21rocsparse_index_base_20rocsparse_fill_mode_20rocsparse_diag_type_b, .Lfunc_end88-_ZN9rocsparseL5csrsmILj256ELj64ELb1EllfEEv20rocsparse_operation_T3_S2_NS_24const_host_device_scalarIT4_EEPKT2_PKS2_PKS4_PS4_lPiSA_PS2_21rocsparse_index_base_20rocsparse_fill_mode_20rocsparse_diag_type_b
                                        ; -- End function
	.section	.AMDGPU.csdata,"",@progbits
; Kernel info:
; codeLenInByte = 2492
; NumSgprs: 39
; NumVgprs: 19
; ScratchSize: 0
; MemoryBound: 0
; FloatMode: 240
; IeeeMode: 1
; LDSByteSize: 3072 bytes/workgroup (compile time only)
; SGPRBlocks: 4
; VGPRBlocks: 2
; NumSGPRsForWavesPerEU: 39
; NumVGPRsForWavesPerEU: 19
; Occupancy: 16
; WaveLimiterHint : 1
; COMPUTE_PGM_RSRC2:SCRATCH_EN: 0
; COMPUTE_PGM_RSRC2:USER_SGPR: 15
; COMPUTE_PGM_RSRC2:TRAP_HANDLER: 0
; COMPUTE_PGM_RSRC2:TGID_X_EN: 1
; COMPUTE_PGM_RSRC2:TGID_Y_EN: 0
; COMPUTE_PGM_RSRC2:TGID_Z_EN: 0
; COMPUTE_PGM_RSRC2:TIDIG_COMP_CNT: 0
	.section	.text._ZN9rocsparseL5csrsmILj256ELj64ELb0EllfEEv20rocsparse_operation_T3_S2_NS_24const_host_device_scalarIT4_EEPKT2_PKS2_PKS4_PS4_lPiSA_PS2_21rocsparse_index_base_20rocsparse_fill_mode_20rocsparse_diag_type_b,"axG",@progbits,_ZN9rocsparseL5csrsmILj256ELj64ELb0EllfEEv20rocsparse_operation_T3_S2_NS_24const_host_device_scalarIT4_EEPKT2_PKS2_PKS4_PS4_lPiSA_PS2_21rocsparse_index_base_20rocsparse_fill_mode_20rocsparse_diag_type_b,comdat
	.globl	_ZN9rocsparseL5csrsmILj256ELj64ELb0EllfEEv20rocsparse_operation_T3_S2_NS_24const_host_device_scalarIT4_EEPKT2_PKS2_PKS4_PS4_lPiSA_PS2_21rocsparse_index_base_20rocsparse_fill_mode_20rocsparse_diag_type_b ; -- Begin function _ZN9rocsparseL5csrsmILj256ELj64ELb0EllfEEv20rocsparse_operation_T3_S2_NS_24const_host_device_scalarIT4_EEPKT2_PKS2_PKS4_PS4_lPiSA_PS2_21rocsparse_index_base_20rocsparse_fill_mode_20rocsparse_diag_type_b
	.p2align	8
	.type	_ZN9rocsparseL5csrsmILj256ELj64ELb0EllfEEv20rocsparse_operation_T3_S2_NS_24const_host_device_scalarIT4_EEPKT2_PKS2_PKS4_PS4_lPiSA_PS2_21rocsparse_index_base_20rocsparse_fill_mode_20rocsparse_diag_type_b,@function
_ZN9rocsparseL5csrsmILj256ELj64ELb0EllfEEv20rocsparse_operation_T3_S2_NS_24const_host_device_scalarIT4_EEPKT2_PKS2_PKS4_PS4_lPiSA_PS2_21rocsparse_index_base_20rocsparse_fill_mode_20rocsparse_diag_type_b: ; @_ZN9rocsparseL5csrsmILj256ELj64ELb0EllfEEv20rocsparse_operation_T3_S2_NS_24const_host_device_scalarIT4_EEPKT2_PKS2_PKS4_PS4_lPiSA_PS2_21rocsparse_index_base_20rocsparse_fill_mode_20rocsparse_diag_type_b
; %bb.0:
	s_clause 0x2
	s_load_b128 s[4:7], s[0:1], 0x60
	s_load_b128 s[16:19], s[0:1], 0x8
	s_load_b64 s[22:23], s[0:1], 0x18
	s_waitcnt lgkmcnt(0)
	s_bitcmp1_b32 s7, 0
	s_cselect_b32 s2, -1, 0
	s_delay_alu instid0(SALU_CYCLE_1)
	s_and_b32 vcc_lo, exec_lo, s2
	s_cbranch_vccnz .LBB89_2
; %bb.1:
	s_load_b32 s22, s[22:23], 0x0
.LBB89_2:
	s_clause 0x1
	s_load_b64 s[8:9], s[0:1], 0x50
	s_load_b64 s[2:3], s[0:1], 0x20
	s_mov_b32 s10, 0
	s_mov_b32 s11, s17
	s_delay_alu instid0(SALU_CYCLE_1)
	s_cmp_lg_u64 s[10:11], 0
	s_cbranch_scc0 .LBB89_51
; %bb.3:
	s_ashr_i32 s12, s17, 31
	s_delay_alu instid0(SALU_CYCLE_1) | instskip(SKIP_2) | instid1(SALU_CYCLE_1)
	s_add_u32 s20, s16, s12
	s_mov_b32 s13, s12
	s_addc_u32 s21, s17, s12
	s_xor_b64 s[20:21], s[20:21], s[12:13]
	s_delay_alu instid0(SALU_CYCLE_1) | instskip(SKIP_3) | instid1(VALU_DEP_1)
	v_cvt_f32_u32_e32 v1, s20
	v_cvt_f32_u32_e32 v2, s21
	s_sub_u32 s14, 0, s20
	s_subb_u32 s23, 0, s21
	v_fmamk_f32 v1, v2, 0x4f800000, v1
	s_delay_alu instid0(VALU_DEP_1) | instskip(SKIP_2) | instid1(VALU_DEP_1)
	v_rcp_f32_e32 v1, v1
	s_waitcnt_depctr 0xfff
	v_mul_f32_e32 v1, 0x5f7ffffc, v1
	v_mul_f32_e32 v2, 0x2f800000, v1
	s_delay_alu instid0(VALU_DEP_1) | instskip(NEXT) | instid1(VALU_DEP_1)
	v_trunc_f32_e32 v2, v2
	v_fmamk_f32 v1, v2, 0xcf800000, v1
	v_cvt_u32_f32_e32 v2, v2
	s_delay_alu instid0(VALU_DEP_2) | instskip(NEXT) | instid1(VALU_DEP_2)
	v_cvt_u32_f32_e32 v1, v1
	v_readfirstlane_b32 s7, v2
	s_delay_alu instid0(VALU_DEP_2) | instskip(NEXT) | instid1(VALU_DEP_2)
	v_readfirstlane_b32 s11, v1
	s_mul_i32 s24, s14, s7
	s_delay_alu instid0(VALU_DEP_1)
	s_mul_hi_u32 s26, s14, s11
	s_mul_i32 s25, s23, s11
	s_add_i32 s24, s26, s24
	s_mul_i32 s27, s14, s11
	s_add_i32 s24, s24, s25
	s_mul_hi_u32 s26, s11, s27
	s_mul_hi_u32 s28, s7, s27
	s_mul_i32 s25, s7, s27
	s_mul_hi_u32 s27, s11, s24
	s_mul_i32 s11, s11, s24
	s_mul_hi_u32 s29, s7, s24
	s_add_u32 s11, s26, s11
	s_addc_u32 s26, 0, s27
	s_add_u32 s11, s11, s25
	s_mul_i32 s24, s7, s24
	s_addc_u32 s11, s26, s28
	s_addc_u32 s25, s29, 0
	s_add_u32 s11, s11, s24
	s_addc_u32 s24, 0, s25
	v_add_co_u32 v1, s11, v1, s11
	s_delay_alu instid0(VALU_DEP_1) | instskip(SKIP_1) | instid1(VALU_DEP_1)
	s_cmp_lg_u32 s11, 0
	s_addc_u32 s7, s7, s24
	v_readfirstlane_b32 s11, v1
	s_mul_i32 s24, s14, s7
	s_delay_alu instid0(VALU_DEP_1)
	s_mul_hi_u32 s25, s14, s11
	s_mul_i32 s23, s23, s11
	s_add_i32 s24, s25, s24
	s_mul_i32 s14, s14, s11
	s_add_i32 s24, s24, s23
	s_mul_hi_u32 s25, s7, s14
	s_mul_i32 s26, s7, s14
	s_mul_hi_u32 s14, s11, s14
	s_mul_hi_u32 s27, s11, s24
	s_mul_i32 s11, s11, s24
	s_mul_hi_u32 s23, s7, s24
	s_add_u32 s11, s14, s11
	s_addc_u32 s14, 0, s27
	s_add_u32 s11, s11, s26
	s_mul_i32 s24, s7, s24
	s_addc_u32 s11, s14, s25
	s_addc_u32 s14, s23, 0
	s_add_u32 s11, s11, s24
	s_addc_u32 s14, 0, s14
	v_add_co_u32 v1, s11, v1, s11
	s_delay_alu instid0(VALU_DEP_1) | instskip(SKIP_1) | instid1(VALU_DEP_1)
	s_cmp_lg_u32 s11, 0
	s_addc_u32 s7, s7, s14
	v_readfirstlane_b32 s11, v1
	s_mul_i32 s14, s15, s7
	s_mul_hi_u32 s7, s15, s7
	s_delay_alu instid0(VALU_DEP_1) | instskip(NEXT) | instid1(SALU_CYCLE_1)
	s_mul_hi_u32 s11, s15, s11
	s_add_u32 s11, s11, s14
	s_addc_u32 s7, 0, s7
	s_add_u32 s11, s11, 0
	s_addc_u32 s7, s7, 0
	s_addc_u32 s11, 0, 0
	s_add_u32 s7, s7, 0
	s_addc_u32 s11, 0, s11
	s_mul_hi_u32 s14, s20, s7
	s_mul_i32 s24, s20, s11
	s_mul_i32 s25, s20, s7
	s_add_i32 s14, s14, s24
	v_sub_co_u32 v1, s24, s15, s25
	s_mul_i32 s23, s21, s7
	s_delay_alu instid0(SALU_CYCLE_1) | instskip(NEXT) | instid1(VALU_DEP_1)
	s_add_i32 s14, s14, s23
	v_sub_co_u32 v2, s25, v1, s20
	s_sub_i32 s23, 0, s14
	s_cmp_lg_u32 s24, 0
	s_subb_u32 s23, s23, s21
	s_cmp_lg_u32 s25, 0
	v_readfirstlane_b32 s25, v2
	s_subb_u32 s23, s23, 0
	s_delay_alu instid0(SALU_CYCLE_1) | instskip(SKIP_1) | instid1(VALU_DEP_1)
	s_cmp_ge_u32 s23, s21
	s_cselect_b32 s26, -1, 0
	s_cmp_ge_u32 s25, s20
	s_cselect_b32 s25, -1, 0
	s_cmp_eq_u32 s23, s21
	s_cselect_b32 s23, s25, s26
	s_add_u32 s25, s7, 1
	s_addc_u32 s26, s11, 0
	s_add_u32 s27, s7, 2
	s_addc_u32 s28, s11, 0
	s_cmp_lg_u32 s23, 0
	s_cselect_b32 s23, s27, s25
	s_cselect_b32 s25, s28, s26
	s_cmp_lg_u32 s24, 0
	v_readfirstlane_b32 s24, v1
	s_subb_u32 s14, 0, s14
	s_delay_alu instid0(SALU_CYCLE_1) | instskip(SKIP_1) | instid1(VALU_DEP_1)
	s_cmp_ge_u32 s14, s21
	s_cselect_b32 s26, -1, 0
	s_cmp_ge_u32 s24, s20
	s_cselect_b32 s20, -1, 0
	s_cmp_eq_u32 s14, s21
	s_cselect_b32 s14, s20, s26
	s_delay_alu instid0(SALU_CYCLE_1) | instskip(SKIP_2) | instid1(SALU_CYCLE_1)
	s_cmp_lg_u32 s14, 0
	s_cselect_b32 s21, s25, s11
	s_cselect_b32 s20, s23, s7
	s_xor_b64 s[20:21], s[20:21], s[12:13]
	s_delay_alu instid0(SALU_CYCLE_1)
	s_sub_u32 s26, s20, s12
	s_subb_u32 s27, s21, s12
	s_load_b64 s[24:25], s[0:1], 0x38
	s_and_not1_b32 vcc_lo, exec_lo, s10
	s_cbranch_vccnz .LBB89_5
.LBB89_4:
	v_cvt_f32_u32_e32 v1, s16
	s_sub_i32 s10, 0, s16
	s_mov_b32 s27, 0
	s_delay_alu instid0(VALU_DEP_1) | instskip(SKIP_2) | instid1(VALU_DEP_1)
	v_rcp_iflag_f32_e32 v1, v1
	s_waitcnt_depctr 0xfff
	v_mul_f32_e32 v1, 0x4f7ffffe, v1
	v_cvt_u32_f32_e32 v1, v1
	s_delay_alu instid0(VALU_DEP_1) | instskip(NEXT) | instid1(VALU_DEP_1)
	v_readfirstlane_b32 s7, v1
	s_mul_i32 s10, s10, s7
	s_delay_alu instid0(SALU_CYCLE_1) | instskip(NEXT) | instid1(SALU_CYCLE_1)
	s_mul_hi_u32 s10, s7, s10
	s_add_i32 s7, s7, s10
	s_delay_alu instid0(SALU_CYCLE_1) | instskip(NEXT) | instid1(SALU_CYCLE_1)
	s_mul_hi_u32 s7, s15, s7
	s_mul_i32 s10, s7, s16
	s_add_i32 s11, s7, 1
	s_sub_i32 s10, s15, s10
	s_delay_alu instid0(SALU_CYCLE_1)
	s_sub_i32 s12, s10, s16
	s_cmp_ge_u32 s10, s16
	s_cselect_b32 s7, s11, s7
	s_cselect_b32 s10, s12, s10
	s_add_i32 s11, s7, 1
	s_cmp_ge_u32 s10, s16
	s_cselect_b32 s26, s11, s7
.LBB89_5:
	s_delay_alu instid0(SALU_CYCLE_1)
	s_mul_i32 s7, s26, s17
	s_mul_hi_u32 s10, s26, s16
	v_mov_b32_e32 v1, 0
	s_add_i32 s7, s10, s7
	s_mul_i32 s10, s27, s16
	s_mul_i32 s16, s26, s16
	s_add_i32 s17, s7, s10
	s_sub_u32 s10, s15, s16
	s_subb_u32 s11, 0, s17
	v_mov_b32_e32 v8, v1
	s_lshl_b64 s[10:11], s[10:11], 3
	s_waitcnt lgkmcnt(0)
	s_add_u32 s8, s8, s10
	s_addc_u32 s9, s9, s11
	s_load_b64 s[20:21], s[8:9], 0x0
	s_load_b128 s[8:11], s[0:1], 0x40
	s_waitcnt lgkmcnt(0)
	s_lshl_b64 s[12:13], s[20:21], 3
	s_mul_i32 s7, s21, s8
	s_add_u32 s2, s2, s12
	s_addc_u32 s3, s3, s13
	s_load_b128 s[12:15], s[2:3], 0x0
	s_lshl_b64 s[2:3], s[26:27], 8
	s_delay_alu instid0(SALU_CYCLE_1) | instskip(SKIP_3) | instid1(SALU_CYCLE_1)
	v_or_b32_e32 v2, s2, v0
	v_mov_b32_e32 v3, s3
	s_mul_i32 s2, s20, s9
	s_mul_hi_u32 s3, s20, s8
	s_add_i32 s3, s3, s2
	s_delay_alu instid0(VALU_DEP_1) | instskip(SKIP_2) | instid1(VALU_DEP_1)
	v_cmp_gt_i64_e64 s2, s[18:19], v[2:3]
	s_add_i32 s19, s3, s7
	s_mul_i32 s18, s20, s8
	s_and_saveexec_b32 s3, s2
	s_cbranch_execz .LBB89_7
; %bb.6:
	v_add_co_u32 v4, vcc_lo, v2, s18
	v_add_co_ci_u32_e32 v5, vcc_lo, s19, v3, vcc_lo
	s_delay_alu instid0(VALU_DEP_1) | instskip(NEXT) | instid1(VALU_DEP_1)
	v_lshlrev_b64 v[4:5], 2, v[4:5]
	v_add_co_u32 v4, vcc_lo, s24, v4
	s_delay_alu instid0(VALU_DEP_2)
	v_add_co_ci_u32_e32 v5, vcc_lo, s25, v5, vcc_lo
	global_load_b32 v4, v[4:5], off
	s_waitcnt vmcnt(0)
	v_mul_f32_e32 v8, s22, v4
.LBB89_7:
	s_or_b32 exec_lo, exec_lo, s3
	v_lshlrev_b64 v[2:3], 2, v[2:3]
	s_waitcnt lgkmcnt(0)
	v_cmp_ge_i64_e64 s3, s[12:13], s[14:15]
	s_delay_alu instid0(VALU_DEP_2) | instskip(NEXT) | instid1(VALU_DEP_3)
	v_add_co_u32 v4, vcc_lo, s24, v2
	v_add_co_ci_u32_e32 v5, vcc_lo, s25, v3, vcc_lo
	s_delay_alu instid0(VALU_DEP_3)
	s_and_b32 vcc_lo, exec_lo, s3
	v_mov_b32_e32 v3, 1.0
	v_cmp_eq_u32_e64 s3, 0, v0
	s_cbranch_vccnz .LBB89_45
; %bb.8:
	s_clause 0x1
	s_load_b128 s[24:27], s[0:1], 0x28
	s_load_b64 s[22:23], s[0:1], 0x58
	s_lshl_b64 s[0:1], s[16:17], 2
	v_dual_mov_b32 v13, 0 :: v_dual_lshlrev_b32 v6, 3, v0
	s_add_u32 s7, s10, s0
	s_addc_u32 s33, s11, s1
	v_lshlrev_b32_e32 v2, 2, v0
	s_sub_u32 s12, s12, s4
	s_subb_u32 s13, s13, 0
	s_sub_u32 s14, s14, s4
	s_subb_u32 s15, s15, 0
	s_cmp_lg_u32 s6, 0
	v_or_b32_e32 v7, 0x800, v2
	s_cselect_b32 s34, -1, 0
	v_mov_b32_e32 v14, 1.0
	s_waitcnt lgkmcnt(0)
	v_add_co_u32 v9, s0, s24, v6
	s_delay_alu instid0(VALU_DEP_1)
	v_add_co_ci_u32_e64 v10, null, s25, 0, s0
	v_add_co_u32 v11, s0, s26, v2
	s_add_u32 s24, s20, s4
	v_add_co_ci_u32_e64 v12, null, s27, 0, s0
	v_cmp_ne_u32_e64 s0, 0, v0
	s_addc_u32 s25, s21, 0
	s_cmp_eq_u32 s6, 0
	s_mov_b64 s[26:27], s[12:13]
	s_cselect_b32 s1, -1, 0
	s_branch .LBB89_10
.LBB89_9:                               ;   in Loop: Header=BB89_10 Depth=1
	s_add_u32 s26, s26, 1
	s_addc_u32 s27, s27, 0
	s_delay_alu instid0(SALU_CYCLE_1) | instskip(SKIP_2) | instid1(VALU_DEP_3)
	v_cmp_ge_i64_e64 s13, s[26:27], s[14:15]
	v_mov_b32_e32 v8, v15
	v_mov_b32_e32 v14, v3
	s_and_not1_b32 vcc_lo, exec_lo, s13
	s_cbranch_vccz .LBB89_46
.LBB89_10:                              ; =>This Loop Header: Depth=1
                                        ;     Child Loop BB89_38 Depth 2
	s_sub_i32 s13, s26, s12
	s_delay_alu instid0(SALU_CYCLE_1) | instskip(NEXT) | instid1(SALU_CYCLE_1)
	s_and_b32 s13, s13, 0xff
	s_cmp_lg_u32 s13, 0
	s_cbranch_scc1 .LBB89_14
; %bb.11:                               ;   in Loop: Header=BB89_10 Depth=1
	s_sub_u32 s28, s14, s26
	s_subb_u32 s29, s15, s27
	v_dual_mov_b32 v2, -1 :: v_dual_mov_b32 v15, -1.0
	v_cmp_gt_i64_e32 vcc_lo, s[28:29], v[0:1]
	v_mov_b32_e32 v3, -1
	s_and_saveexec_b32 s28, vcc_lo
	s_cbranch_execz .LBB89_13
; %bb.12:                               ;   in Loop: Header=BB89_10 Depth=1
	s_lshl_b64 s[30:31], s[26:27], 3
	s_delay_alu instid0(SALU_CYCLE_1) | instskip(SKIP_2) | instid1(SALU_CYCLE_1)
	v_add_co_u32 v2, vcc_lo, v9, s30
	v_add_co_ci_u32_e32 v3, vcc_lo, s31, v10, vcc_lo
	s_lshl_b64 s[30:31], s[26:27], 2
	v_add_co_u32 v15, vcc_lo, v11, s30
	global_load_b64 v[2:3], v[2:3], off
	v_add_co_ci_u32_e32 v16, vcc_lo, s31, v12, vcc_lo
	global_load_b32 v15, v[15:16], off
	s_waitcnt vmcnt(1)
	v_sub_co_u32 v2, vcc_lo, v2, s4
	v_subrev_co_ci_u32_e32 v3, vcc_lo, 0, v3, vcc_lo
.LBB89_13:                              ;   in Loop: Header=BB89_10 Depth=1
	s_or_b32 exec_lo, exec_lo, s28
	ds_store_b64 v6, v[2:3]
	s_waitcnt vmcnt(0)
	ds_store_b32 v7, v15
.LBB89_14:                              ;   in Loop: Header=BB89_10 Depth=1
	s_lshl_b32 s28, s13, 3
	s_lshl_b32 s13, s13, 2
	s_delay_alu instid0(SALU_CYCLE_1)
	v_dual_mov_b32 v2, s28 :: v_dual_mov_b32 v15, s13
	s_waitcnt lgkmcnt(0)
	s_waitcnt_vscnt null, 0x0
	s_barrier
	buffer_gl0_inv
	ds_load_b64 v[2:3], v2
	ds_load_b32 v15, v15 offset:2048
	s_waitcnt lgkmcnt(1)
	v_readfirstlane_b32 s28, v2
	v_readfirstlane_b32 s29, v3
	s_waitcnt lgkmcnt(0)
	v_cmp_neq_f32_e32 vcc_lo, 0, v15
	s_delay_alu instid0(VALU_DEP_2) | instskip(SKIP_1) | instid1(SALU_CYCLE_1)
	s_cmp_lg_u64 s[28:29], s[20:21]
	s_cselect_b32 s13, -1, 0
	s_or_b32 s13, s34, s13
	s_delay_alu instid0(SALU_CYCLE_1) | instskip(SKIP_2) | instid1(SALU_CYCLE_1)
	s_or_b32 vcc_lo, vcc_lo, s13
	v_cndmask_b32_e32 v2, 1.0, v15, vcc_lo
	s_or_b32 s13, s0, vcc_lo
	s_xor_b32 s30, s13, -1
	s_delay_alu instid0(SALU_CYCLE_1)
	s_and_saveexec_b32 s13, s30
	s_cbranch_execz .LBB89_18
; %bb.15:                               ;   in Loop: Header=BB89_10 Depth=1
	v_mbcnt_lo_u32_b32 v2, exec_lo, 0
	s_mov_b32 s30, exec_lo
	s_delay_alu instid0(VALU_DEP_1)
	v_cmpx_eq_u32_e32 0, v2
	s_cbranch_execz .LBB89_17
; %bb.16:                               ;   in Loop: Header=BB89_10 Depth=1
	v_dual_mov_b32 v2, s24 :: v_dual_mov_b32 v3, s25
	global_atomic_min_u64 v13, v[2:3], s[22:23]
.LBB89_17:                              ;   in Loop: Header=BB89_10 Depth=1
	s_or_b32 exec_lo, exec_lo, s30
	v_mov_b32_e32 v2, 1.0
.LBB89_18:                              ;   in Loop: Header=BB89_10 Depth=1
	s_or_b32 exec_lo, exec_lo, s13
	s_cmp_lt_i32 s5, 1
	s_mov_b32 s13, 0
	s_cbranch_scc1 .LBB89_23
; %bb.19:                               ;   in Loop: Header=BB89_10 Depth=1
	s_cmp_eq_u32 s5, 1
	s_cbranch_scc0 .LBB89_24
; %bb.20:                               ;   in Loop: Header=BB89_10 Depth=1
	v_cmp_ge_i64_e64 s30, s[28:29], s[20:21]
	v_mov_b32_e32 v3, v14
	s_delay_alu instid0(VALU_DEP_2)
	s_and_b32 vcc_lo, exec_lo, s30
	s_mov_b32 s30, 0
	s_cbranch_vccz .LBB89_26
; %bb.21:                               ;   in Loop: Header=BB89_10 Depth=1
	s_cmp_eq_u64 s[28:29], s[20:21]
	s_cbranch_scc0 .LBB89_25
; %bb.22:                               ;   in Loop: Header=BB89_10 Depth=1
	v_div_scale_f32 v3, null, v2, v2, 1.0
	s_delay_alu instid0(VALU_DEP_1) | instskip(SKIP_2) | instid1(VALU_DEP_1)
	v_rcp_f32_e32 v15, v3
	s_waitcnt_depctr 0xfff
	v_fma_f32 v16, -v3, v15, 1.0
	v_fmac_f32_e32 v15, v16, v15
	v_div_scale_f32 v16, vcc_lo, 1.0, v2, 1.0
	s_delay_alu instid0(VALU_DEP_1) | instskip(NEXT) | instid1(VALU_DEP_1)
	v_mul_f32_e32 v17, v16, v15
	v_fma_f32 v18, -v3, v17, v16
	s_delay_alu instid0(VALU_DEP_1) | instskip(NEXT) | instid1(VALU_DEP_1)
	v_fmac_f32_e32 v17, v18, v15
	v_fma_f32 v3, -v3, v17, v16
	s_delay_alu instid0(VALU_DEP_1) | instskip(NEXT) | instid1(VALU_DEP_1)
	v_div_fmas_f32 v3, v3, v15, v17
	v_div_fixup_f32 v3, v3, v2, 1.0
	s_delay_alu instid0(VALU_DEP_1)
	v_cndmask_b32_e64 v3, v14, v3, s1
	s_branch .LBB89_26
.LBB89_23:                              ;   in Loop: Header=BB89_10 Depth=1
	s_mov_b32 s30, 0
                                        ; implicit-def: $vgpr15
                                        ; implicit-def: $vgpr3
                                        ; implicit-def: $sgpr31
	s_cbranch_execnz .LBB89_27
	s_branch .LBB89_29
.LBB89_24:                              ;   in Loop: Header=BB89_10 Depth=1
	s_mov_b32 s30, -1
                                        ; implicit-def: $vgpr15
                                        ; implicit-def: $vgpr3
                                        ; implicit-def: $sgpr31
	s_branch .LBB89_29
.LBB89_25:                              ;   in Loop: Header=BB89_10 Depth=1
	s_mov_b32 s30, -1
                                        ; implicit-def: $vgpr3
.LBB89_26:                              ;   in Loop: Header=BB89_10 Depth=1
	v_mov_b32_e32 v15, v8
	s_mov_b32 s31, 4
	s_branch .LBB89_29
.LBB89_27:                              ;   in Loop: Header=BB89_10 Depth=1
	s_cmp_eq_u32 s5, 0
	s_cbranch_scc1 .LBB89_33
; %bb.28:                               ;   in Loop: Header=BB89_10 Depth=1
	s_mov_b32 s30, -1
                                        ; implicit-def: $vgpr15
                                        ; implicit-def: $vgpr3
                                        ; implicit-def: $sgpr31
.LBB89_29:                              ;   in Loop: Header=BB89_10 Depth=1
	s_delay_alu instid0(SALU_CYCLE_1)
	s_and_b32 vcc_lo, exec_lo, s30
	s_cbranch_vccnz .LBB89_36
.LBB89_30:                              ;   in Loop: Header=BB89_10 Depth=1
	s_and_b32 vcc_lo, exec_lo, s13
	s_cbranch_vccnz .LBB89_42
.LBB89_31:                              ;   in Loop: Header=BB89_10 Depth=1
	s_cmp_gt_i32 s31, 3
	s_mov_b32 s13, -1
	s_cbranch_scc1 .LBB89_43
.LBB89_32:                              ;   in Loop: Header=BB89_10 Depth=1
	s_cmp_eq_u32 s31, 0
	s_cselect_b32 s28, -1, 0
	s_delay_alu instid0(SALU_CYCLE_1)
	s_and_not1_b32 vcc_lo, exec_lo, s28
	s_cbranch_vccz .LBB89_9
	s_branch .LBB89_44
.LBB89_33:                              ;   in Loop: Header=BB89_10 Depth=1
	v_cmp_le_i64_e64 s30, s[28:29], s[20:21]
	s_delay_alu instid0(VALU_DEP_1)
	s_and_b32 vcc_lo, exec_lo, s30
	s_mov_b32 s30, 0
	s_cbranch_vccz .LBB89_35
; %bb.34:                               ;   in Loop: Header=BB89_10 Depth=1
	s_cmp_lg_u64 s[28:29], s[20:21]
	s_mov_b32 s13, -1
	s_cselect_b32 s30, -1, 0
.LBB89_35:                              ;   in Loop: Header=BB89_10 Depth=1
	v_mov_b32_e32 v15, v8
	v_mov_b32_e32 v3, v14
	s_mov_b32 s31, 2
	s_and_b32 vcc_lo, exec_lo, s30
	s_cbranch_vccz .LBB89_30
.LBB89_36:                              ;   in Loop: Header=BB89_10 Depth=1
	s_and_saveexec_b32 s13, s3
	s_cbranch_execz .LBB89_39
; %bb.37:                               ;   in Loop: Header=BB89_10 Depth=1
	s_lshl_b64 s[30:31], s[28:29], 2
	s_delay_alu instid0(SALU_CYCLE_1)
	s_add_u32 s30, s7, s30
	s_addc_u32 s31, s33, s31
	global_load_b32 v3, v13, s[30:31] glc
	s_waitcnt vmcnt(0)
	v_cmp_ne_u32_e32 vcc_lo, 0, v3
	s_cbranch_vccnz .LBB89_39
.LBB89_38:                              ;   Parent Loop BB89_10 Depth=1
                                        ; =>  This Inner Loop Header: Depth=2
	global_load_b32 v3, v13, s[30:31] glc
	s_waitcnt vmcnt(0)
	v_cmp_eq_u32_e32 vcc_lo, 0, v3
	s_cbranch_vccnz .LBB89_38
.LBB89_39:                              ;   in Loop: Header=BB89_10 Depth=1
	s_or_b32 exec_lo, exec_lo, s13
	v_mov_b32_e32 v15, 0
	s_waitcnt_vscnt null, 0x0
	s_barrier
	buffer_gl0_inv
	buffer_gl1_inv
	buffer_gl0_inv
	s_and_saveexec_b32 s13, s2
	s_cbranch_execz .LBB89_41
; %bb.40:                               ;   in Loop: Header=BB89_10 Depth=1
	s_mul_i32 s30, s28, s9
	s_mul_hi_u32 s31, s28, s8
	s_mul_i32 s29, s29, s8
	s_add_i32 s30, s31, s30
	s_mul_i32 s28, s28, s8
	s_add_i32 s29, s30, s29
	s_delay_alu instid0(SALU_CYCLE_1) | instskip(NEXT) | instid1(SALU_CYCLE_1)
	s_lshl_b64 s[28:29], s[28:29], 2
	v_add_co_u32 v15, vcc_lo, v4, s28
	v_add_co_ci_u32_e32 v16, vcc_lo, s29, v5, vcc_lo
	global_load_b32 v3, v[15:16], off
	s_waitcnt vmcnt(0)
	v_fma_f32 v15, -v2, v3, v8
.LBB89_41:                              ;   in Loop: Header=BB89_10 Depth=1
	s_or_b32 exec_lo, exec_lo, s13
	v_mov_b32_e32 v3, v14
	s_mov_b32 s31, 0
	s_branch .LBB89_31
.LBB89_42:                              ;   in Loop: Header=BB89_10 Depth=1
	v_div_scale_f32 v3, null, v2, v2, 1.0
	v_div_scale_f32 v17, vcc_lo, 1.0, v2, 1.0
	s_mov_b32 s31, 2
	s_delay_alu instid0(VALU_DEP_2) | instskip(SKIP_2) | instid1(VALU_DEP_1)
	v_rcp_f32_e32 v15, v3
	s_waitcnt_depctr 0xfff
	v_fma_f32 v16, -v3, v15, 1.0
	v_fmac_f32_e32 v15, v16, v15
	s_delay_alu instid0(VALU_DEP_1) | instskip(NEXT) | instid1(VALU_DEP_1)
	v_mul_f32_e32 v16, v17, v15
	v_fma_f32 v18, -v3, v16, v17
	s_delay_alu instid0(VALU_DEP_1) | instskip(NEXT) | instid1(VALU_DEP_1)
	v_fmac_f32_e32 v16, v18, v15
	v_fma_f32 v3, -v3, v16, v17
	s_delay_alu instid0(VALU_DEP_1) | instskip(SKIP_1) | instid1(VALU_DEP_2)
	v_div_fmas_f32 v3, v3, v15, v16
	v_mov_b32_e32 v15, v8
	v_div_fixup_f32 v2, v3, v2, 1.0
	s_delay_alu instid0(VALU_DEP_1)
	v_cndmask_b32_e64 v3, v14, v2, s1
	s_cmp_gt_i32 s31, 3
	s_mov_b32 s13, -1
	s_cbranch_scc0 .LBB89_32
.LBB89_43:                              ;   in Loop: Header=BB89_10 Depth=1
	s_branch .LBB89_9
.LBB89_44:                              ;   in Loop: Header=BB89_10 Depth=1
                                        ; implicit-def: $sgpr26_sgpr27
	v_mov_b32_e32 v8, v15
	v_mov_b32_e32 v14, v3
	s_and_not1_b32 vcc_lo, exec_lo, s13
	s_cbranch_vccnz .LBB89_10
	s_branch .LBB89_46
.LBB89_45:
	v_mov_b32_e32 v15, v8
.LBB89_46:
	s_and_saveexec_b32 s0, s2
	s_cbranch_execz .LBB89_48
; %bb.47:
	s_delay_alu instid0(VALU_DEP_1) | instskip(SKIP_3) | instid1(VALU_DEP_1)
	v_mul_f32_e32 v1, v3, v15
	s_cmp_eq_u32 s6, 0
	s_cselect_b32 vcc_lo, -1, 0
	s_lshl_b64 s[2:3], s[18:19], 2
	v_cndmask_b32_e32 v3, v15, v1, vcc_lo
	v_add_co_u32 v1, vcc_lo, v4, s2
	v_add_co_ci_u32_e32 v2, vcc_lo, s3, v5, vcc_lo
	global_store_b32 v[1:2], v3, off
.LBB89_48:
	s_or_b32 exec_lo, exec_lo, s0
	s_waitcnt_vscnt null, 0x0
	buffer_gl1_inv
	buffer_gl0_inv
	s_barrier
	buffer_gl0_inv
	s_mov_b32 s0, exec_lo
	v_cmpx_eq_u32_e32 0, v0
	s_cbranch_execz .LBB89_50
; %bb.49:
	s_lshl_b64 s[0:1], s[20:21], 2
	v_dual_mov_b32 v0, 0 :: v_dual_mov_b32 v1, 1
	s_add_u32 s2, s10, s0
	s_addc_u32 s3, s11, s1
	s_lshl_b64 s[0:1], s[16:17], 2
	s_delay_alu instid0(SALU_CYCLE_1)
	s_add_u32 s0, s2, s0
	s_addc_u32 s1, s3, s1
	global_store_b32 v0, v1, s[0:1]
.LBB89_50:
	s_nop 0
	s_sendmsg sendmsg(MSG_DEALLOC_VGPRS)
	s_endpgm
.LBB89_51:
                                        ; implicit-def: $sgpr26_sgpr27
	s_load_b64 s[24:25], s[0:1], 0x38
	s_branch .LBB89_4
	.section	.rodata,"a",@progbits
	.p2align	6, 0x0
	.amdhsa_kernel _ZN9rocsparseL5csrsmILj256ELj64ELb0EllfEEv20rocsparse_operation_T3_S2_NS_24const_host_device_scalarIT4_EEPKT2_PKS2_PKS4_PS4_lPiSA_PS2_21rocsparse_index_base_20rocsparse_fill_mode_20rocsparse_diag_type_b
		.amdhsa_group_segment_fixed_size 3072
		.amdhsa_private_segment_fixed_size 0
		.amdhsa_kernarg_size 112
		.amdhsa_user_sgpr_count 15
		.amdhsa_user_sgpr_dispatch_ptr 0
		.amdhsa_user_sgpr_queue_ptr 0
		.amdhsa_user_sgpr_kernarg_segment_ptr 1
		.amdhsa_user_sgpr_dispatch_id 0
		.amdhsa_user_sgpr_private_segment_size 0
		.amdhsa_wavefront_size32 1
		.amdhsa_uses_dynamic_stack 0
		.amdhsa_enable_private_segment 0
		.amdhsa_system_sgpr_workgroup_id_x 1
		.amdhsa_system_sgpr_workgroup_id_y 0
		.amdhsa_system_sgpr_workgroup_id_z 0
		.amdhsa_system_sgpr_workgroup_info 0
		.amdhsa_system_vgpr_workitem_id 0
		.amdhsa_next_free_vgpr 19
		.amdhsa_next_free_sgpr 35
		.amdhsa_reserve_vcc 1
		.amdhsa_float_round_mode_32 0
		.amdhsa_float_round_mode_16_64 0
		.amdhsa_float_denorm_mode_32 3
		.amdhsa_float_denorm_mode_16_64 3
		.amdhsa_dx10_clamp 1
		.amdhsa_ieee_mode 1
		.amdhsa_fp16_overflow 0
		.amdhsa_workgroup_processor_mode 1
		.amdhsa_memory_ordered 1
		.amdhsa_forward_progress 0
		.amdhsa_shared_vgpr_count 0
		.amdhsa_exception_fp_ieee_invalid_op 0
		.amdhsa_exception_fp_denorm_src 0
		.amdhsa_exception_fp_ieee_div_zero 0
		.amdhsa_exception_fp_ieee_overflow 0
		.amdhsa_exception_fp_ieee_underflow 0
		.amdhsa_exception_fp_ieee_inexact 0
		.amdhsa_exception_int_div_zero 0
	.end_amdhsa_kernel
	.section	.text._ZN9rocsparseL5csrsmILj256ELj64ELb0EllfEEv20rocsparse_operation_T3_S2_NS_24const_host_device_scalarIT4_EEPKT2_PKS2_PKS4_PS4_lPiSA_PS2_21rocsparse_index_base_20rocsparse_fill_mode_20rocsparse_diag_type_b,"axG",@progbits,_ZN9rocsparseL5csrsmILj256ELj64ELb0EllfEEv20rocsparse_operation_T3_S2_NS_24const_host_device_scalarIT4_EEPKT2_PKS2_PKS4_PS4_lPiSA_PS2_21rocsparse_index_base_20rocsparse_fill_mode_20rocsparse_diag_type_b,comdat
.Lfunc_end89:
	.size	_ZN9rocsparseL5csrsmILj256ELj64ELb0EllfEEv20rocsparse_operation_T3_S2_NS_24const_host_device_scalarIT4_EEPKT2_PKS2_PKS4_PS4_lPiSA_PS2_21rocsparse_index_base_20rocsparse_fill_mode_20rocsparse_diag_type_b, .Lfunc_end89-_ZN9rocsparseL5csrsmILj256ELj64ELb0EllfEEv20rocsparse_operation_T3_S2_NS_24const_host_device_scalarIT4_EEPKT2_PKS2_PKS4_PS4_lPiSA_PS2_21rocsparse_index_base_20rocsparse_fill_mode_20rocsparse_diag_type_b
                                        ; -- End function
	.section	.AMDGPU.csdata,"",@progbits
; Kernel info:
; codeLenInByte = 2432
; NumSgprs: 37
; NumVgprs: 19
; ScratchSize: 0
; MemoryBound: 0
; FloatMode: 240
; IeeeMode: 1
; LDSByteSize: 3072 bytes/workgroup (compile time only)
; SGPRBlocks: 4
; VGPRBlocks: 2
; NumSGPRsForWavesPerEU: 37
; NumVGPRsForWavesPerEU: 19
; Occupancy: 16
; WaveLimiterHint : 1
; COMPUTE_PGM_RSRC2:SCRATCH_EN: 0
; COMPUTE_PGM_RSRC2:USER_SGPR: 15
; COMPUTE_PGM_RSRC2:TRAP_HANDLER: 0
; COMPUTE_PGM_RSRC2:TGID_X_EN: 1
; COMPUTE_PGM_RSRC2:TGID_Y_EN: 0
; COMPUTE_PGM_RSRC2:TGID_Z_EN: 0
; COMPUTE_PGM_RSRC2:TIDIG_COMP_CNT: 0
	.section	.text._ZN9rocsparseL5csrsmILj512ELj64ELb1EllfEEv20rocsparse_operation_T3_S2_NS_24const_host_device_scalarIT4_EEPKT2_PKS2_PKS4_PS4_lPiSA_PS2_21rocsparse_index_base_20rocsparse_fill_mode_20rocsparse_diag_type_b,"axG",@progbits,_ZN9rocsparseL5csrsmILj512ELj64ELb1EllfEEv20rocsparse_operation_T3_S2_NS_24const_host_device_scalarIT4_EEPKT2_PKS2_PKS4_PS4_lPiSA_PS2_21rocsparse_index_base_20rocsparse_fill_mode_20rocsparse_diag_type_b,comdat
	.globl	_ZN9rocsparseL5csrsmILj512ELj64ELb1EllfEEv20rocsparse_operation_T3_S2_NS_24const_host_device_scalarIT4_EEPKT2_PKS2_PKS4_PS4_lPiSA_PS2_21rocsparse_index_base_20rocsparse_fill_mode_20rocsparse_diag_type_b ; -- Begin function _ZN9rocsparseL5csrsmILj512ELj64ELb1EllfEEv20rocsparse_operation_T3_S2_NS_24const_host_device_scalarIT4_EEPKT2_PKS2_PKS4_PS4_lPiSA_PS2_21rocsparse_index_base_20rocsparse_fill_mode_20rocsparse_diag_type_b
	.p2align	8
	.type	_ZN9rocsparseL5csrsmILj512ELj64ELb1EllfEEv20rocsparse_operation_T3_S2_NS_24const_host_device_scalarIT4_EEPKT2_PKS2_PKS4_PS4_lPiSA_PS2_21rocsparse_index_base_20rocsparse_fill_mode_20rocsparse_diag_type_b,@function
_ZN9rocsparseL5csrsmILj512ELj64ELb1EllfEEv20rocsparse_operation_T3_S2_NS_24const_host_device_scalarIT4_EEPKT2_PKS2_PKS4_PS4_lPiSA_PS2_21rocsparse_index_base_20rocsparse_fill_mode_20rocsparse_diag_type_b: ; @_ZN9rocsparseL5csrsmILj512ELj64ELb1EllfEEv20rocsparse_operation_T3_S2_NS_24const_host_device_scalarIT4_EEPKT2_PKS2_PKS4_PS4_lPiSA_PS2_21rocsparse_index_base_20rocsparse_fill_mode_20rocsparse_diag_type_b
; %bb.0:
	s_clause 0x2
	s_load_b128 s[4:7], s[0:1], 0x60
	s_load_b128 s[16:19], s[0:1], 0x8
	s_load_b64 s[22:23], s[0:1], 0x18
	s_waitcnt lgkmcnt(0)
	s_bitcmp1_b32 s7, 0
	s_cselect_b32 s2, -1, 0
	s_delay_alu instid0(SALU_CYCLE_1)
	s_and_b32 vcc_lo, exec_lo, s2
	s_cbranch_vccnz .LBB90_2
; %bb.1:
	s_load_b32 s22, s[22:23], 0x0
.LBB90_2:
	s_clause 0x1
	s_load_b64 s[8:9], s[0:1], 0x50
	s_load_b64 s[2:3], s[0:1], 0x20
	s_mov_b32 s10, 0
	s_mov_b32 s11, s17
	s_delay_alu instid0(SALU_CYCLE_1)
	s_cmp_lg_u64 s[10:11], 0
	s_cbranch_scc0 .LBB90_54
; %bb.3:
	s_ashr_i32 s12, s17, 31
	s_delay_alu instid0(SALU_CYCLE_1) | instskip(SKIP_2) | instid1(SALU_CYCLE_1)
	s_add_u32 s20, s16, s12
	s_mov_b32 s13, s12
	s_addc_u32 s21, s17, s12
	s_xor_b64 s[20:21], s[20:21], s[12:13]
	s_delay_alu instid0(SALU_CYCLE_1) | instskip(SKIP_3) | instid1(VALU_DEP_1)
	v_cvt_f32_u32_e32 v1, s20
	v_cvt_f32_u32_e32 v2, s21
	s_sub_u32 s14, 0, s20
	s_subb_u32 s23, 0, s21
	v_fmamk_f32 v1, v2, 0x4f800000, v1
	s_delay_alu instid0(VALU_DEP_1) | instskip(SKIP_2) | instid1(VALU_DEP_1)
	v_rcp_f32_e32 v1, v1
	s_waitcnt_depctr 0xfff
	v_mul_f32_e32 v1, 0x5f7ffffc, v1
	v_mul_f32_e32 v2, 0x2f800000, v1
	s_delay_alu instid0(VALU_DEP_1) | instskip(NEXT) | instid1(VALU_DEP_1)
	v_trunc_f32_e32 v2, v2
	v_fmamk_f32 v1, v2, 0xcf800000, v1
	v_cvt_u32_f32_e32 v2, v2
	s_delay_alu instid0(VALU_DEP_2) | instskip(NEXT) | instid1(VALU_DEP_2)
	v_cvt_u32_f32_e32 v1, v1
	v_readfirstlane_b32 s7, v2
	s_delay_alu instid0(VALU_DEP_2) | instskip(NEXT) | instid1(VALU_DEP_2)
	v_readfirstlane_b32 s11, v1
	s_mul_i32 s24, s14, s7
	s_delay_alu instid0(VALU_DEP_1)
	s_mul_hi_u32 s26, s14, s11
	s_mul_i32 s25, s23, s11
	s_add_i32 s24, s26, s24
	s_mul_i32 s27, s14, s11
	s_add_i32 s24, s24, s25
	s_mul_hi_u32 s26, s11, s27
	s_mul_hi_u32 s28, s7, s27
	s_mul_i32 s25, s7, s27
	s_mul_hi_u32 s27, s11, s24
	s_mul_i32 s11, s11, s24
	s_mul_hi_u32 s29, s7, s24
	s_add_u32 s11, s26, s11
	s_addc_u32 s26, 0, s27
	s_add_u32 s11, s11, s25
	s_mul_i32 s24, s7, s24
	s_addc_u32 s11, s26, s28
	s_addc_u32 s25, s29, 0
	s_add_u32 s11, s11, s24
	s_addc_u32 s24, 0, s25
	v_add_co_u32 v1, s11, v1, s11
	s_delay_alu instid0(VALU_DEP_1) | instskip(SKIP_1) | instid1(VALU_DEP_1)
	s_cmp_lg_u32 s11, 0
	s_addc_u32 s7, s7, s24
	v_readfirstlane_b32 s11, v1
	s_mul_i32 s24, s14, s7
	s_delay_alu instid0(VALU_DEP_1)
	s_mul_hi_u32 s25, s14, s11
	s_mul_i32 s23, s23, s11
	s_add_i32 s24, s25, s24
	s_mul_i32 s14, s14, s11
	s_add_i32 s24, s24, s23
	s_mul_hi_u32 s25, s7, s14
	s_mul_i32 s26, s7, s14
	s_mul_hi_u32 s14, s11, s14
	s_mul_hi_u32 s27, s11, s24
	s_mul_i32 s11, s11, s24
	s_mul_hi_u32 s23, s7, s24
	s_add_u32 s11, s14, s11
	s_addc_u32 s14, 0, s27
	s_add_u32 s11, s11, s26
	s_mul_i32 s24, s7, s24
	s_addc_u32 s11, s14, s25
	s_addc_u32 s14, s23, 0
	s_add_u32 s11, s11, s24
	s_addc_u32 s14, 0, s14
	v_add_co_u32 v1, s11, v1, s11
	s_delay_alu instid0(VALU_DEP_1) | instskip(SKIP_1) | instid1(VALU_DEP_1)
	s_cmp_lg_u32 s11, 0
	s_addc_u32 s7, s7, s14
	v_readfirstlane_b32 s11, v1
	s_mul_i32 s14, s15, s7
	s_mul_hi_u32 s7, s15, s7
	s_delay_alu instid0(VALU_DEP_1) | instskip(NEXT) | instid1(SALU_CYCLE_1)
	s_mul_hi_u32 s11, s15, s11
	s_add_u32 s11, s11, s14
	s_addc_u32 s7, 0, s7
	s_add_u32 s11, s11, 0
	s_addc_u32 s7, s7, 0
	s_addc_u32 s11, 0, 0
	s_add_u32 s7, s7, 0
	s_addc_u32 s11, 0, s11
	s_mul_hi_u32 s14, s20, s7
	s_mul_i32 s24, s20, s11
	s_mul_i32 s25, s20, s7
	s_add_i32 s14, s14, s24
	v_sub_co_u32 v1, s24, s15, s25
	s_mul_i32 s23, s21, s7
	s_delay_alu instid0(SALU_CYCLE_1) | instskip(NEXT) | instid1(VALU_DEP_1)
	s_add_i32 s14, s14, s23
	v_sub_co_u32 v2, s25, v1, s20
	s_sub_i32 s23, 0, s14
	s_cmp_lg_u32 s24, 0
	s_subb_u32 s23, s23, s21
	s_cmp_lg_u32 s25, 0
	v_readfirstlane_b32 s25, v2
	s_subb_u32 s23, s23, 0
	s_delay_alu instid0(SALU_CYCLE_1) | instskip(SKIP_1) | instid1(VALU_DEP_1)
	s_cmp_ge_u32 s23, s21
	s_cselect_b32 s26, -1, 0
	s_cmp_ge_u32 s25, s20
	s_cselect_b32 s25, -1, 0
	s_cmp_eq_u32 s23, s21
	s_cselect_b32 s23, s25, s26
	s_add_u32 s25, s7, 1
	s_addc_u32 s26, s11, 0
	s_add_u32 s27, s7, 2
	s_addc_u32 s28, s11, 0
	s_cmp_lg_u32 s23, 0
	s_cselect_b32 s23, s27, s25
	s_cselect_b32 s25, s28, s26
	s_cmp_lg_u32 s24, 0
	v_readfirstlane_b32 s24, v1
	s_subb_u32 s14, 0, s14
	s_delay_alu instid0(SALU_CYCLE_1) | instskip(SKIP_1) | instid1(VALU_DEP_1)
	s_cmp_ge_u32 s14, s21
	s_cselect_b32 s26, -1, 0
	s_cmp_ge_u32 s24, s20
	s_cselect_b32 s20, -1, 0
	s_cmp_eq_u32 s14, s21
	s_cselect_b32 s14, s20, s26
	s_delay_alu instid0(SALU_CYCLE_1) | instskip(SKIP_2) | instid1(SALU_CYCLE_1)
	s_cmp_lg_u32 s14, 0
	s_cselect_b32 s21, s25, s11
	s_cselect_b32 s20, s23, s7
	s_xor_b64 s[20:21], s[20:21], s[12:13]
	s_delay_alu instid0(SALU_CYCLE_1)
	s_sub_u32 s26, s20, s12
	s_subb_u32 s27, s21, s12
	s_load_b64 s[24:25], s[0:1], 0x38
	s_and_not1_b32 vcc_lo, exec_lo, s10
	s_cbranch_vccnz .LBB90_5
.LBB90_4:
	v_cvt_f32_u32_e32 v1, s16
	s_sub_i32 s10, 0, s16
	s_mov_b32 s27, 0
	s_delay_alu instid0(VALU_DEP_1) | instskip(SKIP_2) | instid1(VALU_DEP_1)
	v_rcp_iflag_f32_e32 v1, v1
	s_waitcnt_depctr 0xfff
	v_mul_f32_e32 v1, 0x4f7ffffe, v1
	v_cvt_u32_f32_e32 v1, v1
	s_delay_alu instid0(VALU_DEP_1) | instskip(NEXT) | instid1(VALU_DEP_1)
	v_readfirstlane_b32 s7, v1
	s_mul_i32 s10, s10, s7
	s_delay_alu instid0(SALU_CYCLE_1) | instskip(NEXT) | instid1(SALU_CYCLE_1)
	s_mul_hi_u32 s10, s7, s10
	s_add_i32 s7, s7, s10
	s_delay_alu instid0(SALU_CYCLE_1) | instskip(NEXT) | instid1(SALU_CYCLE_1)
	s_mul_hi_u32 s7, s15, s7
	s_mul_i32 s10, s7, s16
	s_add_i32 s11, s7, 1
	s_sub_i32 s10, s15, s10
	s_delay_alu instid0(SALU_CYCLE_1)
	s_sub_i32 s12, s10, s16
	s_cmp_ge_u32 s10, s16
	s_cselect_b32 s7, s11, s7
	s_cselect_b32 s10, s12, s10
	s_add_i32 s11, s7, 1
	s_cmp_ge_u32 s10, s16
	s_cselect_b32 s26, s11, s7
.LBB90_5:
	s_delay_alu instid0(SALU_CYCLE_1)
	s_mul_i32 s7, s26, s17
	s_mul_hi_u32 s10, s26, s16
	v_mov_b32_e32 v1, 0
	s_add_i32 s7, s10, s7
	s_mul_i32 s10, s27, s16
	s_mul_i32 s16, s26, s16
	s_add_i32 s17, s7, s10
	s_sub_u32 s10, s15, s16
	s_subb_u32 s11, 0, s17
	v_mov_b32_e32 v8, v1
	s_lshl_b64 s[10:11], s[10:11], 3
	s_waitcnt lgkmcnt(0)
	s_add_u32 s8, s8, s10
	s_addc_u32 s9, s9, s11
	s_load_b64 s[20:21], s[8:9], 0x0
	s_load_b128 s[8:11], s[0:1], 0x40
	s_waitcnt lgkmcnt(0)
	s_lshl_b64 s[12:13], s[20:21], 3
	s_mul_i32 s7, s21, s8
	s_add_u32 s2, s2, s12
	s_addc_u32 s3, s3, s13
	s_load_b128 s[12:15], s[2:3], 0x0
	s_lshl_b64 s[2:3], s[26:27], 9
	s_delay_alu instid0(SALU_CYCLE_1) | instskip(SKIP_3) | instid1(SALU_CYCLE_1)
	v_or_b32_e32 v2, s2, v0
	v_mov_b32_e32 v3, s3
	s_mul_i32 s2, s20, s9
	s_mul_hi_u32 s3, s20, s8
	s_add_i32 s3, s3, s2
	s_delay_alu instid0(VALU_DEP_1) | instskip(SKIP_2) | instid1(VALU_DEP_1)
	v_cmp_gt_i64_e64 s2, s[18:19], v[2:3]
	s_add_i32 s19, s3, s7
	s_mul_i32 s18, s20, s8
	s_and_saveexec_b32 s3, s2
	s_cbranch_execz .LBB90_7
; %bb.6:
	v_add_co_u32 v4, vcc_lo, v2, s18
	v_add_co_ci_u32_e32 v5, vcc_lo, s19, v3, vcc_lo
	s_delay_alu instid0(VALU_DEP_1) | instskip(NEXT) | instid1(VALU_DEP_1)
	v_lshlrev_b64 v[4:5], 2, v[4:5]
	v_add_co_u32 v4, vcc_lo, s24, v4
	s_delay_alu instid0(VALU_DEP_2)
	v_add_co_ci_u32_e32 v5, vcc_lo, s25, v5, vcc_lo
	global_load_b32 v4, v[4:5], off
	s_waitcnt vmcnt(0)
	v_mul_f32_e32 v8, s22, v4
.LBB90_7:
	s_or_b32 exec_lo, exec_lo, s3
	v_lshlrev_b64 v[2:3], 2, v[2:3]
	s_waitcnt lgkmcnt(0)
	v_cmp_ge_i64_e64 s3, s[12:13], s[14:15]
	s_delay_alu instid0(VALU_DEP_2) | instskip(NEXT) | instid1(VALU_DEP_3)
	v_add_co_u32 v4, vcc_lo, s24, v2
	v_add_co_ci_u32_e32 v5, vcc_lo, s25, v3, vcc_lo
	s_delay_alu instid0(VALU_DEP_3)
	s_and_b32 vcc_lo, exec_lo, s3
	v_mov_b32_e32 v3, 1.0
	v_cmp_eq_u32_e64 s3, 0, v0
	s_cbranch_vccnz .LBB90_48
; %bb.8:
	s_clause 0x1
	s_load_b128 s[24:27], s[0:1], 0x28
	s_load_b64 s[22:23], s[0:1], 0x58
	s_lshl_b64 s[0:1], s[16:17], 2
	v_dual_mov_b32 v13, 0 :: v_dual_lshlrev_b32 v6, 3, v0
	s_add_u32 s7, s10, s0
	s_addc_u32 s33, s11, s1
	v_lshlrev_b32_e32 v2, 2, v0
	s_sub_u32 s12, s12, s4
	s_subb_u32 s13, s13, 0
	s_sub_u32 s14, s14, s4
	s_subb_u32 s15, s15, 0
	s_cmp_lg_u32 s6, 0
	v_or_b32_e32 v7, 0x1000, v2
	s_cselect_b32 s34, -1, 0
	v_mov_b32_e32 v14, 1.0
	s_waitcnt lgkmcnt(0)
	v_add_co_u32 v9, s0, s24, v6
	s_delay_alu instid0(VALU_DEP_1)
	v_add_co_ci_u32_e64 v10, null, s25, 0, s0
	v_add_co_u32 v11, s0, s26, v2
	s_add_u32 s24, s20, s4
	v_add_co_ci_u32_e64 v12, null, s27, 0, s0
	v_cmp_ne_u32_e64 s0, 0, v0
	s_addc_u32 s25, s21, 0
	s_cmp_eq_u32 s6, 0
	s_mov_b64 s[26:27], s[12:13]
	s_cselect_b32 s1, -1, 0
	s_branch .LBB90_10
.LBB90_9:                               ;   in Loop: Header=BB90_10 Depth=1
	s_add_u32 s26, s26, 1
	s_addc_u32 s27, s27, 0
	s_delay_alu instid0(SALU_CYCLE_1) | instskip(SKIP_2) | instid1(VALU_DEP_3)
	v_cmp_ge_i64_e64 s13, s[26:27], s[14:15]
	v_mov_b32_e32 v8, v15
	v_mov_b32_e32 v14, v3
	s_and_not1_b32 vcc_lo, exec_lo, s13
	s_cbranch_vccz .LBB90_49
.LBB90_10:                              ; =>This Loop Header: Depth=1
                                        ;     Child Loop BB90_46 Depth 2
                                        ;       Child Loop BB90_47 Depth 3
	s_sub_i32 s13, s26, s12
	s_delay_alu instid0(SALU_CYCLE_1) | instskip(NEXT) | instid1(SALU_CYCLE_1)
	s_and_b32 s13, s13, 0x1ff
	s_cmp_lg_u32 s13, 0
	s_cbranch_scc1 .LBB90_14
; %bb.11:                               ;   in Loop: Header=BB90_10 Depth=1
	s_sub_u32 s28, s14, s26
	s_subb_u32 s29, s15, s27
	v_dual_mov_b32 v2, -1 :: v_dual_mov_b32 v15, -1.0
	v_cmp_gt_i64_e32 vcc_lo, s[28:29], v[0:1]
	v_mov_b32_e32 v3, -1
	s_and_saveexec_b32 s28, vcc_lo
	s_cbranch_execz .LBB90_13
; %bb.12:                               ;   in Loop: Header=BB90_10 Depth=1
	s_lshl_b64 s[30:31], s[26:27], 3
	s_delay_alu instid0(SALU_CYCLE_1) | instskip(SKIP_2) | instid1(SALU_CYCLE_1)
	v_add_co_u32 v2, vcc_lo, v9, s30
	v_add_co_ci_u32_e32 v3, vcc_lo, s31, v10, vcc_lo
	s_lshl_b64 s[30:31], s[26:27], 2
	v_add_co_u32 v15, vcc_lo, v11, s30
	global_load_b64 v[2:3], v[2:3], off
	v_add_co_ci_u32_e32 v16, vcc_lo, s31, v12, vcc_lo
	global_load_b32 v15, v[15:16], off
	s_waitcnt vmcnt(1)
	v_sub_co_u32 v2, vcc_lo, v2, s4
	v_subrev_co_ci_u32_e32 v3, vcc_lo, 0, v3, vcc_lo
.LBB90_13:                              ;   in Loop: Header=BB90_10 Depth=1
	s_or_b32 exec_lo, exec_lo, s28
	ds_store_b64 v6, v[2:3]
	s_waitcnt vmcnt(0)
	ds_store_b32 v7, v15
.LBB90_14:                              ;   in Loop: Header=BB90_10 Depth=1
	s_lshl_b32 s28, s13, 3
	s_lshl_b32 s13, s13, 2
	s_delay_alu instid0(SALU_CYCLE_1)
	v_dual_mov_b32 v2, s28 :: v_dual_mov_b32 v15, s13
	s_waitcnt lgkmcnt(0)
	s_waitcnt_vscnt null, 0x0
	s_barrier
	buffer_gl0_inv
	ds_load_b64 v[2:3], v2
	ds_load_b32 v15, v15 offset:4096
	s_waitcnt lgkmcnt(1)
	v_readfirstlane_b32 s28, v2
	v_readfirstlane_b32 s29, v3
	s_waitcnt lgkmcnt(0)
	v_cmp_neq_f32_e32 vcc_lo, 0, v15
	s_delay_alu instid0(VALU_DEP_2) | instskip(SKIP_1) | instid1(SALU_CYCLE_1)
	s_cmp_lg_u64 s[28:29], s[20:21]
	s_cselect_b32 s13, -1, 0
	s_or_b32 s13, s34, s13
	s_delay_alu instid0(SALU_CYCLE_1) | instskip(SKIP_2) | instid1(SALU_CYCLE_1)
	s_or_b32 vcc_lo, vcc_lo, s13
	v_cndmask_b32_e32 v2, 1.0, v15, vcc_lo
	s_or_b32 s13, s0, vcc_lo
	s_xor_b32 s30, s13, -1
	s_delay_alu instid0(SALU_CYCLE_1)
	s_and_saveexec_b32 s13, s30
	s_cbranch_execz .LBB90_18
; %bb.15:                               ;   in Loop: Header=BB90_10 Depth=1
	v_mbcnt_lo_u32_b32 v2, exec_lo, 0
	s_mov_b32 s30, exec_lo
	s_delay_alu instid0(VALU_DEP_1)
	v_cmpx_eq_u32_e32 0, v2
	s_cbranch_execz .LBB90_17
; %bb.16:                               ;   in Loop: Header=BB90_10 Depth=1
	v_dual_mov_b32 v2, s24 :: v_dual_mov_b32 v3, s25
	global_atomic_min_u64 v13, v[2:3], s[22:23]
.LBB90_17:                              ;   in Loop: Header=BB90_10 Depth=1
	s_or_b32 exec_lo, exec_lo, s30
	v_mov_b32_e32 v2, 1.0
.LBB90_18:                              ;   in Loop: Header=BB90_10 Depth=1
	s_or_b32 exec_lo, exec_lo, s13
	s_cmp_lt_i32 s5, 1
	s_mov_b32 s13, 0
	s_cbranch_scc1 .LBB90_23
; %bb.19:                               ;   in Loop: Header=BB90_10 Depth=1
	s_cmp_eq_u32 s5, 1
	s_cbranch_scc0 .LBB90_24
; %bb.20:                               ;   in Loop: Header=BB90_10 Depth=1
	v_cmp_ge_i64_e64 s30, s[28:29], s[20:21]
	v_mov_b32_e32 v3, v14
	s_delay_alu instid0(VALU_DEP_2)
	s_and_b32 vcc_lo, exec_lo, s30
	s_mov_b32 s30, 0
	s_cbranch_vccz .LBB90_26
; %bb.21:                               ;   in Loop: Header=BB90_10 Depth=1
	s_cmp_eq_u64 s[28:29], s[20:21]
	s_cbranch_scc0 .LBB90_25
; %bb.22:                               ;   in Loop: Header=BB90_10 Depth=1
	v_div_scale_f32 v3, null, v2, v2, 1.0
	s_delay_alu instid0(VALU_DEP_1) | instskip(SKIP_2) | instid1(VALU_DEP_1)
	v_rcp_f32_e32 v15, v3
	s_waitcnt_depctr 0xfff
	v_fma_f32 v16, -v3, v15, 1.0
	v_fmac_f32_e32 v15, v16, v15
	v_div_scale_f32 v16, vcc_lo, 1.0, v2, 1.0
	s_delay_alu instid0(VALU_DEP_1) | instskip(NEXT) | instid1(VALU_DEP_1)
	v_mul_f32_e32 v17, v16, v15
	v_fma_f32 v18, -v3, v17, v16
	s_delay_alu instid0(VALU_DEP_1) | instskip(NEXT) | instid1(VALU_DEP_1)
	v_fmac_f32_e32 v17, v18, v15
	v_fma_f32 v3, -v3, v17, v16
	s_delay_alu instid0(VALU_DEP_1) | instskip(NEXT) | instid1(VALU_DEP_1)
	v_div_fmas_f32 v3, v3, v15, v17
	v_div_fixup_f32 v3, v3, v2, 1.0
	s_delay_alu instid0(VALU_DEP_1)
	v_cndmask_b32_e64 v3, v14, v3, s1
	s_branch .LBB90_26
.LBB90_23:                              ;   in Loop: Header=BB90_10 Depth=1
	s_mov_b32 s30, 0
                                        ; implicit-def: $vgpr15
                                        ; implicit-def: $vgpr3
                                        ; implicit-def: $sgpr31
	s_cbranch_execnz .LBB90_27
	s_branch .LBB90_29
.LBB90_24:                              ;   in Loop: Header=BB90_10 Depth=1
	s_mov_b32 s30, -1
                                        ; implicit-def: $vgpr15
                                        ; implicit-def: $vgpr3
                                        ; implicit-def: $sgpr31
	s_branch .LBB90_29
.LBB90_25:                              ;   in Loop: Header=BB90_10 Depth=1
	s_mov_b32 s30, -1
                                        ; implicit-def: $vgpr3
.LBB90_26:                              ;   in Loop: Header=BB90_10 Depth=1
	v_mov_b32_e32 v15, v8
	s_mov_b32 s31, 4
	s_branch .LBB90_29
.LBB90_27:                              ;   in Loop: Header=BB90_10 Depth=1
	s_cmp_eq_u32 s5, 0
	s_cbranch_scc1 .LBB90_33
; %bb.28:                               ;   in Loop: Header=BB90_10 Depth=1
	s_mov_b32 s30, -1
                                        ; implicit-def: $vgpr15
                                        ; implicit-def: $vgpr3
                                        ; implicit-def: $sgpr31
.LBB90_29:                              ;   in Loop: Header=BB90_10 Depth=1
	s_delay_alu instid0(SALU_CYCLE_1)
	s_and_b32 vcc_lo, exec_lo, s30
	s_cbranch_vccnz .LBB90_36
.LBB90_30:                              ;   in Loop: Header=BB90_10 Depth=1
	s_and_b32 vcc_lo, exec_lo, s13
	s_cbranch_vccnz .LBB90_41
.LBB90_31:                              ;   in Loop: Header=BB90_10 Depth=1
	s_cmp_gt_i32 s31, 3
	s_mov_b32 s13, -1
	s_cbranch_scc1 .LBB90_42
.LBB90_32:                              ;   in Loop: Header=BB90_10 Depth=1
	s_cmp_eq_u32 s31, 0
	s_cselect_b32 s28, -1, 0
	s_delay_alu instid0(SALU_CYCLE_1)
	s_and_not1_b32 vcc_lo, exec_lo, s28
	s_cbranch_vccz .LBB90_9
	s_branch .LBB90_43
.LBB90_33:                              ;   in Loop: Header=BB90_10 Depth=1
	v_cmp_le_i64_e64 s30, s[28:29], s[20:21]
	s_delay_alu instid0(VALU_DEP_1)
	s_and_b32 vcc_lo, exec_lo, s30
	s_mov_b32 s30, 0
	s_cbranch_vccz .LBB90_35
; %bb.34:                               ;   in Loop: Header=BB90_10 Depth=1
	s_cmp_lg_u64 s[28:29], s[20:21]
	s_mov_b32 s13, -1
	s_cselect_b32 s30, -1, 0
.LBB90_35:                              ;   in Loop: Header=BB90_10 Depth=1
	v_mov_b32_e32 v15, v8
	v_mov_b32_e32 v3, v14
	s_mov_b32 s31, 2
	s_and_b32 vcc_lo, exec_lo, s30
	s_cbranch_vccz .LBB90_30
.LBB90_36:                              ;   in Loop: Header=BB90_10 Depth=1
	s_and_saveexec_b32 s13, s3
	s_cbranch_execz .LBB90_38
; %bb.37:                               ;   in Loop: Header=BB90_10 Depth=1
	s_lshl_b64 s[30:31], s[28:29], 2
	s_delay_alu instid0(SALU_CYCLE_1)
	s_add_u32 s30, s7, s30
	s_addc_u32 s31, s33, s31
	global_load_b32 v3, v13, s[30:31] glc
	s_waitcnt vmcnt(0)
	v_cmp_ne_u32_e32 vcc_lo, 0, v3
	s_cbranch_vccz .LBB90_44
.LBB90_38:                              ;   in Loop: Header=BB90_10 Depth=1
	s_or_b32 exec_lo, exec_lo, s13
	v_mov_b32_e32 v15, 0
	s_waitcnt_vscnt null, 0x0
	s_barrier
	buffer_gl0_inv
	buffer_gl1_inv
	buffer_gl0_inv
	s_and_saveexec_b32 s13, s2
	s_cbranch_execz .LBB90_40
; %bb.39:                               ;   in Loop: Header=BB90_10 Depth=1
	s_mul_i32 s30, s28, s9
	s_mul_hi_u32 s31, s28, s8
	s_mul_i32 s29, s29, s8
	s_add_i32 s30, s31, s30
	s_mul_i32 s28, s28, s8
	s_add_i32 s29, s30, s29
	s_delay_alu instid0(SALU_CYCLE_1) | instskip(NEXT) | instid1(SALU_CYCLE_1)
	s_lshl_b64 s[28:29], s[28:29], 2
	v_add_co_u32 v15, vcc_lo, v4, s28
	v_add_co_ci_u32_e32 v16, vcc_lo, s29, v5, vcc_lo
	global_load_b32 v3, v[15:16], off
	s_waitcnt vmcnt(0)
	v_fma_f32 v15, -v2, v3, v8
.LBB90_40:                              ;   in Loop: Header=BB90_10 Depth=1
	s_or_b32 exec_lo, exec_lo, s13
	v_mov_b32_e32 v3, v14
	s_mov_b32 s31, 0
	s_branch .LBB90_31
.LBB90_41:                              ;   in Loop: Header=BB90_10 Depth=1
	v_div_scale_f32 v3, null, v2, v2, 1.0
	v_div_scale_f32 v17, vcc_lo, 1.0, v2, 1.0
	s_mov_b32 s31, 2
	s_delay_alu instid0(VALU_DEP_2) | instskip(SKIP_2) | instid1(VALU_DEP_1)
	v_rcp_f32_e32 v15, v3
	s_waitcnt_depctr 0xfff
	v_fma_f32 v16, -v3, v15, 1.0
	v_fmac_f32_e32 v15, v16, v15
	s_delay_alu instid0(VALU_DEP_1) | instskip(NEXT) | instid1(VALU_DEP_1)
	v_mul_f32_e32 v16, v17, v15
	v_fma_f32 v18, -v3, v16, v17
	s_delay_alu instid0(VALU_DEP_1) | instskip(NEXT) | instid1(VALU_DEP_1)
	v_fmac_f32_e32 v16, v18, v15
	v_fma_f32 v3, -v3, v16, v17
	s_delay_alu instid0(VALU_DEP_1) | instskip(SKIP_1) | instid1(VALU_DEP_2)
	v_div_fmas_f32 v3, v3, v15, v16
	v_mov_b32_e32 v15, v8
	v_div_fixup_f32 v2, v3, v2, 1.0
	s_delay_alu instid0(VALU_DEP_1)
	v_cndmask_b32_e64 v3, v14, v2, s1
	s_cmp_gt_i32 s31, 3
	s_mov_b32 s13, -1
	s_cbranch_scc0 .LBB90_32
.LBB90_42:                              ;   in Loop: Header=BB90_10 Depth=1
	s_branch .LBB90_9
.LBB90_43:                              ;   in Loop: Header=BB90_10 Depth=1
                                        ; implicit-def: $sgpr26_sgpr27
	v_mov_b32_e32 v8, v15
	v_mov_b32_e32 v14, v3
	s_and_not1_b32 vcc_lo, exec_lo, s13
	s_cbranch_vccnz .LBB90_10
	s_branch .LBB90_49
.LBB90_44:                              ;   in Loop: Header=BB90_10 Depth=1
	s_mov_b32 s35, 0
	s_branch .LBB90_46
	.p2align	6
.LBB90_45:                              ;   in Loop: Header=BB90_46 Depth=2
	global_load_b32 v3, v13, s[30:31] glc
	s_cmpk_lt_u32 s35, 0xf43
	s_cselect_b32 s36, -1, 0
	s_delay_alu instid0(SALU_CYCLE_1)
	s_cmp_lg_u32 s36, 0
	s_addc_u32 s35, s35, 0
	s_waitcnt vmcnt(0)
	v_cmp_ne_u32_e32 vcc_lo, 0, v3
	s_cbranch_vccnz .LBB90_38
.LBB90_46:                              ;   Parent Loop BB90_10 Depth=1
                                        ; =>  This Loop Header: Depth=2
                                        ;       Child Loop BB90_47 Depth 3
	s_cmp_eq_u32 s35, 0
	s_mov_b32 s36, s35
	s_cbranch_scc1 .LBB90_45
.LBB90_47:                              ;   Parent Loop BB90_10 Depth=1
                                        ;     Parent Loop BB90_46 Depth=2
                                        ; =>    This Inner Loop Header: Depth=3
	s_add_i32 s36, s36, -1
	s_sleep 1
	s_cmp_eq_u32 s36, 0
	s_cbranch_scc0 .LBB90_47
	s_branch .LBB90_45
.LBB90_48:
	v_mov_b32_e32 v15, v8
.LBB90_49:
	s_and_saveexec_b32 s0, s2
	s_cbranch_execz .LBB90_51
; %bb.50:
	s_delay_alu instid0(VALU_DEP_1) | instskip(SKIP_3) | instid1(VALU_DEP_1)
	v_mul_f32_e32 v1, v3, v15
	s_cmp_eq_u32 s6, 0
	s_cselect_b32 vcc_lo, -1, 0
	s_lshl_b64 s[2:3], s[18:19], 2
	v_cndmask_b32_e32 v3, v15, v1, vcc_lo
	v_add_co_u32 v1, vcc_lo, v4, s2
	v_add_co_ci_u32_e32 v2, vcc_lo, s3, v5, vcc_lo
	global_store_b32 v[1:2], v3, off
.LBB90_51:
	s_or_b32 exec_lo, exec_lo, s0
	s_waitcnt_vscnt null, 0x0
	buffer_gl1_inv
	buffer_gl0_inv
	s_barrier
	buffer_gl0_inv
	s_mov_b32 s0, exec_lo
	v_cmpx_eq_u32_e32 0, v0
	s_cbranch_execz .LBB90_53
; %bb.52:
	s_lshl_b64 s[0:1], s[20:21], 2
	v_dual_mov_b32 v0, 0 :: v_dual_mov_b32 v1, 1
	s_add_u32 s2, s10, s0
	s_addc_u32 s3, s11, s1
	s_lshl_b64 s[0:1], s[16:17], 2
	s_delay_alu instid0(SALU_CYCLE_1)
	s_add_u32 s0, s2, s0
	s_addc_u32 s1, s3, s1
	global_store_b32 v0, v1, s[0:1]
.LBB90_53:
	s_nop 0
	s_sendmsg sendmsg(MSG_DEALLOC_VGPRS)
	s_endpgm
.LBB90_54:
                                        ; implicit-def: $sgpr26_sgpr27
	s_load_b64 s[24:25], s[0:1], 0x38
	s_branch .LBB90_4
	.section	.rodata,"a",@progbits
	.p2align	6, 0x0
	.amdhsa_kernel _ZN9rocsparseL5csrsmILj512ELj64ELb1EllfEEv20rocsparse_operation_T3_S2_NS_24const_host_device_scalarIT4_EEPKT2_PKS2_PKS4_PS4_lPiSA_PS2_21rocsparse_index_base_20rocsparse_fill_mode_20rocsparse_diag_type_b
		.amdhsa_group_segment_fixed_size 6144
		.amdhsa_private_segment_fixed_size 0
		.amdhsa_kernarg_size 112
		.amdhsa_user_sgpr_count 15
		.amdhsa_user_sgpr_dispatch_ptr 0
		.amdhsa_user_sgpr_queue_ptr 0
		.amdhsa_user_sgpr_kernarg_segment_ptr 1
		.amdhsa_user_sgpr_dispatch_id 0
		.amdhsa_user_sgpr_private_segment_size 0
		.amdhsa_wavefront_size32 1
		.amdhsa_uses_dynamic_stack 0
		.amdhsa_enable_private_segment 0
		.amdhsa_system_sgpr_workgroup_id_x 1
		.amdhsa_system_sgpr_workgroup_id_y 0
		.amdhsa_system_sgpr_workgroup_id_z 0
		.amdhsa_system_sgpr_workgroup_info 0
		.amdhsa_system_vgpr_workitem_id 0
		.amdhsa_next_free_vgpr 19
		.amdhsa_next_free_sgpr 37
		.amdhsa_reserve_vcc 1
		.amdhsa_float_round_mode_32 0
		.amdhsa_float_round_mode_16_64 0
		.amdhsa_float_denorm_mode_32 3
		.amdhsa_float_denorm_mode_16_64 3
		.amdhsa_dx10_clamp 1
		.amdhsa_ieee_mode 1
		.amdhsa_fp16_overflow 0
		.amdhsa_workgroup_processor_mode 1
		.amdhsa_memory_ordered 1
		.amdhsa_forward_progress 0
		.amdhsa_shared_vgpr_count 0
		.amdhsa_exception_fp_ieee_invalid_op 0
		.amdhsa_exception_fp_denorm_src 0
		.amdhsa_exception_fp_ieee_div_zero 0
		.amdhsa_exception_fp_ieee_overflow 0
		.amdhsa_exception_fp_ieee_underflow 0
		.amdhsa_exception_fp_ieee_inexact 0
		.amdhsa_exception_int_div_zero 0
	.end_amdhsa_kernel
	.section	.text._ZN9rocsparseL5csrsmILj512ELj64ELb1EllfEEv20rocsparse_operation_T3_S2_NS_24const_host_device_scalarIT4_EEPKT2_PKS2_PKS4_PS4_lPiSA_PS2_21rocsparse_index_base_20rocsparse_fill_mode_20rocsparse_diag_type_b,"axG",@progbits,_ZN9rocsparseL5csrsmILj512ELj64ELb1EllfEEv20rocsparse_operation_T3_S2_NS_24const_host_device_scalarIT4_EEPKT2_PKS2_PKS4_PS4_lPiSA_PS2_21rocsparse_index_base_20rocsparse_fill_mode_20rocsparse_diag_type_b,comdat
.Lfunc_end90:
	.size	_ZN9rocsparseL5csrsmILj512ELj64ELb1EllfEEv20rocsparse_operation_T3_S2_NS_24const_host_device_scalarIT4_EEPKT2_PKS2_PKS4_PS4_lPiSA_PS2_21rocsparse_index_base_20rocsparse_fill_mode_20rocsparse_diag_type_b, .Lfunc_end90-_ZN9rocsparseL5csrsmILj512ELj64ELb1EllfEEv20rocsparse_operation_T3_S2_NS_24const_host_device_scalarIT4_EEPKT2_PKS2_PKS4_PS4_lPiSA_PS2_21rocsparse_index_base_20rocsparse_fill_mode_20rocsparse_diag_type_b
                                        ; -- End function
	.section	.AMDGPU.csdata,"",@progbits
; Kernel info:
; codeLenInByte = 2492
; NumSgprs: 39
; NumVgprs: 19
; ScratchSize: 0
; MemoryBound: 0
; FloatMode: 240
; IeeeMode: 1
; LDSByteSize: 6144 bytes/workgroup (compile time only)
; SGPRBlocks: 4
; VGPRBlocks: 2
; NumSGPRsForWavesPerEU: 39
; NumVGPRsForWavesPerEU: 19
; Occupancy: 16
; WaveLimiterHint : 1
; COMPUTE_PGM_RSRC2:SCRATCH_EN: 0
; COMPUTE_PGM_RSRC2:USER_SGPR: 15
; COMPUTE_PGM_RSRC2:TRAP_HANDLER: 0
; COMPUTE_PGM_RSRC2:TGID_X_EN: 1
; COMPUTE_PGM_RSRC2:TGID_Y_EN: 0
; COMPUTE_PGM_RSRC2:TGID_Z_EN: 0
; COMPUTE_PGM_RSRC2:TIDIG_COMP_CNT: 0
	.section	.text._ZN9rocsparseL5csrsmILj512ELj64ELb0EllfEEv20rocsparse_operation_T3_S2_NS_24const_host_device_scalarIT4_EEPKT2_PKS2_PKS4_PS4_lPiSA_PS2_21rocsparse_index_base_20rocsparse_fill_mode_20rocsparse_diag_type_b,"axG",@progbits,_ZN9rocsparseL5csrsmILj512ELj64ELb0EllfEEv20rocsparse_operation_T3_S2_NS_24const_host_device_scalarIT4_EEPKT2_PKS2_PKS4_PS4_lPiSA_PS2_21rocsparse_index_base_20rocsparse_fill_mode_20rocsparse_diag_type_b,comdat
	.globl	_ZN9rocsparseL5csrsmILj512ELj64ELb0EllfEEv20rocsparse_operation_T3_S2_NS_24const_host_device_scalarIT4_EEPKT2_PKS2_PKS4_PS4_lPiSA_PS2_21rocsparse_index_base_20rocsparse_fill_mode_20rocsparse_diag_type_b ; -- Begin function _ZN9rocsparseL5csrsmILj512ELj64ELb0EllfEEv20rocsparse_operation_T3_S2_NS_24const_host_device_scalarIT4_EEPKT2_PKS2_PKS4_PS4_lPiSA_PS2_21rocsparse_index_base_20rocsparse_fill_mode_20rocsparse_diag_type_b
	.p2align	8
	.type	_ZN9rocsparseL5csrsmILj512ELj64ELb0EllfEEv20rocsparse_operation_T3_S2_NS_24const_host_device_scalarIT4_EEPKT2_PKS2_PKS4_PS4_lPiSA_PS2_21rocsparse_index_base_20rocsparse_fill_mode_20rocsparse_diag_type_b,@function
_ZN9rocsparseL5csrsmILj512ELj64ELb0EllfEEv20rocsparse_operation_T3_S2_NS_24const_host_device_scalarIT4_EEPKT2_PKS2_PKS4_PS4_lPiSA_PS2_21rocsparse_index_base_20rocsparse_fill_mode_20rocsparse_diag_type_b: ; @_ZN9rocsparseL5csrsmILj512ELj64ELb0EllfEEv20rocsparse_operation_T3_S2_NS_24const_host_device_scalarIT4_EEPKT2_PKS2_PKS4_PS4_lPiSA_PS2_21rocsparse_index_base_20rocsparse_fill_mode_20rocsparse_diag_type_b
; %bb.0:
	s_clause 0x2
	s_load_b128 s[4:7], s[0:1], 0x60
	s_load_b128 s[16:19], s[0:1], 0x8
	s_load_b64 s[22:23], s[0:1], 0x18
	s_waitcnt lgkmcnt(0)
	s_bitcmp1_b32 s7, 0
	s_cselect_b32 s2, -1, 0
	s_delay_alu instid0(SALU_CYCLE_1)
	s_and_b32 vcc_lo, exec_lo, s2
	s_cbranch_vccnz .LBB91_2
; %bb.1:
	s_load_b32 s22, s[22:23], 0x0
.LBB91_2:
	s_clause 0x1
	s_load_b64 s[8:9], s[0:1], 0x50
	s_load_b64 s[2:3], s[0:1], 0x20
	s_mov_b32 s10, 0
	s_mov_b32 s11, s17
	s_delay_alu instid0(SALU_CYCLE_1)
	s_cmp_lg_u64 s[10:11], 0
	s_cbranch_scc0 .LBB91_51
; %bb.3:
	s_ashr_i32 s12, s17, 31
	s_delay_alu instid0(SALU_CYCLE_1) | instskip(SKIP_2) | instid1(SALU_CYCLE_1)
	s_add_u32 s20, s16, s12
	s_mov_b32 s13, s12
	s_addc_u32 s21, s17, s12
	s_xor_b64 s[20:21], s[20:21], s[12:13]
	s_delay_alu instid0(SALU_CYCLE_1) | instskip(SKIP_3) | instid1(VALU_DEP_1)
	v_cvt_f32_u32_e32 v1, s20
	v_cvt_f32_u32_e32 v2, s21
	s_sub_u32 s14, 0, s20
	s_subb_u32 s23, 0, s21
	v_fmamk_f32 v1, v2, 0x4f800000, v1
	s_delay_alu instid0(VALU_DEP_1) | instskip(SKIP_2) | instid1(VALU_DEP_1)
	v_rcp_f32_e32 v1, v1
	s_waitcnt_depctr 0xfff
	v_mul_f32_e32 v1, 0x5f7ffffc, v1
	v_mul_f32_e32 v2, 0x2f800000, v1
	s_delay_alu instid0(VALU_DEP_1) | instskip(NEXT) | instid1(VALU_DEP_1)
	v_trunc_f32_e32 v2, v2
	v_fmamk_f32 v1, v2, 0xcf800000, v1
	v_cvt_u32_f32_e32 v2, v2
	s_delay_alu instid0(VALU_DEP_2) | instskip(NEXT) | instid1(VALU_DEP_2)
	v_cvt_u32_f32_e32 v1, v1
	v_readfirstlane_b32 s7, v2
	s_delay_alu instid0(VALU_DEP_2) | instskip(NEXT) | instid1(VALU_DEP_2)
	v_readfirstlane_b32 s11, v1
	s_mul_i32 s24, s14, s7
	s_delay_alu instid0(VALU_DEP_1)
	s_mul_hi_u32 s26, s14, s11
	s_mul_i32 s25, s23, s11
	s_add_i32 s24, s26, s24
	s_mul_i32 s27, s14, s11
	s_add_i32 s24, s24, s25
	s_mul_hi_u32 s26, s11, s27
	s_mul_hi_u32 s28, s7, s27
	s_mul_i32 s25, s7, s27
	s_mul_hi_u32 s27, s11, s24
	s_mul_i32 s11, s11, s24
	s_mul_hi_u32 s29, s7, s24
	s_add_u32 s11, s26, s11
	s_addc_u32 s26, 0, s27
	s_add_u32 s11, s11, s25
	s_mul_i32 s24, s7, s24
	s_addc_u32 s11, s26, s28
	s_addc_u32 s25, s29, 0
	s_add_u32 s11, s11, s24
	s_addc_u32 s24, 0, s25
	v_add_co_u32 v1, s11, v1, s11
	s_delay_alu instid0(VALU_DEP_1) | instskip(SKIP_1) | instid1(VALU_DEP_1)
	s_cmp_lg_u32 s11, 0
	s_addc_u32 s7, s7, s24
	v_readfirstlane_b32 s11, v1
	s_mul_i32 s24, s14, s7
	s_delay_alu instid0(VALU_DEP_1)
	s_mul_hi_u32 s25, s14, s11
	s_mul_i32 s23, s23, s11
	s_add_i32 s24, s25, s24
	s_mul_i32 s14, s14, s11
	s_add_i32 s24, s24, s23
	s_mul_hi_u32 s25, s7, s14
	s_mul_i32 s26, s7, s14
	s_mul_hi_u32 s14, s11, s14
	s_mul_hi_u32 s27, s11, s24
	s_mul_i32 s11, s11, s24
	s_mul_hi_u32 s23, s7, s24
	s_add_u32 s11, s14, s11
	s_addc_u32 s14, 0, s27
	s_add_u32 s11, s11, s26
	s_mul_i32 s24, s7, s24
	s_addc_u32 s11, s14, s25
	s_addc_u32 s14, s23, 0
	s_add_u32 s11, s11, s24
	s_addc_u32 s14, 0, s14
	v_add_co_u32 v1, s11, v1, s11
	s_delay_alu instid0(VALU_DEP_1) | instskip(SKIP_1) | instid1(VALU_DEP_1)
	s_cmp_lg_u32 s11, 0
	s_addc_u32 s7, s7, s14
	v_readfirstlane_b32 s11, v1
	s_mul_i32 s14, s15, s7
	s_mul_hi_u32 s7, s15, s7
	s_delay_alu instid0(VALU_DEP_1) | instskip(NEXT) | instid1(SALU_CYCLE_1)
	s_mul_hi_u32 s11, s15, s11
	s_add_u32 s11, s11, s14
	s_addc_u32 s7, 0, s7
	s_add_u32 s11, s11, 0
	s_addc_u32 s7, s7, 0
	s_addc_u32 s11, 0, 0
	s_add_u32 s7, s7, 0
	s_addc_u32 s11, 0, s11
	s_mul_hi_u32 s14, s20, s7
	s_mul_i32 s24, s20, s11
	s_mul_i32 s25, s20, s7
	s_add_i32 s14, s14, s24
	v_sub_co_u32 v1, s24, s15, s25
	s_mul_i32 s23, s21, s7
	s_delay_alu instid0(SALU_CYCLE_1) | instskip(NEXT) | instid1(VALU_DEP_1)
	s_add_i32 s14, s14, s23
	v_sub_co_u32 v2, s25, v1, s20
	s_sub_i32 s23, 0, s14
	s_cmp_lg_u32 s24, 0
	s_subb_u32 s23, s23, s21
	s_cmp_lg_u32 s25, 0
	v_readfirstlane_b32 s25, v2
	s_subb_u32 s23, s23, 0
	s_delay_alu instid0(SALU_CYCLE_1) | instskip(SKIP_1) | instid1(VALU_DEP_1)
	s_cmp_ge_u32 s23, s21
	s_cselect_b32 s26, -1, 0
	s_cmp_ge_u32 s25, s20
	s_cselect_b32 s25, -1, 0
	s_cmp_eq_u32 s23, s21
	s_cselect_b32 s23, s25, s26
	s_add_u32 s25, s7, 1
	s_addc_u32 s26, s11, 0
	s_add_u32 s27, s7, 2
	s_addc_u32 s28, s11, 0
	s_cmp_lg_u32 s23, 0
	s_cselect_b32 s23, s27, s25
	s_cselect_b32 s25, s28, s26
	s_cmp_lg_u32 s24, 0
	v_readfirstlane_b32 s24, v1
	s_subb_u32 s14, 0, s14
	s_delay_alu instid0(SALU_CYCLE_1) | instskip(SKIP_1) | instid1(VALU_DEP_1)
	s_cmp_ge_u32 s14, s21
	s_cselect_b32 s26, -1, 0
	s_cmp_ge_u32 s24, s20
	s_cselect_b32 s20, -1, 0
	s_cmp_eq_u32 s14, s21
	s_cselect_b32 s14, s20, s26
	s_delay_alu instid0(SALU_CYCLE_1) | instskip(SKIP_2) | instid1(SALU_CYCLE_1)
	s_cmp_lg_u32 s14, 0
	s_cselect_b32 s21, s25, s11
	s_cselect_b32 s20, s23, s7
	s_xor_b64 s[20:21], s[20:21], s[12:13]
	s_delay_alu instid0(SALU_CYCLE_1)
	s_sub_u32 s26, s20, s12
	s_subb_u32 s27, s21, s12
	s_load_b64 s[24:25], s[0:1], 0x38
	s_and_not1_b32 vcc_lo, exec_lo, s10
	s_cbranch_vccnz .LBB91_5
.LBB91_4:
	v_cvt_f32_u32_e32 v1, s16
	s_sub_i32 s10, 0, s16
	s_mov_b32 s27, 0
	s_delay_alu instid0(VALU_DEP_1) | instskip(SKIP_2) | instid1(VALU_DEP_1)
	v_rcp_iflag_f32_e32 v1, v1
	s_waitcnt_depctr 0xfff
	v_mul_f32_e32 v1, 0x4f7ffffe, v1
	v_cvt_u32_f32_e32 v1, v1
	s_delay_alu instid0(VALU_DEP_1) | instskip(NEXT) | instid1(VALU_DEP_1)
	v_readfirstlane_b32 s7, v1
	s_mul_i32 s10, s10, s7
	s_delay_alu instid0(SALU_CYCLE_1) | instskip(NEXT) | instid1(SALU_CYCLE_1)
	s_mul_hi_u32 s10, s7, s10
	s_add_i32 s7, s7, s10
	s_delay_alu instid0(SALU_CYCLE_1) | instskip(NEXT) | instid1(SALU_CYCLE_1)
	s_mul_hi_u32 s7, s15, s7
	s_mul_i32 s10, s7, s16
	s_add_i32 s11, s7, 1
	s_sub_i32 s10, s15, s10
	s_delay_alu instid0(SALU_CYCLE_1)
	s_sub_i32 s12, s10, s16
	s_cmp_ge_u32 s10, s16
	s_cselect_b32 s7, s11, s7
	s_cselect_b32 s10, s12, s10
	s_add_i32 s11, s7, 1
	s_cmp_ge_u32 s10, s16
	s_cselect_b32 s26, s11, s7
.LBB91_5:
	s_delay_alu instid0(SALU_CYCLE_1)
	s_mul_i32 s7, s26, s17
	s_mul_hi_u32 s10, s26, s16
	v_mov_b32_e32 v1, 0
	s_add_i32 s7, s10, s7
	s_mul_i32 s10, s27, s16
	s_mul_i32 s16, s26, s16
	s_add_i32 s17, s7, s10
	s_sub_u32 s10, s15, s16
	s_subb_u32 s11, 0, s17
	v_mov_b32_e32 v8, v1
	s_lshl_b64 s[10:11], s[10:11], 3
	s_waitcnt lgkmcnt(0)
	s_add_u32 s8, s8, s10
	s_addc_u32 s9, s9, s11
	s_load_b64 s[20:21], s[8:9], 0x0
	s_load_b128 s[8:11], s[0:1], 0x40
	s_waitcnt lgkmcnt(0)
	s_lshl_b64 s[12:13], s[20:21], 3
	s_mul_i32 s7, s21, s8
	s_add_u32 s2, s2, s12
	s_addc_u32 s3, s3, s13
	s_load_b128 s[12:15], s[2:3], 0x0
	s_lshl_b64 s[2:3], s[26:27], 9
	s_delay_alu instid0(SALU_CYCLE_1) | instskip(SKIP_3) | instid1(SALU_CYCLE_1)
	v_or_b32_e32 v2, s2, v0
	v_mov_b32_e32 v3, s3
	s_mul_i32 s2, s20, s9
	s_mul_hi_u32 s3, s20, s8
	s_add_i32 s3, s3, s2
	s_delay_alu instid0(VALU_DEP_1) | instskip(SKIP_2) | instid1(VALU_DEP_1)
	v_cmp_gt_i64_e64 s2, s[18:19], v[2:3]
	s_add_i32 s19, s3, s7
	s_mul_i32 s18, s20, s8
	s_and_saveexec_b32 s3, s2
	s_cbranch_execz .LBB91_7
; %bb.6:
	v_add_co_u32 v4, vcc_lo, v2, s18
	v_add_co_ci_u32_e32 v5, vcc_lo, s19, v3, vcc_lo
	s_delay_alu instid0(VALU_DEP_1) | instskip(NEXT) | instid1(VALU_DEP_1)
	v_lshlrev_b64 v[4:5], 2, v[4:5]
	v_add_co_u32 v4, vcc_lo, s24, v4
	s_delay_alu instid0(VALU_DEP_2)
	v_add_co_ci_u32_e32 v5, vcc_lo, s25, v5, vcc_lo
	global_load_b32 v4, v[4:5], off
	s_waitcnt vmcnt(0)
	v_mul_f32_e32 v8, s22, v4
.LBB91_7:
	s_or_b32 exec_lo, exec_lo, s3
	v_lshlrev_b64 v[2:3], 2, v[2:3]
	s_waitcnt lgkmcnt(0)
	v_cmp_ge_i64_e64 s3, s[12:13], s[14:15]
	s_delay_alu instid0(VALU_DEP_2) | instskip(NEXT) | instid1(VALU_DEP_3)
	v_add_co_u32 v4, vcc_lo, s24, v2
	v_add_co_ci_u32_e32 v5, vcc_lo, s25, v3, vcc_lo
	s_delay_alu instid0(VALU_DEP_3)
	s_and_b32 vcc_lo, exec_lo, s3
	v_mov_b32_e32 v3, 1.0
	v_cmp_eq_u32_e64 s3, 0, v0
	s_cbranch_vccnz .LBB91_45
; %bb.8:
	s_clause 0x1
	s_load_b128 s[24:27], s[0:1], 0x28
	s_load_b64 s[22:23], s[0:1], 0x58
	s_lshl_b64 s[0:1], s[16:17], 2
	v_dual_mov_b32 v13, 0 :: v_dual_lshlrev_b32 v6, 3, v0
	s_add_u32 s7, s10, s0
	s_addc_u32 s33, s11, s1
	v_lshlrev_b32_e32 v2, 2, v0
	s_sub_u32 s12, s12, s4
	s_subb_u32 s13, s13, 0
	s_sub_u32 s14, s14, s4
	s_subb_u32 s15, s15, 0
	s_cmp_lg_u32 s6, 0
	v_or_b32_e32 v7, 0x1000, v2
	s_cselect_b32 s34, -1, 0
	v_mov_b32_e32 v14, 1.0
	s_waitcnt lgkmcnt(0)
	v_add_co_u32 v9, s0, s24, v6
	s_delay_alu instid0(VALU_DEP_1)
	v_add_co_ci_u32_e64 v10, null, s25, 0, s0
	v_add_co_u32 v11, s0, s26, v2
	s_add_u32 s24, s20, s4
	v_add_co_ci_u32_e64 v12, null, s27, 0, s0
	v_cmp_ne_u32_e64 s0, 0, v0
	s_addc_u32 s25, s21, 0
	s_cmp_eq_u32 s6, 0
	s_mov_b64 s[26:27], s[12:13]
	s_cselect_b32 s1, -1, 0
	s_branch .LBB91_10
.LBB91_9:                               ;   in Loop: Header=BB91_10 Depth=1
	s_add_u32 s26, s26, 1
	s_addc_u32 s27, s27, 0
	s_delay_alu instid0(SALU_CYCLE_1) | instskip(SKIP_2) | instid1(VALU_DEP_3)
	v_cmp_ge_i64_e64 s13, s[26:27], s[14:15]
	v_mov_b32_e32 v8, v15
	v_mov_b32_e32 v14, v3
	s_and_not1_b32 vcc_lo, exec_lo, s13
	s_cbranch_vccz .LBB91_46
.LBB91_10:                              ; =>This Loop Header: Depth=1
                                        ;     Child Loop BB91_38 Depth 2
	s_sub_i32 s13, s26, s12
	s_delay_alu instid0(SALU_CYCLE_1) | instskip(NEXT) | instid1(SALU_CYCLE_1)
	s_and_b32 s13, s13, 0x1ff
	s_cmp_lg_u32 s13, 0
	s_cbranch_scc1 .LBB91_14
; %bb.11:                               ;   in Loop: Header=BB91_10 Depth=1
	s_sub_u32 s28, s14, s26
	s_subb_u32 s29, s15, s27
	v_dual_mov_b32 v2, -1 :: v_dual_mov_b32 v15, -1.0
	v_cmp_gt_i64_e32 vcc_lo, s[28:29], v[0:1]
	v_mov_b32_e32 v3, -1
	s_and_saveexec_b32 s28, vcc_lo
	s_cbranch_execz .LBB91_13
; %bb.12:                               ;   in Loop: Header=BB91_10 Depth=1
	s_lshl_b64 s[30:31], s[26:27], 3
	s_delay_alu instid0(SALU_CYCLE_1) | instskip(SKIP_2) | instid1(SALU_CYCLE_1)
	v_add_co_u32 v2, vcc_lo, v9, s30
	v_add_co_ci_u32_e32 v3, vcc_lo, s31, v10, vcc_lo
	s_lshl_b64 s[30:31], s[26:27], 2
	v_add_co_u32 v15, vcc_lo, v11, s30
	global_load_b64 v[2:3], v[2:3], off
	v_add_co_ci_u32_e32 v16, vcc_lo, s31, v12, vcc_lo
	global_load_b32 v15, v[15:16], off
	s_waitcnt vmcnt(1)
	v_sub_co_u32 v2, vcc_lo, v2, s4
	v_subrev_co_ci_u32_e32 v3, vcc_lo, 0, v3, vcc_lo
.LBB91_13:                              ;   in Loop: Header=BB91_10 Depth=1
	s_or_b32 exec_lo, exec_lo, s28
	ds_store_b64 v6, v[2:3]
	s_waitcnt vmcnt(0)
	ds_store_b32 v7, v15
.LBB91_14:                              ;   in Loop: Header=BB91_10 Depth=1
	s_lshl_b32 s28, s13, 3
	s_lshl_b32 s13, s13, 2
	s_delay_alu instid0(SALU_CYCLE_1)
	v_dual_mov_b32 v2, s28 :: v_dual_mov_b32 v15, s13
	s_waitcnt lgkmcnt(0)
	s_waitcnt_vscnt null, 0x0
	s_barrier
	buffer_gl0_inv
	ds_load_b64 v[2:3], v2
	ds_load_b32 v15, v15 offset:4096
	s_waitcnt lgkmcnt(1)
	v_readfirstlane_b32 s28, v2
	v_readfirstlane_b32 s29, v3
	s_waitcnt lgkmcnt(0)
	v_cmp_neq_f32_e32 vcc_lo, 0, v15
	s_delay_alu instid0(VALU_DEP_2) | instskip(SKIP_1) | instid1(SALU_CYCLE_1)
	s_cmp_lg_u64 s[28:29], s[20:21]
	s_cselect_b32 s13, -1, 0
	s_or_b32 s13, s34, s13
	s_delay_alu instid0(SALU_CYCLE_1) | instskip(SKIP_2) | instid1(SALU_CYCLE_1)
	s_or_b32 vcc_lo, vcc_lo, s13
	v_cndmask_b32_e32 v2, 1.0, v15, vcc_lo
	s_or_b32 s13, s0, vcc_lo
	s_xor_b32 s30, s13, -1
	s_delay_alu instid0(SALU_CYCLE_1)
	s_and_saveexec_b32 s13, s30
	s_cbranch_execz .LBB91_18
; %bb.15:                               ;   in Loop: Header=BB91_10 Depth=1
	v_mbcnt_lo_u32_b32 v2, exec_lo, 0
	s_mov_b32 s30, exec_lo
	s_delay_alu instid0(VALU_DEP_1)
	v_cmpx_eq_u32_e32 0, v2
	s_cbranch_execz .LBB91_17
; %bb.16:                               ;   in Loop: Header=BB91_10 Depth=1
	v_dual_mov_b32 v2, s24 :: v_dual_mov_b32 v3, s25
	global_atomic_min_u64 v13, v[2:3], s[22:23]
.LBB91_17:                              ;   in Loop: Header=BB91_10 Depth=1
	s_or_b32 exec_lo, exec_lo, s30
	v_mov_b32_e32 v2, 1.0
.LBB91_18:                              ;   in Loop: Header=BB91_10 Depth=1
	s_or_b32 exec_lo, exec_lo, s13
	s_cmp_lt_i32 s5, 1
	s_mov_b32 s13, 0
	s_cbranch_scc1 .LBB91_23
; %bb.19:                               ;   in Loop: Header=BB91_10 Depth=1
	s_cmp_eq_u32 s5, 1
	s_cbranch_scc0 .LBB91_24
; %bb.20:                               ;   in Loop: Header=BB91_10 Depth=1
	v_cmp_ge_i64_e64 s30, s[28:29], s[20:21]
	v_mov_b32_e32 v3, v14
	s_delay_alu instid0(VALU_DEP_2)
	s_and_b32 vcc_lo, exec_lo, s30
	s_mov_b32 s30, 0
	s_cbranch_vccz .LBB91_26
; %bb.21:                               ;   in Loop: Header=BB91_10 Depth=1
	s_cmp_eq_u64 s[28:29], s[20:21]
	s_cbranch_scc0 .LBB91_25
; %bb.22:                               ;   in Loop: Header=BB91_10 Depth=1
	v_div_scale_f32 v3, null, v2, v2, 1.0
	s_delay_alu instid0(VALU_DEP_1) | instskip(SKIP_2) | instid1(VALU_DEP_1)
	v_rcp_f32_e32 v15, v3
	s_waitcnt_depctr 0xfff
	v_fma_f32 v16, -v3, v15, 1.0
	v_fmac_f32_e32 v15, v16, v15
	v_div_scale_f32 v16, vcc_lo, 1.0, v2, 1.0
	s_delay_alu instid0(VALU_DEP_1) | instskip(NEXT) | instid1(VALU_DEP_1)
	v_mul_f32_e32 v17, v16, v15
	v_fma_f32 v18, -v3, v17, v16
	s_delay_alu instid0(VALU_DEP_1) | instskip(NEXT) | instid1(VALU_DEP_1)
	v_fmac_f32_e32 v17, v18, v15
	v_fma_f32 v3, -v3, v17, v16
	s_delay_alu instid0(VALU_DEP_1) | instskip(NEXT) | instid1(VALU_DEP_1)
	v_div_fmas_f32 v3, v3, v15, v17
	v_div_fixup_f32 v3, v3, v2, 1.0
	s_delay_alu instid0(VALU_DEP_1)
	v_cndmask_b32_e64 v3, v14, v3, s1
	s_branch .LBB91_26
.LBB91_23:                              ;   in Loop: Header=BB91_10 Depth=1
	s_mov_b32 s30, 0
                                        ; implicit-def: $vgpr15
                                        ; implicit-def: $vgpr3
                                        ; implicit-def: $sgpr31
	s_cbranch_execnz .LBB91_27
	s_branch .LBB91_29
.LBB91_24:                              ;   in Loop: Header=BB91_10 Depth=1
	s_mov_b32 s30, -1
                                        ; implicit-def: $vgpr15
                                        ; implicit-def: $vgpr3
                                        ; implicit-def: $sgpr31
	s_branch .LBB91_29
.LBB91_25:                              ;   in Loop: Header=BB91_10 Depth=1
	s_mov_b32 s30, -1
                                        ; implicit-def: $vgpr3
.LBB91_26:                              ;   in Loop: Header=BB91_10 Depth=1
	v_mov_b32_e32 v15, v8
	s_mov_b32 s31, 4
	s_branch .LBB91_29
.LBB91_27:                              ;   in Loop: Header=BB91_10 Depth=1
	s_cmp_eq_u32 s5, 0
	s_cbranch_scc1 .LBB91_33
; %bb.28:                               ;   in Loop: Header=BB91_10 Depth=1
	s_mov_b32 s30, -1
                                        ; implicit-def: $vgpr15
                                        ; implicit-def: $vgpr3
                                        ; implicit-def: $sgpr31
.LBB91_29:                              ;   in Loop: Header=BB91_10 Depth=1
	s_delay_alu instid0(SALU_CYCLE_1)
	s_and_b32 vcc_lo, exec_lo, s30
	s_cbranch_vccnz .LBB91_36
.LBB91_30:                              ;   in Loop: Header=BB91_10 Depth=1
	s_and_b32 vcc_lo, exec_lo, s13
	s_cbranch_vccnz .LBB91_42
.LBB91_31:                              ;   in Loop: Header=BB91_10 Depth=1
	s_cmp_gt_i32 s31, 3
	s_mov_b32 s13, -1
	s_cbranch_scc1 .LBB91_43
.LBB91_32:                              ;   in Loop: Header=BB91_10 Depth=1
	s_cmp_eq_u32 s31, 0
	s_cselect_b32 s28, -1, 0
	s_delay_alu instid0(SALU_CYCLE_1)
	s_and_not1_b32 vcc_lo, exec_lo, s28
	s_cbranch_vccz .LBB91_9
	s_branch .LBB91_44
.LBB91_33:                              ;   in Loop: Header=BB91_10 Depth=1
	v_cmp_le_i64_e64 s30, s[28:29], s[20:21]
	s_delay_alu instid0(VALU_DEP_1)
	s_and_b32 vcc_lo, exec_lo, s30
	s_mov_b32 s30, 0
	s_cbranch_vccz .LBB91_35
; %bb.34:                               ;   in Loop: Header=BB91_10 Depth=1
	s_cmp_lg_u64 s[28:29], s[20:21]
	s_mov_b32 s13, -1
	s_cselect_b32 s30, -1, 0
.LBB91_35:                              ;   in Loop: Header=BB91_10 Depth=1
	v_mov_b32_e32 v15, v8
	v_mov_b32_e32 v3, v14
	s_mov_b32 s31, 2
	s_and_b32 vcc_lo, exec_lo, s30
	s_cbranch_vccz .LBB91_30
.LBB91_36:                              ;   in Loop: Header=BB91_10 Depth=1
	s_and_saveexec_b32 s13, s3
	s_cbranch_execz .LBB91_39
; %bb.37:                               ;   in Loop: Header=BB91_10 Depth=1
	s_lshl_b64 s[30:31], s[28:29], 2
	s_delay_alu instid0(SALU_CYCLE_1)
	s_add_u32 s30, s7, s30
	s_addc_u32 s31, s33, s31
	global_load_b32 v3, v13, s[30:31] glc
	s_waitcnt vmcnt(0)
	v_cmp_ne_u32_e32 vcc_lo, 0, v3
	s_cbranch_vccnz .LBB91_39
.LBB91_38:                              ;   Parent Loop BB91_10 Depth=1
                                        ; =>  This Inner Loop Header: Depth=2
	global_load_b32 v3, v13, s[30:31] glc
	s_waitcnt vmcnt(0)
	v_cmp_eq_u32_e32 vcc_lo, 0, v3
	s_cbranch_vccnz .LBB91_38
.LBB91_39:                              ;   in Loop: Header=BB91_10 Depth=1
	s_or_b32 exec_lo, exec_lo, s13
	v_mov_b32_e32 v15, 0
	s_waitcnt_vscnt null, 0x0
	s_barrier
	buffer_gl0_inv
	buffer_gl1_inv
	buffer_gl0_inv
	s_and_saveexec_b32 s13, s2
	s_cbranch_execz .LBB91_41
; %bb.40:                               ;   in Loop: Header=BB91_10 Depth=1
	s_mul_i32 s30, s28, s9
	s_mul_hi_u32 s31, s28, s8
	s_mul_i32 s29, s29, s8
	s_add_i32 s30, s31, s30
	s_mul_i32 s28, s28, s8
	s_add_i32 s29, s30, s29
	s_delay_alu instid0(SALU_CYCLE_1) | instskip(NEXT) | instid1(SALU_CYCLE_1)
	s_lshl_b64 s[28:29], s[28:29], 2
	v_add_co_u32 v15, vcc_lo, v4, s28
	v_add_co_ci_u32_e32 v16, vcc_lo, s29, v5, vcc_lo
	global_load_b32 v3, v[15:16], off
	s_waitcnt vmcnt(0)
	v_fma_f32 v15, -v2, v3, v8
.LBB91_41:                              ;   in Loop: Header=BB91_10 Depth=1
	s_or_b32 exec_lo, exec_lo, s13
	v_mov_b32_e32 v3, v14
	s_mov_b32 s31, 0
	s_branch .LBB91_31
.LBB91_42:                              ;   in Loop: Header=BB91_10 Depth=1
	v_div_scale_f32 v3, null, v2, v2, 1.0
	v_div_scale_f32 v17, vcc_lo, 1.0, v2, 1.0
	s_mov_b32 s31, 2
	s_delay_alu instid0(VALU_DEP_2) | instskip(SKIP_2) | instid1(VALU_DEP_1)
	v_rcp_f32_e32 v15, v3
	s_waitcnt_depctr 0xfff
	v_fma_f32 v16, -v3, v15, 1.0
	v_fmac_f32_e32 v15, v16, v15
	s_delay_alu instid0(VALU_DEP_1) | instskip(NEXT) | instid1(VALU_DEP_1)
	v_mul_f32_e32 v16, v17, v15
	v_fma_f32 v18, -v3, v16, v17
	s_delay_alu instid0(VALU_DEP_1) | instskip(NEXT) | instid1(VALU_DEP_1)
	v_fmac_f32_e32 v16, v18, v15
	v_fma_f32 v3, -v3, v16, v17
	s_delay_alu instid0(VALU_DEP_1) | instskip(SKIP_1) | instid1(VALU_DEP_2)
	v_div_fmas_f32 v3, v3, v15, v16
	v_mov_b32_e32 v15, v8
	v_div_fixup_f32 v2, v3, v2, 1.0
	s_delay_alu instid0(VALU_DEP_1)
	v_cndmask_b32_e64 v3, v14, v2, s1
	s_cmp_gt_i32 s31, 3
	s_mov_b32 s13, -1
	s_cbranch_scc0 .LBB91_32
.LBB91_43:                              ;   in Loop: Header=BB91_10 Depth=1
	s_branch .LBB91_9
.LBB91_44:                              ;   in Loop: Header=BB91_10 Depth=1
                                        ; implicit-def: $sgpr26_sgpr27
	v_mov_b32_e32 v8, v15
	v_mov_b32_e32 v14, v3
	s_and_not1_b32 vcc_lo, exec_lo, s13
	s_cbranch_vccnz .LBB91_10
	s_branch .LBB91_46
.LBB91_45:
	v_mov_b32_e32 v15, v8
.LBB91_46:
	s_and_saveexec_b32 s0, s2
	s_cbranch_execz .LBB91_48
; %bb.47:
	s_delay_alu instid0(VALU_DEP_1) | instskip(SKIP_3) | instid1(VALU_DEP_1)
	v_mul_f32_e32 v1, v3, v15
	s_cmp_eq_u32 s6, 0
	s_cselect_b32 vcc_lo, -1, 0
	s_lshl_b64 s[2:3], s[18:19], 2
	v_cndmask_b32_e32 v3, v15, v1, vcc_lo
	v_add_co_u32 v1, vcc_lo, v4, s2
	v_add_co_ci_u32_e32 v2, vcc_lo, s3, v5, vcc_lo
	global_store_b32 v[1:2], v3, off
.LBB91_48:
	s_or_b32 exec_lo, exec_lo, s0
	s_waitcnt_vscnt null, 0x0
	buffer_gl1_inv
	buffer_gl0_inv
	s_barrier
	buffer_gl0_inv
	s_mov_b32 s0, exec_lo
	v_cmpx_eq_u32_e32 0, v0
	s_cbranch_execz .LBB91_50
; %bb.49:
	s_lshl_b64 s[0:1], s[20:21], 2
	v_dual_mov_b32 v0, 0 :: v_dual_mov_b32 v1, 1
	s_add_u32 s2, s10, s0
	s_addc_u32 s3, s11, s1
	s_lshl_b64 s[0:1], s[16:17], 2
	s_delay_alu instid0(SALU_CYCLE_1)
	s_add_u32 s0, s2, s0
	s_addc_u32 s1, s3, s1
	global_store_b32 v0, v1, s[0:1]
.LBB91_50:
	s_nop 0
	s_sendmsg sendmsg(MSG_DEALLOC_VGPRS)
	s_endpgm
.LBB91_51:
                                        ; implicit-def: $sgpr26_sgpr27
	s_load_b64 s[24:25], s[0:1], 0x38
	s_branch .LBB91_4
	.section	.rodata,"a",@progbits
	.p2align	6, 0x0
	.amdhsa_kernel _ZN9rocsparseL5csrsmILj512ELj64ELb0EllfEEv20rocsparse_operation_T3_S2_NS_24const_host_device_scalarIT4_EEPKT2_PKS2_PKS4_PS4_lPiSA_PS2_21rocsparse_index_base_20rocsparse_fill_mode_20rocsparse_diag_type_b
		.amdhsa_group_segment_fixed_size 6144
		.amdhsa_private_segment_fixed_size 0
		.amdhsa_kernarg_size 112
		.amdhsa_user_sgpr_count 15
		.amdhsa_user_sgpr_dispatch_ptr 0
		.amdhsa_user_sgpr_queue_ptr 0
		.amdhsa_user_sgpr_kernarg_segment_ptr 1
		.amdhsa_user_sgpr_dispatch_id 0
		.amdhsa_user_sgpr_private_segment_size 0
		.amdhsa_wavefront_size32 1
		.amdhsa_uses_dynamic_stack 0
		.amdhsa_enable_private_segment 0
		.amdhsa_system_sgpr_workgroup_id_x 1
		.amdhsa_system_sgpr_workgroup_id_y 0
		.amdhsa_system_sgpr_workgroup_id_z 0
		.amdhsa_system_sgpr_workgroup_info 0
		.amdhsa_system_vgpr_workitem_id 0
		.amdhsa_next_free_vgpr 19
		.amdhsa_next_free_sgpr 35
		.amdhsa_reserve_vcc 1
		.amdhsa_float_round_mode_32 0
		.amdhsa_float_round_mode_16_64 0
		.amdhsa_float_denorm_mode_32 3
		.amdhsa_float_denorm_mode_16_64 3
		.amdhsa_dx10_clamp 1
		.amdhsa_ieee_mode 1
		.amdhsa_fp16_overflow 0
		.amdhsa_workgroup_processor_mode 1
		.amdhsa_memory_ordered 1
		.amdhsa_forward_progress 0
		.amdhsa_shared_vgpr_count 0
		.amdhsa_exception_fp_ieee_invalid_op 0
		.amdhsa_exception_fp_denorm_src 0
		.amdhsa_exception_fp_ieee_div_zero 0
		.amdhsa_exception_fp_ieee_overflow 0
		.amdhsa_exception_fp_ieee_underflow 0
		.amdhsa_exception_fp_ieee_inexact 0
		.amdhsa_exception_int_div_zero 0
	.end_amdhsa_kernel
	.section	.text._ZN9rocsparseL5csrsmILj512ELj64ELb0EllfEEv20rocsparse_operation_T3_S2_NS_24const_host_device_scalarIT4_EEPKT2_PKS2_PKS4_PS4_lPiSA_PS2_21rocsparse_index_base_20rocsparse_fill_mode_20rocsparse_diag_type_b,"axG",@progbits,_ZN9rocsparseL5csrsmILj512ELj64ELb0EllfEEv20rocsparse_operation_T3_S2_NS_24const_host_device_scalarIT4_EEPKT2_PKS2_PKS4_PS4_lPiSA_PS2_21rocsparse_index_base_20rocsparse_fill_mode_20rocsparse_diag_type_b,comdat
.Lfunc_end91:
	.size	_ZN9rocsparseL5csrsmILj512ELj64ELb0EllfEEv20rocsparse_operation_T3_S2_NS_24const_host_device_scalarIT4_EEPKT2_PKS2_PKS4_PS4_lPiSA_PS2_21rocsparse_index_base_20rocsparse_fill_mode_20rocsparse_diag_type_b, .Lfunc_end91-_ZN9rocsparseL5csrsmILj512ELj64ELb0EllfEEv20rocsparse_operation_T3_S2_NS_24const_host_device_scalarIT4_EEPKT2_PKS2_PKS4_PS4_lPiSA_PS2_21rocsparse_index_base_20rocsparse_fill_mode_20rocsparse_diag_type_b
                                        ; -- End function
	.section	.AMDGPU.csdata,"",@progbits
; Kernel info:
; codeLenInByte = 2432
; NumSgprs: 37
; NumVgprs: 19
; ScratchSize: 0
; MemoryBound: 0
; FloatMode: 240
; IeeeMode: 1
; LDSByteSize: 6144 bytes/workgroup (compile time only)
; SGPRBlocks: 4
; VGPRBlocks: 2
; NumSGPRsForWavesPerEU: 37
; NumVGPRsForWavesPerEU: 19
; Occupancy: 16
; WaveLimiterHint : 1
; COMPUTE_PGM_RSRC2:SCRATCH_EN: 0
; COMPUTE_PGM_RSRC2:USER_SGPR: 15
; COMPUTE_PGM_RSRC2:TRAP_HANDLER: 0
; COMPUTE_PGM_RSRC2:TGID_X_EN: 1
; COMPUTE_PGM_RSRC2:TGID_Y_EN: 0
; COMPUTE_PGM_RSRC2:TGID_Z_EN: 0
; COMPUTE_PGM_RSRC2:TIDIG_COMP_CNT: 0
	.section	.text._ZN9rocsparseL5csrsmILj1024ELj64ELb1EllfEEv20rocsparse_operation_T3_S2_NS_24const_host_device_scalarIT4_EEPKT2_PKS2_PKS4_PS4_lPiSA_PS2_21rocsparse_index_base_20rocsparse_fill_mode_20rocsparse_diag_type_b,"axG",@progbits,_ZN9rocsparseL5csrsmILj1024ELj64ELb1EllfEEv20rocsparse_operation_T3_S2_NS_24const_host_device_scalarIT4_EEPKT2_PKS2_PKS4_PS4_lPiSA_PS2_21rocsparse_index_base_20rocsparse_fill_mode_20rocsparse_diag_type_b,comdat
	.globl	_ZN9rocsparseL5csrsmILj1024ELj64ELb1EllfEEv20rocsparse_operation_T3_S2_NS_24const_host_device_scalarIT4_EEPKT2_PKS2_PKS4_PS4_lPiSA_PS2_21rocsparse_index_base_20rocsparse_fill_mode_20rocsparse_diag_type_b ; -- Begin function _ZN9rocsparseL5csrsmILj1024ELj64ELb1EllfEEv20rocsparse_operation_T3_S2_NS_24const_host_device_scalarIT4_EEPKT2_PKS2_PKS4_PS4_lPiSA_PS2_21rocsparse_index_base_20rocsparse_fill_mode_20rocsparse_diag_type_b
	.p2align	8
	.type	_ZN9rocsparseL5csrsmILj1024ELj64ELb1EllfEEv20rocsparse_operation_T3_S2_NS_24const_host_device_scalarIT4_EEPKT2_PKS2_PKS4_PS4_lPiSA_PS2_21rocsparse_index_base_20rocsparse_fill_mode_20rocsparse_diag_type_b,@function
_ZN9rocsparseL5csrsmILj1024ELj64ELb1EllfEEv20rocsparse_operation_T3_S2_NS_24const_host_device_scalarIT4_EEPKT2_PKS2_PKS4_PS4_lPiSA_PS2_21rocsparse_index_base_20rocsparse_fill_mode_20rocsparse_diag_type_b: ; @_ZN9rocsparseL5csrsmILj1024ELj64ELb1EllfEEv20rocsparse_operation_T3_S2_NS_24const_host_device_scalarIT4_EEPKT2_PKS2_PKS4_PS4_lPiSA_PS2_21rocsparse_index_base_20rocsparse_fill_mode_20rocsparse_diag_type_b
; %bb.0:
	s_clause 0x2
	s_load_b128 s[4:7], s[0:1], 0x60
	s_load_b128 s[16:19], s[0:1], 0x8
	s_load_b64 s[22:23], s[0:1], 0x18
	s_waitcnt lgkmcnt(0)
	s_bitcmp1_b32 s7, 0
	s_cselect_b32 s2, -1, 0
	s_delay_alu instid0(SALU_CYCLE_1)
	s_and_b32 vcc_lo, exec_lo, s2
	s_cbranch_vccnz .LBB92_2
; %bb.1:
	s_load_b32 s22, s[22:23], 0x0
.LBB92_2:
	s_clause 0x1
	s_load_b64 s[8:9], s[0:1], 0x50
	s_load_b64 s[2:3], s[0:1], 0x20
	s_mov_b32 s10, 0
	s_mov_b32 s11, s17
	s_delay_alu instid0(SALU_CYCLE_1)
	s_cmp_lg_u64 s[10:11], 0
	s_cbranch_scc0 .LBB92_54
; %bb.3:
	s_ashr_i32 s12, s17, 31
	s_delay_alu instid0(SALU_CYCLE_1) | instskip(SKIP_2) | instid1(SALU_CYCLE_1)
	s_add_u32 s20, s16, s12
	s_mov_b32 s13, s12
	s_addc_u32 s21, s17, s12
	s_xor_b64 s[20:21], s[20:21], s[12:13]
	s_delay_alu instid0(SALU_CYCLE_1) | instskip(SKIP_3) | instid1(VALU_DEP_1)
	v_cvt_f32_u32_e32 v1, s20
	v_cvt_f32_u32_e32 v2, s21
	s_sub_u32 s14, 0, s20
	s_subb_u32 s23, 0, s21
	v_fmamk_f32 v1, v2, 0x4f800000, v1
	s_delay_alu instid0(VALU_DEP_1) | instskip(SKIP_2) | instid1(VALU_DEP_1)
	v_rcp_f32_e32 v1, v1
	s_waitcnt_depctr 0xfff
	v_mul_f32_e32 v1, 0x5f7ffffc, v1
	v_mul_f32_e32 v2, 0x2f800000, v1
	s_delay_alu instid0(VALU_DEP_1) | instskip(NEXT) | instid1(VALU_DEP_1)
	v_trunc_f32_e32 v2, v2
	v_fmamk_f32 v1, v2, 0xcf800000, v1
	v_cvt_u32_f32_e32 v2, v2
	s_delay_alu instid0(VALU_DEP_2) | instskip(NEXT) | instid1(VALU_DEP_2)
	v_cvt_u32_f32_e32 v1, v1
	v_readfirstlane_b32 s7, v2
	s_delay_alu instid0(VALU_DEP_2) | instskip(NEXT) | instid1(VALU_DEP_2)
	v_readfirstlane_b32 s11, v1
	s_mul_i32 s24, s14, s7
	s_delay_alu instid0(VALU_DEP_1)
	s_mul_hi_u32 s26, s14, s11
	s_mul_i32 s25, s23, s11
	s_add_i32 s24, s26, s24
	s_mul_i32 s27, s14, s11
	s_add_i32 s24, s24, s25
	s_mul_hi_u32 s26, s11, s27
	s_mul_hi_u32 s28, s7, s27
	s_mul_i32 s25, s7, s27
	s_mul_hi_u32 s27, s11, s24
	s_mul_i32 s11, s11, s24
	s_mul_hi_u32 s29, s7, s24
	s_add_u32 s11, s26, s11
	s_addc_u32 s26, 0, s27
	s_add_u32 s11, s11, s25
	s_mul_i32 s24, s7, s24
	s_addc_u32 s11, s26, s28
	s_addc_u32 s25, s29, 0
	s_add_u32 s11, s11, s24
	s_addc_u32 s24, 0, s25
	v_add_co_u32 v1, s11, v1, s11
	s_delay_alu instid0(VALU_DEP_1) | instskip(SKIP_1) | instid1(VALU_DEP_1)
	s_cmp_lg_u32 s11, 0
	s_addc_u32 s7, s7, s24
	v_readfirstlane_b32 s11, v1
	s_mul_i32 s24, s14, s7
	s_delay_alu instid0(VALU_DEP_1)
	s_mul_hi_u32 s25, s14, s11
	s_mul_i32 s23, s23, s11
	s_add_i32 s24, s25, s24
	s_mul_i32 s14, s14, s11
	s_add_i32 s24, s24, s23
	s_mul_hi_u32 s25, s7, s14
	s_mul_i32 s26, s7, s14
	s_mul_hi_u32 s14, s11, s14
	s_mul_hi_u32 s27, s11, s24
	s_mul_i32 s11, s11, s24
	s_mul_hi_u32 s23, s7, s24
	s_add_u32 s11, s14, s11
	s_addc_u32 s14, 0, s27
	s_add_u32 s11, s11, s26
	s_mul_i32 s24, s7, s24
	s_addc_u32 s11, s14, s25
	s_addc_u32 s14, s23, 0
	s_add_u32 s11, s11, s24
	s_addc_u32 s14, 0, s14
	v_add_co_u32 v1, s11, v1, s11
	s_delay_alu instid0(VALU_DEP_1) | instskip(SKIP_1) | instid1(VALU_DEP_1)
	s_cmp_lg_u32 s11, 0
	s_addc_u32 s7, s7, s14
	v_readfirstlane_b32 s11, v1
	s_mul_i32 s14, s15, s7
	s_mul_hi_u32 s7, s15, s7
	s_delay_alu instid0(VALU_DEP_1) | instskip(NEXT) | instid1(SALU_CYCLE_1)
	s_mul_hi_u32 s11, s15, s11
	s_add_u32 s11, s11, s14
	s_addc_u32 s7, 0, s7
	s_add_u32 s11, s11, 0
	s_addc_u32 s7, s7, 0
	s_addc_u32 s11, 0, 0
	s_add_u32 s7, s7, 0
	s_addc_u32 s11, 0, s11
	s_mul_hi_u32 s14, s20, s7
	s_mul_i32 s24, s20, s11
	s_mul_i32 s25, s20, s7
	s_add_i32 s14, s14, s24
	v_sub_co_u32 v1, s24, s15, s25
	s_mul_i32 s23, s21, s7
	s_delay_alu instid0(SALU_CYCLE_1) | instskip(NEXT) | instid1(VALU_DEP_1)
	s_add_i32 s14, s14, s23
	v_sub_co_u32 v2, s25, v1, s20
	s_sub_i32 s23, 0, s14
	s_cmp_lg_u32 s24, 0
	s_subb_u32 s23, s23, s21
	s_cmp_lg_u32 s25, 0
	v_readfirstlane_b32 s25, v2
	s_subb_u32 s23, s23, 0
	s_delay_alu instid0(SALU_CYCLE_1) | instskip(SKIP_1) | instid1(VALU_DEP_1)
	s_cmp_ge_u32 s23, s21
	s_cselect_b32 s26, -1, 0
	s_cmp_ge_u32 s25, s20
	s_cselect_b32 s25, -1, 0
	s_cmp_eq_u32 s23, s21
	s_cselect_b32 s23, s25, s26
	s_add_u32 s25, s7, 1
	s_addc_u32 s26, s11, 0
	s_add_u32 s27, s7, 2
	s_addc_u32 s28, s11, 0
	s_cmp_lg_u32 s23, 0
	s_cselect_b32 s23, s27, s25
	s_cselect_b32 s25, s28, s26
	s_cmp_lg_u32 s24, 0
	v_readfirstlane_b32 s24, v1
	s_subb_u32 s14, 0, s14
	s_delay_alu instid0(SALU_CYCLE_1) | instskip(SKIP_1) | instid1(VALU_DEP_1)
	s_cmp_ge_u32 s14, s21
	s_cselect_b32 s26, -1, 0
	s_cmp_ge_u32 s24, s20
	s_cselect_b32 s20, -1, 0
	s_cmp_eq_u32 s14, s21
	s_cselect_b32 s14, s20, s26
	s_delay_alu instid0(SALU_CYCLE_1) | instskip(SKIP_2) | instid1(SALU_CYCLE_1)
	s_cmp_lg_u32 s14, 0
	s_cselect_b32 s21, s25, s11
	s_cselect_b32 s20, s23, s7
	s_xor_b64 s[20:21], s[20:21], s[12:13]
	s_delay_alu instid0(SALU_CYCLE_1)
	s_sub_u32 s26, s20, s12
	s_subb_u32 s27, s21, s12
	s_load_b64 s[24:25], s[0:1], 0x38
	s_and_not1_b32 vcc_lo, exec_lo, s10
	s_cbranch_vccnz .LBB92_5
.LBB92_4:
	v_cvt_f32_u32_e32 v1, s16
	s_sub_i32 s10, 0, s16
	s_mov_b32 s27, 0
	s_delay_alu instid0(VALU_DEP_1) | instskip(SKIP_2) | instid1(VALU_DEP_1)
	v_rcp_iflag_f32_e32 v1, v1
	s_waitcnt_depctr 0xfff
	v_mul_f32_e32 v1, 0x4f7ffffe, v1
	v_cvt_u32_f32_e32 v1, v1
	s_delay_alu instid0(VALU_DEP_1) | instskip(NEXT) | instid1(VALU_DEP_1)
	v_readfirstlane_b32 s7, v1
	s_mul_i32 s10, s10, s7
	s_delay_alu instid0(SALU_CYCLE_1) | instskip(NEXT) | instid1(SALU_CYCLE_1)
	s_mul_hi_u32 s10, s7, s10
	s_add_i32 s7, s7, s10
	s_delay_alu instid0(SALU_CYCLE_1) | instskip(NEXT) | instid1(SALU_CYCLE_1)
	s_mul_hi_u32 s7, s15, s7
	s_mul_i32 s10, s7, s16
	s_add_i32 s11, s7, 1
	s_sub_i32 s10, s15, s10
	s_delay_alu instid0(SALU_CYCLE_1)
	s_sub_i32 s12, s10, s16
	s_cmp_ge_u32 s10, s16
	s_cselect_b32 s7, s11, s7
	s_cselect_b32 s10, s12, s10
	s_add_i32 s11, s7, 1
	s_cmp_ge_u32 s10, s16
	s_cselect_b32 s26, s11, s7
.LBB92_5:
	s_delay_alu instid0(SALU_CYCLE_1)
	s_mul_i32 s7, s26, s17
	s_mul_hi_u32 s10, s26, s16
	v_mov_b32_e32 v1, 0
	s_add_i32 s7, s10, s7
	s_mul_i32 s10, s27, s16
	s_mul_i32 s16, s26, s16
	s_add_i32 s17, s7, s10
	s_sub_u32 s10, s15, s16
	s_subb_u32 s11, 0, s17
	v_mov_b32_e32 v8, v1
	s_lshl_b64 s[10:11], s[10:11], 3
	s_waitcnt lgkmcnt(0)
	s_add_u32 s8, s8, s10
	s_addc_u32 s9, s9, s11
	s_load_b64 s[20:21], s[8:9], 0x0
	s_load_b128 s[8:11], s[0:1], 0x40
	s_waitcnt lgkmcnt(0)
	s_lshl_b64 s[12:13], s[20:21], 3
	s_mul_i32 s7, s21, s8
	s_add_u32 s2, s2, s12
	s_addc_u32 s3, s3, s13
	s_load_b128 s[12:15], s[2:3], 0x0
	s_lshl_b64 s[2:3], s[26:27], 10
	s_delay_alu instid0(SALU_CYCLE_1) | instskip(SKIP_3) | instid1(SALU_CYCLE_1)
	v_or_b32_e32 v2, s2, v0
	v_mov_b32_e32 v3, s3
	s_mul_i32 s2, s20, s9
	s_mul_hi_u32 s3, s20, s8
	s_add_i32 s3, s3, s2
	s_delay_alu instid0(VALU_DEP_1) | instskip(SKIP_2) | instid1(VALU_DEP_1)
	v_cmp_gt_i64_e64 s2, s[18:19], v[2:3]
	s_add_i32 s19, s3, s7
	s_mul_i32 s18, s20, s8
	s_and_saveexec_b32 s3, s2
	s_cbranch_execz .LBB92_7
; %bb.6:
	v_add_co_u32 v4, vcc_lo, v2, s18
	v_add_co_ci_u32_e32 v5, vcc_lo, s19, v3, vcc_lo
	s_delay_alu instid0(VALU_DEP_1) | instskip(NEXT) | instid1(VALU_DEP_1)
	v_lshlrev_b64 v[4:5], 2, v[4:5]
	v_add_co_u32 v4, vcc_lo, s24, v4
	s_delay_alu instid0(VALU_DEP_2)
	v_add_co_ci_u32_e32 v5, vcc_lo, s25, v5, vcc_lo
	global_load_b32 v4, v[4:5], off
	s_waitcnt vmcnt(0)
	v_mul_f32_e32 v8, s22, v4
.LBB92_7:
	s_or_b32 exec_lo, exec_lo, s3
	v_lshlrev_b64 v[2:3], 2, v[2:3]
	s_waitcnt lgkmcnt(0)
	v_cmp_ge_i64_e64 s3, s[12:13], s[14:15]
	s_delay_alu instid0(VALU_DEP_2) | instskip(NEXT) | instid1(VALU_DEP_3)
	v_add_co_u32 v4, vcc_lo, s24, v2
	v_add_co_ci_u32_e32 v5, vcc_lo, s25, v3, vcc_lo
	s_delay_alu instid0(VALU_DEP_3)
	s_and_b32 vcc_lo, exec_lo, s3
	v_mov_b32_e32 v3, 1.0
	v_cmp_eq_u32_e64 s3, 0, v0
	s_cbranch_vccnz .LBB92_48
; %bb.8:
	s_clause 0x1
	s_load_b128 s[24:27], s[0:1], 0x28
	s_load_b64 s[22:23], s[0:1], 0x58
	s_lshl_b64 s[0:1], s[16:17], 2
	v_dual_mov_b32 v13, 0 :: v_dual_lshlrev_b32 v6, 3, v0
	s_add_u32 s7, s10, s0
	s_addc_u32 s33, s11, s1
	v_lshlrev_b32_e32 v2, 2, v0
	s_sub_u32 s12, s12, s4
	s_subb_u32 s13, s13, 0
	s_sub_u32 s14, s14, s4
	s_subb_u32 s15, s15, 0
	s_cmp_lg_u32 s6, 0
	v_or_b32_e32 v7, 0x2000, v2
	s_cselect_b32 s34, -1, 0
	v_mov_b32_e32 v14, 1.0
	s_waitcnt lgkmcnt(0)
	v_add_co_u32 v9, s0, s24, v6
	s_delay_alu instid0(VALU_DEP_1)
	v_add_co_ci_u32_e64 v10, null, s25, 0, s0
	v_add_co_u32 v11, s0, s26, v2
	s_add_u32 s24, s20, s4
	v_add_co_ci_u32_e64 v12, null, s27, 0, s0
	v_cmp_ne_u32_e64 s0, 0, v0
	s_addc_u32 s25, s21, 0
	s_cmp_eq_u32 s6, 0
	s_mov_b64 s[26:27], s[12:13]
	s_cselect_b32 s1, -1, 0
	s_branch .LBB92_10
.LBB92_9:                               ;   in Loop: Header=BB92_10 Depth=1
	s_add_u32 s26, s26, 1
	s_addc_u32 s27, s27, 0
	s_delay_alu instid0(SALU_CYCLE_1) | instskip(SKIP_2) | instid1(VALU_DEP_3)
	v_cmp_ge_i64_e64 s13, s[26:27], s[14:15]
	v_mov_b32_e32 v8, v15
	v_mov_b32_e32 v14, v3
	s_and_not1_b32 vcc_lo, exec_lo, s13
	s_cbranch_vccz .LBB92_49
.LBB92_10:                              ; =>This Loop Header: Depth=1
                                        ;     Child Loop BB92_46 Depth 2
                                        ;       Child Loop BB92_47 Depth 3
	s_sub_i32 s13, s26, s12
	s_delay_alu instid0(SALU_CYCLE_1) | instskip(NEXT) | instid1(SALU_CYCLE_1)
	s_and_b32 s13, s13, 0x3ff
	s_cmp_lg_u32 s13, 0
	s_cbranch_scc1 .LBB92_14
; %bb.11:                               ;   in Loop: Header=BB92_10 Depth=1
	s_sub_u32 s28, s14, s26
	s_subb_u32 s29, s15, s27
	v_dual_mov_b32 v2, -1 :: v_dual_mov_b32 v15, -1.0
	v_cmp_gt_i64_e32 vcc_lo, s[28:29], v[0:1]
	v_mov_b32_e32 v3, -1
	s_and_saveexec_b32 s28, vcc_lo
	s_cbranch_execz .LBB92_13
; %bb.12:                               ;   in Loop: Header=BB92_10 Depth=1
	s_lshl_b64 s[30:31], s[26:27], 3
	s_delay_alu instid0(SALU_CYCLE_1) | instskip(SKIP_2) | instid1(SALU_CYCLE_1)
	v_add_co_u32 v2, vcc_lo, v9, s30
	v_add_co_ci_u32_e32 v3, vcc_lo, s31, v10, vcc_lo
	s_lshl_b64 s[30:31], s[26:27], 2
	v_add_co_u32 v15, vcc_lo, v11, s30
	global_load_b64 v[2:3], v[2:3], off
	v_add_co_ci_u32_e32 v16, vcc_lo, s31, v12, vcc_lo
	global_load_b32 v15, v[15:16], off
	s_waitcnt vmcnt(1)
	v_sub_co_u32 v2, vcc_lo, v2, s4
	v_subrev_co_ci_u32_e32 v3, vcc_lo, 0, v3, vcc_lo
.LBB92_13:                              ;   in Loop: Header=BB92_10 Depth=1
	s_or_b32 exec_lo, exec_lo, s28
	ds_store_b64 v6, v[2:3]
	s_waitcnt vmcnt(0)
	ds_store_b32 v7, v15
.LBB92_14:                              ;   in Loop: Header=BB92_10 Depth=1
	s_lshl_b32 s28, s13, 3
	s_lshl_b32 s13, s13, 2
	s_delay_alu instid0(SALU_CYCLE_1)
	v_dual_mov_b32 v2, s28 :: v_dual_mov_b32 v15, s13
	s_waitcnt lgkmcnt(0)
	s_waitcnt_vscnt null, 0x0
	s_barrier
	buffer_gl0_inv
	ds_load_b64 v[2:3], v2
	ds_load_b32 v15, v15 offset:8192
	s_waitcnt lgkmcnt(1)
	v_readfirstlane_b32 s28, v2
	v_readfirstlane_b32 s29, v3
	s_waitcnt lgkmcnt(0)
	v_cmp_neq_f32_e32 vcc_lo, 0, v15
	s_delay_alu instid0(VALU_DEP_2) | instskip(SKIP_1) | instid1(SALU_CYCLE_1)
	s_cmp_lg_u64 s[28:29], s[20:21]
	s_cselect_b32 s13, -1, 0
	s_or_b32 s13, s34, s13
	s_delay_alu instid0(SALU_CYCLE_1) | instskip(SKIP_2) | instid1(SALU_CYCLE_1)
	s_or_b32 vcc_lo, vcc_lo, s13
	v_cndmask_b32_e32 v2, 1.0, v15, vcc_lo
	s_or_b32 s13, s0, vcc_lo
	s_xor_b32 s30, s13, -1
	s_delay_alu instid0(SALU_CYCLE_1)
	s_and_saveexec_b32 s13, s30
	s_cbranch_execz .LBB92_18
; %bb.15:                               ;   in Loop: Header=BB92_10 Depth=1
	v_mbcnt_lo_u32_b32 v2, exec_lo, 0
	s_mov_b32 s30, exec_lo
	s_delay_alu instid0(VALU_DEP_1)
	v_cmpx_eq_u32_e32 0, v2
	s_cbranch_execz .LBB92_17
; %bb.16:                               ;   in Loop: Header=BB92_10 Depth=1
	v_dual_mov_b32 v2, s24 :: v_dual_mov_b32 v3, s25
	global_atomic_min_u64 v13, v[2:3], s[22:23]
.LBB92_17:                              ;   in Loop: Header=BB92_10 Depth=1
	s_or_b32 exec_lo, exec_lo, s30
	v_mov_b32_e32 v2, 1.0
.LBB92_18:                              ;   in Loop: Header=BB92_10 Depth=1
	s_or_b32 exec_lo, exec_lo, s13
	s_cmp_lt_i32 s5, 1
	s_mov_b32 s13, 0
	s_cbranch_scc1 .LBB92_23
; %bb.19:                               ;   in Loop: Header=BB92_10 Depth=1
	s_cmp_eq_u32 s5, 1
	s_cbranch_scc0 .LBB92_24
; %bb.20:                               ;   in Loop: Header=BB92_10 Depth=1
	v_cmp_ge_i64_e64 s30, s[28:29], s[20:21]
	v_mov_b32_e32 v3, v14
	s_delay_alu instid0(VALU_DEP_2)
	s_and_b32 vcc_lo, exec_lo, s30
	s_mov_b32 s30, 0
	s_cbranch_vccz .LBB92_26
; %bb.21:                               ;   in Loop: Header=BB92_10 Depth=1
	s_cmp_eq_u64 s[28:29], s[20:21]
	s_cbranch_scc0 .LBB92_25
; %bb.22:                               ;   in Loop: Header=BB92_10 Depth=1
	v_div_scale_f32 v3, null, v2, v2, 1.0
	s_delay_alu instid0(VALU_DEP_1) | instskip(SKIP_2) | instid1(VALU_DEP_1)
	v_rcp_f32_e32 v15, v3
	s_waitcnt_depctr 0xfff
	v_fma_f32 v16, -v3, v15, 1.0
	v_fmac_f32_e32 v15, v16, v15
	v_div_scale_f32 v16, vcc_lo, 1.0, v2, 1.0
	s_delay_alu instid0(VALU_DEP_1) | instskip(NEXT) | instid1(VALU_DEP_1)
	v_mul_f32_e32 v17, v16, v15
	v_fma_f32 v18, -v3, v17, v16
	s_delay_alu instid0(VALU_DEP_1) | instskip(NEXT) | instid1(VALU_DEP_1)
	v_fmac_f32_e32 v17, v18, v15
	v_fma_f32 v3, -v3, v17, v16
	s_delay_alu instid0(VALU_DEP_1) | instskip(NEXT) | instid1(VALU_DEP_1)
	v_div_fmas_f32 v3, v3, v15, v17
	v_div_fixup_f32 v3, v3, v2, 1.0
	s_delay_alu instid0(VALU_DEP_1)
	v_cndmask_b32_e64 v3, v14, v3, s1
	s_branch .LBB92_26
.LBB92_23:                              ;   in Loop: Header=BB92_10 Depth=1
	s_mov_b32 s30, 0
                                        ; implicit-def: $vgpr15
                                        ; implicit-def: $vgpr3
                                        ; implicit-def: $sgpr31
	s_cbranch_execnz .LBB92_27
	s_branch .LBB92_29
.LBB92_24:                              ;   in Loop: Header=BB92_10 Depth=1
	s_mov_b32 s30, -1
                                        ; implicit-def: $vgpr15
                                        ; implicit-def: $vgpr3
                                        ; implicit-def: $sgpr31
	s_branch .LBB92_29
.LBB92_25:                              ;   in Loop: Header=BB92_10 Depth=1
	s_mov_b32 s30, -1
                                        ; implicit-def: $vgpr3
.LBB92_26:                              ;   in Loop: Header=BB92_10 Depth=1
	v_mov_b32_e32 v15, v8
	s_mov_b32 s31, 4
	s_branch .LBB92_29
.LBB92_27:                              ;   in Loop: Header=BB92_10 Depth=1
	s_cmp_eq_u32 s5, 0
	s_cbranch_scc1 .LBB92_33
; %bb.28:                               ;   in Loop: Header=BB92_10 Depth=1
	s_mov_b32 s30, -1
                                        ; implicit-def: $vgpr15
                                        ; implicit-def: $vgpr3
                                        ; implicit-def: $sgpr31
.LBB92_29:                              ;   in Loop: Header=BB92_10 Depth=1
	s_delay_alu instid0(SALU_CYCLE_1)
	s_and_b32 vcc_lo, exec_lo, s30
	s_cbranch_vccnz .LBB92_36
.LBB92_30:                              ;   in Loop: Header=BB92_10 Depth=1
	s_and_b32 vcc_lo, exec_lo, s13
	s_cbranch_vccnz .LBB92_41
.LBB92_31:                              ;   in Loop: Header=BB92_10 Depth=1
	s_cmp_gt_i32 s31, 3
	s_mov_b32 s13, -1
	s_cbranch_scc1 .LBB92_42
.LBB92_32:                              ;   in Loop: Header=BB92_10 Depth=1
	s_cmp_eq_u32 s31, 0
	s_cselect_b32 s28, -1, 0
	s_delay_alu instid0(SALU_CYCLE_1)
	s_and_not1_b32 vcc_lo, exec_lo, s28
	s_cbranch_vccz .LBB92_9
	s_branch .LBB92_43
.LBB92_33:                              ;   in Loop: Header=BB92_10 Depth=1
	v_cmp_le_i64_e64 s30, s[28:29], s[20:21]
	s_delay_alu instid0(VALU_DEP_1)
	s_and_b32 vcc_lo, exec_lo, s30
	s_mov_b32 s30, 0
	s_cbranch_vccz .LBB92_35
; %bb.34:                               ;   in Loop: Header=BB92_10 Depth=1
	s_cmp_lg_u64 s[28:29], s[20:21]
	s_mov_b32 s13, -1
	s_cselect_b32 s30, -1, 0
.LBB92_35:                              ;   in Loop: Header=BB92_10 Depth=1
	v_mov_b32_e32 v15, v8
	v_mov_b32_e32 v3, v14
	s_mov_b32 s31, 2
	s_and_b32 vcc_lo, exec_lo, s30
	s_cbranch_vccz .LBB92_30
.LBB92_36:                              ;   in Loop: Header=BB92_10 Depth=1
	s_and_saveexec_b32 s13, s3
	s_cbranch_execz .LBB92_38
; %bb.37:                               ;   in Loop: Header=BB92_10 Depth=1
	s_lshl_b64 s[30:31], s[28:29], 2
	s_delay_alu instid0(SALU_CYCLE_1)
	s_add_u32 s30, s7, s30
	s_addc_u32 s31, s33, s31
	global_load_b32 v3, v13, s[30:31] glc
	s_waitcnt vmcnt(0)
	v_cmp_ne_u32_e32 vcc_lo, 0, v3
	s_cbranch_vccz .LBB92_44
.LBB92_38:                              ;   in Loop: Header=BB92_10 Depth=1
	s_or_b32 exec_lo, exec_lo, s13
	v_mov_b32_e32 v15, 0
	s_waitcnt_vscnt null, 0x0
	s_barrier
	buffer_gl0_inv
	buffer_gl1_inv
	buffer_gl0_inv
	s_and_saveexec_b32 s13, s2
	s_cbranch_execz .LBB92_40
; %bb.39:                               ;   in Loop: Header=BB92_10 Depth=1
	s_mul_i32 s30, s28, s9
	s_mul_hi_u32 s31, s28, s8
	s_mul_i32 s29, s29, s8
	s_add_i32 s30, s31, s30
	s_mul_i32 s28, s28, s8
	s_add_i32 s29, s30, s29
	s_delay_alu instid0(SALU_CYCLE_1) | instskip(NEXT) | instid1(SALU_CYCLE_1)
	s_lshl_b64 s[28:29], s[28:29], 2
	v_add_co_u32 v15, vcc_lo, v4, s28
	v_add_co_ci_u32_e32 v16, vcc_lo, s29, v5, vcc_lo
	global_load_b32 v3, v[15:16], off
	s_waitcnt vmcnt(0)
	v_fma_f32 v15, -v2, v3, v8
.LBB92_40:                              ;   in Loop: Header=BB92_10 Depth=1
	s_or_b32 exec_lo, exec_lo, s13
	v_mov_b32_e32 v3, v14
	s_mov_b32 s31, 0
	s_branch .LBB92_31
.LBB92_41:                              ;   in Loop: Header=BB92_10 Depth=1
	v_div_scale_f32 v3, null, v2, v2, 1.0
	v_div_scale_f32 v17, vcc_lo, 1.0, v2, 1.0
	s_mov_b32 s31, 2
	s_delay_alu instid0(VALU_DEP_2) | instskip(SKIP_2) | instid1(VALU_DEP_1)
	v_rcp_f32_e32 v15, v3
	s_waitcnt_depctr 0xfff
	v_fma_f32 v16, -v3, v15, 1.0
	v_fmac_f32_e32 v15, v16, v15
	s_delay_alu instid0(VALU_DEP_1) | instskip(NEXT) | instid1(VALU_DEP_1)
	v_mul_f32_e32 v16, v17, v15
	v_fma_f32 v18, -v3, v16, v17
	s_delay_alu instid0(VALU_DEP_1) | instskip(NEXT) | instid1(VALU_DEP_1)
	v_fmac_f32_e32 v16, v18, v15
	v_fma_f32 v3, -v3, v16, v17
	s_delay_alu instid0(VALU_DEP_1) | instskip(SKIP_1) | instid1(VALU_DEP_2)
	v_div_fmas_f32 v3, v3, v15, v16
	v_mov_b32_e32 v15, v8
	v_div_fixup_f32 v2, v3, v2, 1.0
	s_delay_alu instid0(VALU_DEP_1)
	v_cndmask_b32_e64 v3, v14, v2, s1
	s_cmp_gt_i32 s31, 3
	s_mov_b32 s13, -1
	s_cbranch_scc0 .LBB92_32
.LBB92_42:                              ;   in Loop: Header=BB92_10 Depth=1
	s_branch .LBB92_9
.LBB92_43:                              ;   in Loop: Header=BB92_10 Depth=1
                                        ; implicit-def: $sgpr26_sgpr27
	v_mov_b32_e32 v8, v15
	v_mov_b32_e32 v14, v3
	s_and_not1_b32 vcc_lo, exec_lo, s13
	s_cbranch_vccnz .LBB92_10
	s_branch .LBB92_49
.LBB92_44:                              ;   in Loop: Header=BB92_10 Depth=1
	s_mov_b32 s35, 0
	s_branch .LBB92_46
	.p2align	6
.LBB92_45:                              ;   in Loop: Header=BB92_46 Depth=2
	global_load_b32 v3, v13, s[30:31] glc
	s_cmpk_lt_u32 s35, 0xf43
	s_cselect_b32 s36, -1, 0
	s_delay_alu instid0(SALU_CYCLE_1)
	s_cmp_lg_u32 s36, 0
	s_addc_u32 s35, s35, 0
	s_waitcnt vmcnt(0)
	v_cmp_ne_u32_e32 vcc_lo, 0, v3
	s_cbranch_vccnz .LBB92_38
.LBB92_46:                              ;   Parent Loop BB92_10 Depth=1
                                        ; =>  This Loop Header: Depth=2
                                        ;       Child Loop BB92_47 Depth 3
	s_cmp_eq_u32 s35, 0
	s_mov_b32 s36, s35
	s_cbranch_scc1 .LBB92_45
.LBB92_47:                              ;   Parent Loop BB92_10 Depth=1
                                        ;     Parent Loop BB92_46 Depth=2
                                        ; =>    This Inner Loop Header: Depth=3
	s_add_i32 s36, s36, -1
	s_sleep 1
	s_cmp_eq_u32 s36, 0
	s_cbranch_scc0 .LBB92_47
	s_branch .LBB92_45
.LBB92_48:
	v_mov_b32_e32 v15, v8
.LBB92_49:
	s_and_saveexec_b32 s0, s2
	s_cbranch_execz .LBB92_51
; %bb.50:
	s_delay_alu instid0(VALU_DEP_1) | instskip(SKIP_3) | instid1(VALU_DEP_1)
	v_mul_f32_e32 v1, v3, v15
	s_cmp_eq_u32 s6, 0
	s_cselect_b32 vcc_lo, -1, 0
	s_lshl_b64 s[2:3], s[18:19], 2
	v_cndmask_b32_e32 v3, v15, v1, vcc_lo
	v_add_co_u32 v1, vcc_lo, v4, s2
	v_add_co_ci_u32_e32 v2, vcc_lo, s3, v5, vcc_lo
	global_store_b32 v[1:2], v3, off
.LBB92_51:
	s_or_b32 exec_lo, exec_lo, s0
	s_waitcnt_vscnt null, 0x0
	buffer_gl1_inv
	buffer_gl0_inv
	s_barrier
	buffer_gl0_inv
	s_mov_b32 s0, exec_lo
	v_cmpx_eq_u32_e32 0, v0
	s_cbranch_execz .LBB92_53
; %bb.52:
	s_lshl_b64 s[0:1], s[20:21], 2
	v_dual_mov_b32 v0, 0 :: v_dual_mov_b32 v1, 1
	s_add_u32 s2, s10, s0
	s_addc_u32 s3, s11, s1
	s_lshl_b64 s[0:1], s[16:17], 2
	s_delay_alu instid0(SALU_CYCLE_1)
	s_add_u32 s0, s2, s0
	s_addc_u32 s1, s3, s1
	global_store_b32 v0, v1, s[0:1]
.LBB92_53:
	s_nop 0
	s_sendmsg sendmsg(MSG_DEALLOC_VGPRS)
	s_endpgm
.LBB92_54:
                                        ; implicit-def: $sgpr26_sgpr27
	s_load_b64 s[24:25], s[0:1], 0x38
	s_branch .LBB92_4
	.section	.rodata,"a",@progbits
	.p2align	6, 0x0
	.amdhsa_kernel _ZN9rocsparseL5csrsmILj1024ELj64ELb1EllfEEv20rocsparse_operation_T3_S2_NS_24const_host_device_scalarIT4_EEPKT2_PKS2_PKS4_PS4_lPiSA_PS2_21rocsparse_index_base_20rocsparse_fill_mode_20rocsparse_diag_type_b
		.amdhsa_group_segment_fixed_size 12288
		.amdhsa_private_segment_fixed_size 0
		.amdhsa_kernarg_size 112
		.amdhsa_user_sgpr_count 15
		.amdhsa_user_sgpr_dispatch_ptr 0
		.amdhsa_user_sgpr_queue_ptr 0
		.amdhsa_user_sgpr_kernarg_segment_ptr 1
		.amdhsa_user_sgpr_dispatch_id 0
		.amdhsa_user_sgpr_private_segment_size 0
		.amdhsa_wavefront_size32 1
		.amdhsa_uses_dynamic_stack 0
		.amdhsa_enable_private_segment 0
		.amdhsa_system_sgpr_workgroup_id_x 1
		.amdhsa_system_sgpr_workgroup_id_y 0
		.amdhsa_system_sgpr_workgroup_id_z 0
		.amdhsa_system_sgpr_workgroup_info 0
		.amdhsa_system_vgpr_workitem_id 0
		.amdhsa_next_free_vgpr 19
		.amdhsa_next_free_sgpr 37
		.amdhsa_reserve_vcc 1
		.amdhsa_float_round_mode_32 0
		.amdhsa_float_round_mode_16_64 0
		.amdhsa_float_denorm_mode_32 3
		.amdhsa_float_denorm_mode_16_64 3
		.amdhsa_dx10_clamp 1
		.amdhsa_ieee_mode 1
		.amdhsa_fp16_overflow 0
		.amdhsa_workgroup_processor_mode 1
		.amdhsa_memory_ordered 1
		.amdhsa_forward_progress 0
		.amdhsa_shared_vgpr_count 0
		.amdhsa_exception_fp_ieee_invalid_op 0
		.amdhsa_exception_fp_denorm_src 0
		.amdhsa_exception_fp_ieee_div_zero 0
		.amdhsa_exception_fp_ieee_overflow 0
		.amdhsa_exception_fp_ieee_underflow 0
		.amdhsa_exception_fp_ieee_inexact 0
		.amdhsa_exception_int_div_zero 0
	.end_amdhsa_kernel
	.section	.text._ZN9rocsparseL5csrsmILj1024ELj64ELb1EllfEEv20rocsparse_operation_T3_S2_NS_24const_host_device_scalarIT4_EEPKT2_PKS2_PKS4_PS4_lPiSA_PS2_21rocsparse_index_base_20rocsparse_fill_mode_20rocsparse_diag_type_b,"axG",@progbits,_ZN9rocsparseL5csrsmILj1024ELj64ELb1EllfEEv20rocsparse_operation_T3_S2_NS_24const_host_device_scalarIT4_EEPKT2_PKS2_PKS4_PS4_lPiSA_PS2_21rocsparse_index_base_20rocsparse_fill_mode_20rocsparse_diag_type_b,comdat
.Lfunc_end92:
	.size	_ZN9rocsparseL5csrsmILj1024ELj64ELb1EllfEEv20rocsparse_operation_T3_S2_NS_24const_host_device_scalarIT4_EEPKT2_PKS2_PKS4_PS4_lPiSA_PS2_21rocsparse_index_base_20rocsparse_fill_mode_20rocsparse_diag_type_b, .Lfunc_end92-_ZN9rocsparseL5csrsmILj1024ELj64ELb1EllfEEv20rocsparse_operation_T3_S2_NS_24const_host_device_scalarIT4_EEPKT2_PKS2_PKS4_PS4_lPiSA_PS2_21rocsparse_index_base_20rocsparse_fill_mode_20rocsparse_diag_type_b
                                        ; -- End function
	.section	.AMDGPU.csdata,"",@progbits
; Kernel info:
; codeLenInByte = 2492
; NumSgprs: 39
; NumVgprs: 19
; ScratchSize: 0
; MemoryBound: 0
; FloatMode: 240
; IeeeMode: 1
; LDSByteSize: 12288 bytes/workgroup (compile time only)
; SGPRBlocks: 4
; VGPRBlocks: 2
; NumSGPRsForWavesPerEU: 39
; NumVGPRsForWavesPerEU: 19
; Occupancy: 16
; WaveLimiterHint : 1
; COMPUTE_PGM_RSRC2:SCRATCH_EN: 0
; COMPUTE_PGM_RSRC2:USER_SGPR: 15
; COMPUTE_PGM_RSRC2:TRAP_HANDLER: 0
; COMPUTE_PGM_RSRC2:TGID_X_EN: 1
; COMPUTE_PGM_RSRC2:TGID_Y_EN: 0
; COMPUTE_PGM_RSRC2:TGID_Z_EN: 0
; COMPUTE_PGM_RSRC2:TIDIG_COMP_CNT: 0
	.section	.text._ZN9rocsparseL5csrsmILj1024ELj64ELb0EllfEEv20rocsparse_operation_T3_S2_NS_24const_host_device_scalarIT4_EEPKT2_PKS2_PKS4_PS4_lPiSA_PS2_21rocsparse_index_base_20rocsparse_fill_mode_20rocsparse_diag_type_b,"axG",@progbits,_ZN9rocsparseL5csrsmILj1024ELj64ELb0EllfEEv20rocsparse_operation_T3_S2_NS_24const_host_device_scalarIT4_EEPKT2_PKS2_PKS4_PS4_lPiSA_PS2_21rocsparse_index_base_20rocsparse_fill_mode_20rocsparse_diag_type_b,comdat
	.globl	_ZN9rocsparseL5csrsmILj1024ELj64ELb0EllfEEv20rocsparse_operation_T3_S2_NS_24const_host_device_scalarIT4_EEPKT2_PKS2_PKS4_PS4_lPiSA_PS2_21rocsparse_index_base_20rocsparse_fill_mode_20rocsparse_diag_type_b ; -- Begin function _ZN9rocsparseL5csrsmILj1024ELj64ELb0EllfEEv20rocsparse_operation_T3_S2_NS_24const_host_device_scalarIT4_EEPKT2_PKS2_PKS4_PS4_lPiSA_PS2_21rocsparse_index_base_20rocsparse_fill_mode_20rocsparse_diag_type_b
	.p2align	8
	.type	_ZN9rocsparseL5csrsmILj1024ELj64ELb0EllfEEv20rocsparse_operation_T3_S2_NS_24const_host_device_scalarIT4_EEPKT2_PKS2_PKS4_PS4_lPiSA_PS2_21rocsparse_index_base_20rocsparse_fill_mode_20rocsparse_diag_type_b,@function
_ZN9rocsparseL5csrsmILj1024ELj64ELb0EllfEEv20rocsparse_operation_T3_S2_NS_24const_host_device_scalarIT4_EEPKT2_PKS2_PKS4_PS4_lPiSA_PS2_21rocsparse_index_base_20rocsparse_fill_mode_20rocsparse_diag_type_b: ; @_ZN9rocsparseL5csrsmILj1024ELj64ELb0EllfEEv20rocsparse_operation_T3_S2_NS_24const_host_device_scalarIT4_EEPKT2_PKS2_PKS4_PS4_lPiSA_PS2_21rocsparse_index_base_20rocsparse_fill_mode_20rocsparse_diag_type_b
; %bb.0:
	s_clause 0x2
	s_load_b128 s[4:7], s[0:1], 0x60
	s_load_b128 s[16:19], s[0:1], 0x8
	s_load_b64 s[22:23], s[0:1], 0x18
	s_waitcnt lgkmcnt(0)
	s_bitcmp1_b32 s7, 0
	s_cselect_b32 s2, -1, 0
	s_delay_alu instid0(SALU_CYCLE_1)
	s_and_b32 vcc_lo, exec_lo, s2
	s_cbranch_vccnz .LBB93_2
; %bb.1:
	s_load_b32 s22, s[22:23], 0x0
.LBB93_2:
	s_clause 0x1
	s_load_b64 s[8:9], s[0:1], 0x50
	s_load_b64 s[2:3], s[0:1], 0x20
	s_mov_b32 s10, 0
	s_mov_b32 s11, s17
	s_delay_alu instid0(SALU_CYCLE_1)
	s_cmp_lg_u64 s[10:11], 0
	s_cbranch_scc0 .LBB93_51
; %bb.3:
	s_ashr_i32 s12, s17, 31
	s_delay_alu instid0(SALU_CYCLE_1) | instskip(SKIP_2) | instid1(SALU_CYCLE_1)
	s_add_u32 s20, s16, s12
	s_mov_b32 s13, s12
	s_addc_u32 s21, s17, s12
	s_xor_b64 s[20:21], s[20:21], s[12:13]
	s_delay_alu instid0(SALU_CYCLE_1) | instskip(SKIP_3) | instid1(VALU_DEP_1)
	v_cvt_f32_u32_e32 v1, s20
	v_cvt_f32_u32_e32 v2, s21
	s_sub_u32 s14, 0, s20
	s_subb_u32 s23, 0, s21
	v_fmamk_f32 v1, v2, 0x4f800000, v1
	s_delay_alu instid0(VALU_DEP_1) | instskip(SKIP_2) | instid1(VALU_DEP_1)
	v_rcp_f32_e32 v1, v1
	s_waitcnt_depctr 0xfff
	v_mul_f32_e32 v1, 0x5f7ffffc, v1
	v_mul_f32_e32 v2, 0x2f800000, v1
	s_delay_alu instid0(VALU_DEP_1) | instskip(NEXT) | instid1(VALU_DEP_1)
	v_trunc_f32_e32 v2, v2
	v_fmamk_f32 v1, v2, 0xcf800000, v1
	v_cvt_u32_f32_e32 v2, v2
	s_delay_alu instid0(VALU_DEP_2) | instskip(NEXT) | instid1(VALU_DEP_2)
	v_cvt_u32_f32_e32 v1, v1
	v_readfirstlane_b32 s7, v2
	s_delay_alu instid0(VALU_DEP_2) | instskip(NEXT) | instid1(VALU_DEP_2)
	v_readfirstlane_b32 s11, v1
	s_mul_i32 s24, s14, s7
	s_delay_alu instid0(VALU_DEP_1)
	s_mul_hi_u32 s26, s14, s11
	s_mul_i32 s25, s23, s11
	s_add_i32 s24, s26, s24
	s_mul_i32 s27, s14, s11
	s_add_i32 s24, s24, s25
	s_mul_hi_u32 s26, s11, s27
	s_mul_hi_u32 s28, s7, s27
	s_mul_i32 s25, s7, s27
	s_mul_hi_u32 s27, s11, s24
	s_mul_i32 s11, s11, s24
	s_mul_hi_u32 s29, s7, s24
	s_add_u32 s11, s26, s11
	s_addc_u32 s26, 0, s27
	s_add_u32 s11, s11, s25
	s_mul_i32 s24, s7, s24
	s_addc_u32 s11, s26, s28
	s_addc_u32 s25, s29, 0
	s_add_u32 s11, s11, s24
	s_addc_u32 s24, 0, s25
	v_add_co_u32 v1, s11, v1, s11
	s_delay_alu instid0(VALU_DEP_1) | instskip(SKIP_1) | instid1(VALU_DEP_1)
	s_cmp_lg_u32 s11, 0
	s_addc_u32 s7, s7, s24
	v_readfirstlane_b32 s11, v1
	s_mul_i32 s24, s14, s7
	s_delay_alu instid0(VALU_DEP_1)
	s_mul_hi_u32 s25, s14, s11
	s_mul_i32 s23, s23, s11
	s_add_i32 s24, s25, s24
	s_mul_i32 s14, s14, s11
	s_add_i32 s24, s24, s23
	s_mul_hi_u32 s25, s7, s14
	s_mul_i32 s26, s7, s14
	s_mul_hi_u32 s14, s11, s14
	s_mul_hi_u32 s27, s11, s24
	s_mul_i32 s11, s11, s24
	s_mul_hi_u32 s23, s7, s24
	s_add_u32 s11, s14, s11
	s_addc_u32 s14, 0, s27
	s_add_u32 s11, s11, s26
	s_mul_i32 s24, s7, s24
	s_addc_u32 s11, s14, s25
	s_addc_u32 s14, s23, 0
	s_add_u32 s11, s11, s24
	s_addc_u32 s14, 0, s14
	v_add_co_u32 v1, s11, v1, s11
	s_delay_alu instid0(VALU_DEP_1) | instskip(SKIP_1) | instid1(VALU_DEP_1)
	s_cmp_lg_u32 s11, 0
	s_addc_u32 s7, s7, s14
	v_readfirstlane_b32 s11, v1
	s_mul_i32 s14, s15, s7
	s_mul_hi_u32 s7, s15, s7
	s_delay_alu instid0(VALU_DEP_1) | instskip(NEXT) | instid1(SALU_CYCLE_1)
	s_mul_hi_u32 s11, s15, s11
	s_add_u32 s11, s11, s14
	s_addc_u32 s7, 0, s7
	s_add_u32 s11, s11, 0
	s_addc_u32 s7, s7, 0
	s_addc_u32 s11, 0, 0
	s_add_u32 s7, s7, 0
	s_addc_u32 s11, 0, s11
	s_mul_hi_u32 s14, s20, s7
	s_mul_i32 s24, s20, s11
	s_mul_i32 s25, s20, s7
	s_add_i32 s14, s14, s24
	v_sub_co_u32 v1, s24, s15, s25
	s_mul_i32 s23, s21, s7
	s_delay_alu instid0(SALU_CYCLE_1) | instskip(NEXT) | instid1(VALU_DEP_1)
	s_add_i32 s14, s14, s23
	v_sub_co_u32 v2, s25, v1, s20
	s_sub_i32 s23, 0, s14
	s_cmp_lg_u32 s24, 0
	s_subb_u32 s23, s23, s21
	s_cmp_lg_u32 s25, 0
	v_readfirstlane_b32 s25, v2
	s_subb_u32 s23, s23, 0
	s_delay_alu instid0(SALU_CYCLE_1) | instskip(SKIP_1) | instid1(VALU_DEP_1)
	s_cmp_ge_u32 s23, s21
	s_cselect_b32 s26, -1, 0
	s_cmp_ge_u32 s25, s20
	s_cselect_b32 s25, -1, 0
	s_cmp_eq_u32 s23, s21
	s_cselect_b32 s23, s25, s26
	s_add_u32 s25, s7, 1
	s_addc_u32 s26, s11, 0
	s_add_u32 s27, s7, 2
	s_addc_u32 s28, s11, 0
	s_cmp_lg_u32 s23, 0
	s_cselect_b32 s23, s27, s25
	s_cselect_b32 s25, s28, s26
	s_cmp_lg_u32 s24, 0
	v_readfirstlane_b32 s24, v1
	s_subb_u32 s14, 0, s14
	s_delay_alu instid0(SALU_CYCLE_1) | instskip(SKIP_1) | instid1(VALU_DEP_1)
	s_cmp_ge_u32 s14, s21
	s_cselect_b32 s26, -1, 0
	s_cmp_ge_u32 s24, s20
	s_cselect_b32 s20, -1, 0
	s_cmp_eq_u32 s14, s21
	s_cselect_b32 s14, s20, s26
	s_delay_alu instid0(SALU_CYCLE_1) | instskip(SKIP_2) | instid1(SALU_CYCLE_1)
	s_cmp_lg_u32 s14, 0
	s_cselect_b32 s21, s25, s11
	s_cselect_b32 s20, s23, s7
	s_xor_b64 s[20:21], s[20:21], s[12:13]
	s_delay_alu instid0(SALU_CYCLE_1)
	s_sub_u32 s26, s20, s12
	s_subb_u32 s27, s21, s12
	s_load_b64 s[24:25], s[0:1], 0x38
	s_and_not1_b32 vcc_lo, exec_lo, s10
	s_cbranch_vccnz .LBB93_5
.LBB93_4:
	v_cvt_f32_u32_e32 v1, s16
	s_sub_i32 s10, 0, s16
	s_mov_b32 s27, 0
	s_delay_alu instid0(VALU_DEP_1) | instskip(SKIP_2) | instid1(VALU_DEP_1)
	v_rcp_iflag_f32_e32 v1, v1
	s_waitcnt_depctr 0xfff
	v_mul_f32_e32 v1, 0x4f7ffffe, v1
	v_cvt_u32_f32_e32 v1, v1
	s_delay_alu instid0(VALU_DEP_1) | instskip(NEXT) | instid1(VALU_DEP_1)
	v_readfirstlane_b32 s7, v1
	s_mul_i32 s10, s10, s7
	s_delay_alu instid0(SALU_CYCLE_1) | instskip(NEXT) | instid1(SALU_CYCLE_1)
	s_mul_hi_u32 s10, s7, s10
	s_add_i32 s7, s7, s10
	s_delay_alu instid0(SALU_CYCLE_1) | instskip(NEXT) | instid1(SALU_CYCLE_1)
	s_mul_hi_u32 s7, s15, s7
	s_mul_i32 s10, s7, s16
	s_add_i32 s11, s7, 1
	s_sub_i32 s10, s15, s10
	s_delay_alu instid0(SALU_CYCLE_1)
	s_sub_i32 s12, s10, s16
	s_cmp_ge_u32 s10, s16
	s_cselect_b32 s7, s11, s7
	s_cselect_b32 s10, s12, s10
	s_add_i32 s11, s7, 1
	s_cmp_ge_u32 s10, s16
	s_cselect_b32 s26, s11, s7
.LBB93_5:
	s_delay_alu instid0(SALU_CYCLE_1)
	s_mul_i32 s7, s26, s17
	s_mul_hi_u32 s10, s26, s16
	v_mov_b32_e32 v1, 0
	s_add_i32 s7, s10, s7
	s_mul_i32 s10, s27, s16
	s_mul_i32 s16, s26, s16
	s_add_i32 s17, s7, s10
	s_sub_u32 s10, s15, s16
	s_subb_u32 s11, 0, s17
	v_mov_b32_e32 v8, v1
	s_lshl_b64 s[10:11], s[10:11], 3
	s_waitcnt lgkmcnt(0)
	s_add_u32 s8, s8, s10
	s_addc_u32 s9, s9, s11
	s_load_b64 s[20:21], s[8:9], 0x0
	s_load_b128 s[8:11], s[0:1], 0x40
	s_waitcnt lgkmcnt(0)
	s_lshl_b64 s[12:13], s[20:21], 3
	s_mul_i32 s7, s21, s8
	s_add_u32 s2, s2, s12
	s_addc_u32 s3, s3, s13
	s_load_b128 s[12:15], s[2:3], 0x0
	s_lshl_b64 s[2:3], s[26:27], 10
	s_delay_alu instid0(SALU_CYCLE_1) | instskip(SKIP_3) | instid1(SALU_CYCLE_1)
	v_or_b32_e32 v2, s2, v0
	v_mov_b32_e32 v3, s3
	s_mul_i32 s2, s20, s9
	s_mul_hi_u32 s3, s20, s8
	s_add_i32 s3, s3, s2
	s_delay_alu instid0(VALU_DEP_1) | instskip(SKIP_2) | instid1(VALU_DEP_1)
	v_cmp_gt_i64_e64 s2, s[18:19], v[2:3]
	s_add_i32 s19, s3, s7
	s_mul_i32 s18, s20, s8
	s_and_saveexec_b32 s3, s2
	s_cbranch_execz .LBB93_7
; %bb.6:
	v_add_co_u32 v4, vcc_lo, v2, s18
	v_add_co_ci_u32_e32 v5, vcc_lo, s19, v3, vcc_lo
	s_delay_alu instid0(VALU_DEP_1) | instskip(NEXT) | instid1(VALU_DEP_1)
	v_lshlrev_b64 v[4:5], 2, v[4:5]
	v_add_co_u32 v4, vcc_lo, s24, v4
	s_delay_alu instid0(VALU_DEP_2)
	v_add_co_ci_u32_e32 v5, vcc_lo, s25, v5, vcc_lo
	global_load_b32 v4, v[4:5], off
	s_waitcnt vmcnt(0)
	v_mul_f32_e32 v8, s22, v4
.LBB93_7:
	s_or_b32 exec_lo, exec_lo, s3
	v_lshlrev_b64 v[2:3], 2, v[2:3]
	s_waitcnt lgkmcnt(0)
	v_cmp_ge_i64_e64 s3, s[12:13], s[14:15]
	s_delay_alu instid0(VALU_DEP_2) | instskip(NEXT) | instid1(VALU_DEP_3)
	v_add_co_u32 v4, vcc_lo, s24, v2
	v_add_co_ci_u32_e32 v5, vcc_lo, s25, v3, vcc_lo
	s_delay_alu instid0(VALU_DEP_3)
	s_and_b32 vcc_lo, exec_lo, s3
	v_mov_b32_e32 v3, 1.0
	v_cmp_eq_u32_e64 s3, 0, v0
	s_cbranch_vccnz .LBB93_45
; %bb.8:
	s_clause 0x1
	s_load_b128 s[24:27], s[0:1], 0x28
	s_load_b64 s[22:23], s[0:1], 0x58
	s_lshl_b64 s[0:1], s[16:17], 2
	v_dual_mov_b32 v13, 0 :: v_dual_lshlrev_b32 v6, 3, v0
	s_add_u32 s7, s10, s0
	s_addc_u32 s33, s11, s1
	v_lshlrev_b32_e32 v2, 2, v0
	s_sub_u32 s12, s12, s4
	s_subb_u32 s13, s13, 0
	s_sub_u32 s14, s14, s4
	s_subb_u32 s15, s15, 0
	s_cmp_lg_u32 s6, 0
	v_or_b32_e32 v7, 0x2000, v2
	s_cselect_b32 s34, -1, 0
	v_mov_b32_e32 v14, 1.0
	s_waitcnt lgkmcnt(0)
	v_add_co_u32 v9, s0, s24, v6
	s_delay_alu instid0(VALU_DEP_1)
	v_add_co_ci_u32_e64 v10, null, s25, 0, s0
	v_add_co_u32 v11, s0, s26, v2
	s_add_u32 s24, s20, s4
	v_add_co_ci_u32_e64 v12, null, s27, 0, s0
	v_cmp_ne_u32_e64 s0, 0, v0
	s_addc_u32 s25, s21, 0
	s_cmp_eq_u32 s6, 0
	s_mov_b64 s[26:27], s[12:13]
	s_cselect_b32 s1, -1, 0
	s_branch .LBB93_10
.LBB93_9:                               ;   in Loop: Header=BB93_10 Depth=1
	s_add_u32 s26, s26, 1
	s_addc_u32 s27, s27, 0
	s_delay_alu instid0(SALU_CYCLE_1) | instskip(SKIP_2) | instid1(VALU_DEP_3)
	v_cmp_ge_i64_e64 s13, s[26:27], s[14:15]
	v_mov_b32_e32 v8, v15
	v_mov_b32_e32 v14, v3
	s_and_not1_b32 vcc_lo, exec_lo, s13
	s_cbranch_vccz .LBB93_46
.LBB93_10:                              ; =>This Loop Header: Depth=1
                                        ;     Child Loop BB93_38 Depth 2
	s_sub_i32 s13, s26, s12
	s_delay_alu instid0(SALU_CYCLE_1) | instskip(NEXT) | instid1(SALU_CYCLE_1)
	s_and_b32 s13, s13, 0x3ff
	s_cmp_lg_u32 s13, 0
	s_cbranch_scc1 .LBB93_14
; %bb.11:                               ;   in Loop: Header=BB93_10 Depth=1
	s_sub_u32 s28, s14, s26
	s_subb_u32 s29, s15, s27
	v_dual_mov_b32 v2, -1 :: v_dual_mov_b32 v15, -1.0
	v_cmp_gt_i64_e32 vcc_lo, s[28:29], v[0:1]
	v_mov_b32_e32 v3, -1
	s_and_saveexec_b32 s28, vcc_lo
	s_cbranch_execz .LBB93_13
; %bb.12:                               ;   in Loop: Header=BB93_10 Depth=1
	s_lshl_b64 s[30:31], s[26:27], 3
	s_delay_alu instid0(SALU_CYCLE_1) | instskip(SKIP_2) | instid1(SALU_CYCLE_1)
	v_add_co_u32 v2, vcc_lo, v9, s30
	v_add_co_ci_u32_e32 v3, vcc_lo, s31, v10, vcc_lo
	s_lshl_b64 s[30:31], s[26:27], 2
	v_add_co_u32 v15, vcc_lo, v11, s30
	global_load_b64 v[2:3], v[2:3], off
	v_add_co_ci_u32_e32 v16, vcc_lo, s31, v12, vcc_lo
	global_load_b32 v15, v[15:16], off
	s_waitcnt vmcnt(1)
	v_sub_co_u32 v2, vcc_lo, v2, s4
	v_subrev_co_ci_u32_e32 v3, vcc_lo, 0, v3, vcc_lo
.LBB93_13:                              ;   in Loop: Header=BB93_10 Depth=1
	s_or_b32 exec_lo, exec_lo, s28
	ds_store_b64 v6, v[2:3]
	s_waitcnt vmcnt(0)
	ds_store_b32 v7, v15
.LBB93_14:                              ;   in Loop: Header=BB93_10 Depth=1
	s_lshl_b32 s28, s13, 3
	s_lshl_b32 s13, s13, 2
	s_delay_alu instid0(SALU_CYCLE_1)
	v_dual_mov_b32 v2, s28 :: v_dual_mov_b32 v15, s13
	s_waitcnt lgkmcnt(0)
	s_waitcnt_vscnt null, 0x0
	s_barrier
	buffer_gl0_inv
	ds_load_b64 v[2:3], v2
	ds_load_b32 v15, v15 offset:8192
	s_waitcnt lgkmcnt(1)
	v_readfirstlane_b32 s28, v2
	v_readfirstlane_b32 s29, v3
	s_waitcnt lgkmcnt(0)
	v_cmp_neq_f32_e32 vcc_lo, 0, v15
	s_delay_alu instid0(VALU_DEP_2) | instskip(SKIP_1) | instid1(SALU_CYCLE_1)
	s_cmp_lg_u64 s[28:29], s[20:21]
	s_cselect_b32 s13, -1, 0
	s_or_b32 s13, s34, s13
	s_delay_alu instid0(SALU_CYCLE_1) | instskip(SKIP_2) | instid1(SALU_CYCLE_1)
	s_or_b32 vcc_lo, vcc_lo, s13
	v_cndmask_b32_e32 v2, 1.0, v15, vcc_lo
	s_or_b32 s13, s0, vcc_lo
	s_xor_b32 s30, s13, -1
	s_delay_alu instid0(SALU_CYCLE_1)
	s_and_saveexec_b32 s13, s30
	s_cbranch_execz .LBB93_18
; %bb.15:                               ;   in Loop: Header=BB93_10 Depth=1
	v_mbcnt_lo_u32_b32 v2, exec_lo, 0
	s_mov_b32 s30, exec_lo
	s_delay_alu instid0(VALU_DEP_1)
	v_cmpx_eq_u32_e32 0, v2
	s_cbranch_execz .LBB93_17
; %bb.16:                               ;   in Loop: Header=BB93_10 Depth=1
	v_dual_mov_b32 v2, s24 :: v_dual_mov_b32 v3, s25
	global_atomic_min_u64 v13, v[2:3], s[22:23]
.LBB93_17:                              ;   in Loop: Header=BB93_10 Depth=1
	s_or_b32 exec_lo, exec_lo, s30
	v_mov_b32_e32 v2, 1.0
.LBB93_18:                              ;   in Loop: Header=BB93_10 Depth=1
	s_or_b32 exec_lo, exec_lo, s13
	s_cmp_lt_i32 s5, 1
	s_mov_b32 s13, 0
	s_cbranch_scc1 .LBB93_23
; %bb.19:                               ;   in Loop: Header=BB93_10 Depth=1
	s_cmp_eq_u32 s5, 1
	s_cbranch_scc0 .LBB93_24
; %bb.20:                               ;   in Loop: Header=BB93_10 Depth=1
	v_cmp_ge_i64_e64 s30, s[28:29], s[20:21]
	v_mov_b32_e32 v3, v14
	s_delay_alu instid0(VALU_DEP_2)
	s_and_b32 vcc_lo, exec_lo, s30
	s_mov_b32 s30, 0
	s_cbranch_vccz .LBB93_26
; %bb.21:                               ;   in Loop: Header=BB93_10 Depth=1
	s_cmp_eq_u64 s[28:29], s[20:21]
	s_cbranch_scc0 .LBB93_25
; %bb.22:                               ;   in Loop: Header=BB93_10 Depth=1
	v_div_scale_f32 v3, null, v2, v2, 1.0
	s_delay_alu instid0(VALU_DEP_1) | instskip(SKIP_2) | instid1(VALU_DEP_1)
	v_rcp_f32_e32 v15, v3
	s_waitcnt_depctr 0xfff
	v_fma_f32 v16, -v3, v15, 1.0
	v_fmac_f32_e32 v15, v16, v15
	v_div_scale_f32 v16, vcc_lo, 1.0, v2, 1.0
	s_delay_alu instid0(VALU_DEP_1) | instskip(NEXT) | instid1(VALU_DEP_1)
	v_mul_f32_e32 v17, v16, v15
	v_fma_f32 v18, -v3, v17, v16
	s_delay_alu instid0(VALU_DEP_1) | instskip(NEXT) | instid1(VALU_DEP_1)
	v_fmac_f32_e32 v17, v18, v15
	v_fma_f32 v3, -v3, v17, v16
	s_delay_alu instid0(VALU_DEP_1) | instskip(NEXT) | instid1(VALU_DEP_1)
	v_div_fmas_f32 v3, v3, v15, v17
	v_div_fixup_f32 v3, v3, v2, 1.0
	s_delay_alu instid0(VALU_DEP_1)
	v_cndmask_b32_e64 v3, v14, v3, s1
	s_branch .LBB93_26
.LBB93_23:                              ;   in Loop: Header=BB93_10 Depth=1
	s_mov_b32 s30, 0
                                        ; implicit-def: $vgpr15
                                        ; implicit-def: $vgpr3
                                        ; implicit-def: $sgpr31
	s_cbranch_execnz .LBB93_27
	s_branch .LBB93_29
.LBB93_24:                              ;   in Loop: Header=BB93_10 Depth=1
	s_mov_b32 s30, -1
                                        ; implicit-def: $vgpr15
                                        ; implicit-def: $vgpr3
                                        ; implicit-def: $sgpr31
	s_branch .LBB93_29
.LBB93_25:                              ;   in Loop: Header=BB93_10 Depth=1
	s_mov_b32 s30, -1
                                        ; implicit-def: $vgpr3
.LBB93_26:                              ;   in Loop: Header=BB93_10 Depth=1
	v_mov_b32_e32 v15, v8
	s_mov_b32 s31, 4
	s_branch .LBB93_29
.LBB93_27:                              ;   in Loop: Header=BB93_10 Depth=1
	s_cmp_eq_u32 s5, 0
	s_cbranch_scc1 .LBB93_33
; %bb.28:                               ;   in Loop: Header=BB93_10 Depth=1
	s_mov_b32 s30, -1
                                        ; implicit-def: $vgpr15
                                        ; implicit-def: $vgpr3
                                        ; implicit-def: $sgpr31
.LBB93_29:                              ;   in Loop: Header=BB93_10 Depth=1
	s_delay_alu instid0(SALU_CYCLE_1)
	s_and_b32 vcc_lo, exec_lo, s30
	s_cbranch_vccnz .LBB93_36
.LBB93_30:                              ;   in Loop: Header=BB93_10 Depth=1
	s_and_b32 vcc_lo, exec_lo, s13
	s_cbranch_vccnz .LBB93_42
.LBB93_31:                              ;   in Loop: Header=BB93_10 Depth=1
	s_cmp_gt_i32 s31, 3
	s_mov_b32 s13, -1
	s_cbranch_scc1 .LBB93_43
.LBB93_32:                              ;   in Loop: Header=BB93_10 Depth=1
	s_cmp_eq_u32 s31, 0
	s_cselect_b32 s28, -1, 0
	s_delay_alu instid0(SALU_CYCLE_1)
	s_and_not1_b32 vcc_lo, exec_lo, s28
	s_cbranch_vccz .LBB93_9
	s_branch .LBB93_44
.LBB93_33:                              ;   in Loop: Header=BB93_10 Depth=1
	v_cmp_le_i64_e64 s30, s[28:29], s[20:21]
	s_delay_alu instid0(VALU_DEP_1)
	s_and_b32 vcc_lo, exec_lo, s30
	s_mov_b32 s30, 0
	s_cbranch_vccz .LBB93_35
; %bb.34:                               ;   in Loop: Header=BB93_10 Depth=1
	s_cmp_lg_u64 s[28:29], s[20:21]
	s_mov_b32 s13, -1
	s_cselect_b32 s30, -1, 0
.LBB93_35:                              ;   in Loop: Header=BB93_10 Depth=1
	v_mov_b32_e32 v15, v8
	v_mov_b32_e32 v3, v14
	s_mov_b32 s31, 2
	s_and_b32 vcc_lo, exec_lo, s30
	s_cbranch_vccz .LBB93_30
.LBB93_36:                              ;   in Loop: Header=BB93_10 Depth=1
	s_and_saveexec_b32 s13, s3
	s_cbranch_execz .LBB93_39
; %bb.37:                               ;   in Loop: Header=BB93_10 Depth=1
	s_lshl_b64 s[30:31], s[28:29], 2
	s_delay_alu instid0(SALU_CYCLE_1)
	s_add_u32 s30, s7, s30
	s_addc_u32 s31, s33, s31
	global_load_b32 v3, v13, s[30:31] glc
	s_waitcnt vmcnt(0)
	v_cmp_ne_u32_e32 vcc_lo, 0, v3
	s_cbranch_vccnz .LBB93_39
.LBB93_38:                              ;   Parent Loop BB93_10 Depth=1
                                        ; =>  This Inner Loop Header: Depth=2
	global_load_b32 v3, v13, s[30:31] glc
	s_waitcnt vmcnt(0)
	v_cmp_eq_u32_e32 vcc_lo, 0, v3
	s_cbranch_vccnz .LBB93_38
.LBB93_39:                              ;   in Loop: Header=BB93_10 Depth=1
	s_or_b32 exec_lo, exec_lo, s13
	v_mov_b32_e32 v15, 0
	s_waitcnt_vscnt null, 0x0
	s_barrier
	buffer_gl0_inv
	buffer_gl1_inv
	buffer_gl0_inv
	s_and_saveexec_b32 s13, s2
	s_cbranch_execz .LBB93_41
; %bb.40:                               ;   in Loop: Header=BB93_10 Depth=1
	s_mul_i32 s30, s28, s9
	s_mul_hi_u32 s31, s28, s8
	s_mul_i32 s29, s29, s8
	s_add_i32 s30, s31, s30
	s_mul_i32 s28, s28, s8
	s_add_i32 s29, s30, s29
	s_delay_alu instid0(SALU_CYCLE_1) | instskip(NEXT) | instid1(SALU_CYCLE_1)
	s_lshl_b64 s[28:29], s[28:29], 2
	v_add_co_u32 v15, vcc_lo, v4, s28
	v_add_co_ci_u32_e32 v16, vcc_lo, s29, v5, vcc_lo
	global_load_b32 v3, v[15:16], off
	s_waitcnt vmcnt(0)
	v_fma_f32 v15, -v2, v3, v8
.LBB93_41:                              ;   in Loop: Header=BB93_10 Depth=1
	s_or_b32 exec_lo, exec_lo, s13
	v_mov_b32_e32 v3, v14
	s_mov_b32 s31, 0
	s_branch .LBB93_31
.LBB93_42:                              ;   in Loop: Header=BB93_10 Depth=1
	v_div_scale_f32 v3, null, v2, v2, 1.0
	v_div_scale_f32 v17, vcc_lo, 1.0, v2, 1.0
	s_mov_b32 s31, 2
	s_delay_alu instid0(VALU_DEP_2) | instskip(SKIP_2) | instid1(VALU_DEP_1)
	v_rcp_f32_e32 v15, v3
	s_waitcnt_depctr 0xfff
	v_fma_f32 v16, -v3, v15, 1.0
	v_fmac_f32_e32 v15, v16, v15
	s_delay_alu instid0(VALU_DEP_1) | instskip(NEXT) | instid1(VALU_DEP_1)
	v_mul_f32_e32 v16, v17, v15
	v_fma_f32 v18, -v3, v16, v17
	s_delay_alu instid0(VALU_DEP_1) | instskip(NEXT) | instid1(VALU_DEP_1)
	v_fmac_f32_e32 v16, v18, v15
	v_fma_f32 v3, -v3, v16, v17
	s_delay_alu instid0(VALU_DEP_1) | instskip(SKIP_1) | instid1(VALU_DEP_2)
	v_div_fmas_f32 v3, v3, v15, v16
	v_mov_b32_e32 v15, v8
	v_div_fixup_f32 v2, v3, v2, 1.0
	s_delay_alu instid0(VALU_DEP_1)
	v_cndmask_b32_e64 v3, v14, v2, s1
	s_cmp_gt_i32 s31, 3
	s_mov_b32 s13, -1
	s_cbranch_scc0 .LBB93_32
.LBB93_43:                              ;   in Loop: Header=BB93_10 Depth=1
	s_branch .LBB93_9
.LBB93_44:                              ;   in Loop: Header=BB93_10 Depth=1
                                        ; implicit-def: $sgpr26_sgpr27
	v_mov_b32_e32 v8, v15
	v_mov_b32_e32 v14, v3
	s_and_not1_b32 vcc_lo, exec_lo, s13
	s_cbranch_vccnz .LBB93_10
	s_branch .LBB93_46
.LBB93_45:
	v_mov_b32_e32 v15, v8
.LBB93_46:
	s_and_saveexec_b32 s0, s2
	s_cbranch_execz .LBB93_48
; %bb.47:
	s_delay_alu instid0(VALU_DEP_1) | instskip(SKIP_3) | instid1(VALU_DEP_1)
	v_mul_f32_e32 v1, v3, v15
	s_cmp_eq_u32 s6, 0
	s_cselect_b32 vcc_lo, -1, 0
	s_lshl_b64 s[2:3], s[18:19], 2
	v_cndmask_b32_e32 v3, v15, v1, vcc_lo
	v_add_co_u32 v1, vcc_lo, v4, s2
	v_add_co_ci_u32_e32 v2, vcc_lo, s3, v5, vcc_lo
	global_store_b32 v[1:2], v3, off
.LBB93_48:
	s_or_b32 exec_lo, exec_lo, s0
	s_waitcnt_vscnt null, 0x0
	buffer_gl1_inv
	buffer_gl0_inv
	s_barrier
	buffer_gl0_inv
	s_mov_b32 s0, exec_lo
	v_cmpx_eq_u32_e32 0, v0
	s_cbranch_execz .LBB93_50
; %bb.49:
	s_lshl_b64 s[0:1], s[20:21], 2
	v_dual_mov_b32 v0, 0 :: v_dual_mov_b32 v1, 1
	s_add_u32 s2, s10, s0
	s_addc_u32 s3, s11, s1
	s_lshl_b64 s[0:1], s[16:17], 2
	s_delay_alu instid0(SALU_CYCLE_1)
	s_add_u32 s0, s2, s0
	s_addc_u32 s1, s3, s1
	global_store_b32 v0, v1, s[0:1]
.LBB93_50:
	s_nop 0
	s_sendmsg sendmsg(MSG_DEALLOC_VGPRS)
	s_endpgm
.LBB93_51:
                                        ; implicit-def: $sgpr26_sgpr27
	s_load_b64 s[24:25], s[0:1], 0x38
	s_branch .LBB93_4
	.section	.rodata,"a",@progbits
	.p2align	6, 0x0
	.amdhsa_kernel _ZN9rocsparseL5csrsmILj1024ELj64ELb0EllfEEv20rocsparse_operation_T3_S2_NS_24const_host_device_scalarIT4_EEPKT2_PKS2_PKS4_PS4_lPiSA_PS2_21rocsparse_index_base_20rocsparse_fill_mode_20rocsparse_diag_type_b
		.amdhsa_group_segment_fixed_size 12288
		.amdhsa_private_segment_fixed_size 0
		.amdhsa_kernarg_size 112
		.amdhsa_user_sgpr_count 15
		.amdhsa_user_sgpr_dispatch_ptr 0
		.amdhsa_user_sgpr_queue_ptr 0
		.amdhsa_user_sgpr_kernarg_segment_ptr 1
		.amdhsa_user_sgpr_dispatch_id 0
		.amdhsa_user_sgpr_private_segment_size 0
		.amdhsa_wavefront_size32 1
		.amdhsa_uses_dynamic_stack 0
		.amdhsa_enable_private_segment 0
		.amdhsa_system_sgpr_workgroup_id_x 1
		.amdhsa_system_sgpr_workgroup_id_y 0
		.amdhsa_system_sgpr_workgroup_id_z 0
		.amdhsa_system_sgpr_workgroup_info 0
		.amdhsa_system_vgpr_workitem_id 0
		.amdhsa_next_free_vgpr 19
		.amdhsa_next_free_sgpr 35
		.amdhsa_reserve_vcc 1
		.amdhsa_float_round_mode_32 0
		.amdhsa_float_round_mode_16_64 0
		.amdhsa_float_denorm_mode_32 3
		.amdhsa_float_denorm_mode_16_64 3
		.amdhsa_dx10_clamp 1
		.amdhsa_ieee_mode 1
		.amdhsa_fp16_overflow 0
		.amdhsa_workgroup_processor_mode 1
		.amdhsa_memory_ordered 1
		.amdhsa_forward_progress 0
		.amdhsa_shared_vgpr_count 0
		.amdhsa_exception_fp_ieee_invalid_op 0
		.amdhsa_exception_fp_denorm_src 0
		.amdhsa_exception_fp_ieee_div_zero 0
		.amdhsa_exception_fp_ieee_overflow 0
		.amdhsa_exception_fp_ieee_underflow 0
		.amdhsa_exception_fp_ieee_inexact 0
		.amdhsa_exception_int_div_zero 0
	.end_amdhsa_kernel
	.section	.text._ZN9rocsparseL5csrsmILj1024ELj64ELb0EllfEEv20rocsparse_operation_T3_S2_NS_24const_host_device_scalarIT4_EEPKT2_PKS2_PKS4_PS4_lPiSA_PS2_21rocsparse_index_base_20rocsparse_fill_mode_20rocsparse_diag_type_b,"axG",@progbits,_ZN9rocsparseL5csrsmILj1024ELj64ELb0EllfEEv20rocsparse_operation_T3_S2_NS_24const_host_device_scalarIT4_EEPKT2_PKS2_PKS4_PS4_lPiSA_PS2_21rocsparse_index_base_20rocsparse_fill_mode_20rocsparse_diag_type_b,comdat
.Lfunc_end93:
	.size	_ZN9rocsparseL5csrsmILj1024ELj64ELb0EllfEEv20rocsparse_operation_T3_S2_NS_24const_host_device_scalarIT4_EEPKT2_PKS2_PKS4_PS4_lPiSA_PS2_21rocsparse_index_base_20rocsparse_fill_mode_20rocsparse_diag_type_b, .Lfunc_end93-_ZN9rocsparseL5csrsmILj1024ELj64ELb0EllfEEv20rocsparse_operation_T3_S2_NS_24const_host_device_scalarIT4_EEPKT2_PKS2_PKS4_PS4_lPiSA_PS2_21rocsparse_index_base_20rocsparse_fill_mode_20rocsparse_diag_type_b
                                        ; -- End function
	.section	.AMDGPU.csdata,"",@progbits
; Kernel info:
; codeLenInByte = 2432
; NumSgprs: 37
; NumVgprs: 19
; ScratchSize: 0
; MemoryBound: 0
; FloatMode: 240
; IeeeMode: 1
; LDSByteSize: 12288 bytes/workgroup (compile time only)
; SGPRBlocks: 4
; VGPRBlocks: 2
; NumSGPRsForWavesPerEU: 37
; NumVGPRsForWavesPerEU: 19
; Occupancy: 16
; WaveLimiterHint : 1
; COMPUTE_PGM_RSRC2:SCRATCH_EN: 0
; COMPUTE_PGM_RSRC2:USER_SGPR: 15
; COMPUTE_PGM_RSRC2:TRAP_HANDLER: 0
; COMPUTE_PGM_RSRC2:TGID_X_EN: 1
; COMPUTE_PGM_RSRC2:TGID_Y_EN: 0
; COMPUTE_PGM_RSRC2:TGID_Z_EN: 0
; COMPUTE_PGM_RSRC2:TIDIG_COMP_CNT: 0
	.section	.text._ZN9rocsparseL5csrsmILj64ELj64ELb1ElldEEv20rocsparse_operation_T3_S2_NS_24const_host_device_scalarIT4_EEPKT2_PKS2_PKS4_PS4_lPiSA_PS2_21rocsparse_index_base_20rocsparse_fill_mode_20rocsparse_diag_type_b,"axG",@progbits,_ZN9rocsparseL5csrsmILj64ELj64ELb1ElldEEv20rocsparse_operation_T3_S2_NS_24const_host_device_scalarIT4_EEPKT2_PKS2_PKS4_PS4_lPiSA_PS2_21rocsparse_index_base_20rocsparse_fill_mode_20rocsparse_diag_type_b,comdat
	.globl	_ZN9rocsparseL5csrsmILj64ELj64ELb1ElldEEv20rocsparse_operation_T3_S2_NS_24const_host_device_scalarIT4_EEPKT2_PKS2_PKS4_PS4_lPiSA_PS2_21rocsparse_index_base_20rocsparse_fill_mode_20rocsparse_diag_type_b ; -- Begin function _ZN9rocsparseL5csrsmILj64ELj64ELb1ElldEEv20rocsparse_operation_T3_S2_NS_24const_host_device_scalarIT4_EEPKT2_PKS2_PKS4_PS4_lPiSA_PS2_21rocsparse_index_base_20rocsparse_fill_mode_20rocsparse_diag_type_b
	.p2align	8
	.type	_ZN9rocsparseL5csrsmILj64ELj64ELb1ElldEEv20rocsparse_operation_T3_S2_NS_24const_host_device_scalarIT4_EEPKT2_PKS2_PKS4_PS4_lPiSA_PS2_21rocsparse_index_base_20rocsparse_fill_mode_20rocsparse_diag_type_b,@function
_ZN9rocsparseL5csrsmILj64ELj64ELb1ElldEEv20rocsparse_operation_T3_S2_NS_24const_host_device_scalarIT4_EEPKT2_PKS2_PKS4_PS4_lPiSA_PS2_21rocsparse_index_base_20rocsparse_fill_mode_20rocsparse_diag_type_b: ; @_ZN9rocsparseL5csrsmILj64ELj64ELb1ElldEEv20rocsparse_operation_T3_S2_NS_24const_host_device_scalarIT4_EEPKT2_PKS2_PKS4_PS4_lPiSA_PS2_21rocsparse_index_base_20rocsparse_fill_mode_20rocsparse_diag_type_b
; %bb.0:
	s_clause 0x2
	s_load_b128 s[4:7], s[0:1], 0x60
	s_load_b64 s[2:3], s[0:1], 0x18
	s_load_b128 s[16:19], s[0:1], 0x8
	s_waitcnt lgkmcnt(0)
	s_bitcmp1_b32 s7, 0
	v_dual_mov_b32 v5, s3 :: v_dual_mov_b32 v4, s2
	s_cselect_b32 s7, -1, 0
	s_delay_alu instid0(SALU_CYCLE_1)
	s_and_b32 vcc_lo, exec_lo, s7
	s_cbranch_vccnz .LBB94_2
; %bb.1:
	v_dual_mov_b32 v1, s2 :: v_dual_mov_b32 v2, s3
	flat_load_b64 v[4:5], v[1:2]
.LBB94_2:
	s_clause 0x1
	s_load_b64 s[8:9], s[0:1], 0x50
	s_load_b64 s[2:3], s[0:1], 0x20
	s_mov_b32 s10, 0
	s_mov_b32 s11, s17
	s_delay_alu instid0(SALU_CYCLE_1)
	s_cmp_lg_u64 s[10:11], 0
	s_cbranch_scc0 .LBB94_55
; %bb.3:
	s_ashr_i32 s12, s17, 31
	s_delay_alu instid0(SALU_CYCLE_1) | instskip(SKIP_2) | instid1(SALU_CYCLE_1)
	s_add_u32 s20, s16, s12
	s_mov_b32 s13, s12
	s_addc_u32 s21, s17, s12
	s_xor_b64 s[20:21], s[20:21], s[12:13]
	s_delay_alu instid0(SALU_CYCLE_1) | instskip(SKIP_3) | instid1(VALU_DEP_1)
	v_cvt_f32_u32_e32 v1, s20
	v_cvt_f32_u32_e32 v2, s21
	s_sub_u32 s14, 0, s20
	s_subb_u32 s22, 0, s21
	v_fmamk_f32 v1, v2, 0x4f800000, v1
	s_delay_alu instid0(VALU_DEP_1) | instskip(SKIP_2) | instid1(VALU_DEP_1)
	v_rcp_f32_e32 v1, v1
	s_waitcnt_depctr 0xfff
	v_mul_f32_e32 v1, 0x5f7ffffc, v1
	v_mul_f32_e32 v2, 0x2f800000, v1
	s_delay_alu instid0(VALU_DEP_1) | instskip(NEXT) | instid1(VALU_DEP_1)
	v_trunc_f32_e32 v2, v2
	v_fmamk_f32 v1, v2, 0xcf800000, v1
	v_cvt_u32_f32_e32 v2, v2
	s_delay_alu instid0(VALU_DEP_2) | instskip(NEXT) | instid1(VALU_DEP_2)
	v_cvt_u32_f32_e32 v1, v1
	v_readfirstlane_b32 s7, v2
	s_delay_alu instid0(VALU_DEP_2) | instskip(NEXT) | instid1(VALU_DEP_2)
	v_readfirstlane_b32 s11, v1
	s_mul_i32 s23, s14, s7
	s_delay_alu instid0(VALU_DEP_1)
	s_mul_hi_u32 s25, s14, s11
	s_mul_i32 s24, s22, s11
	s_add_i32 s23, s25, s23
	s_mul_i32 s26, s14, s11
	s_add_i32 s23, s23, s24
	s_mul_hi_u32 s25, s11, s26
	s_mul_hi_u32 s27, s7, s26
	s_mul_i32 s24, s7, s26
	s_mul_hi_u32 s26, s11, s23
	s_mul_i32 s11, s11, s23
	s_mul_hi_u32 s28, s7, s23
	s_add_u32 s11, s25, s11
	s_addc_u32 s25, 0, s26
	s_add_u32 s11, s11, s24
	s_mul_i32 s23, s7, s23
	s_addc_u32 s11, s25, s27
	s_addc_u32 s24, s28, 0
	s_add_u32 s11, s11, s23
	s_addc_u32 s23, 0, s24
	v_add_co_u32 v1, s11, v1, s11
	s_delay_alu instid0(VALU_DEP_1) | instskip(SKIP_1) | instid1(VALU_DEP_1)
	s_cmp_lg_u32 s11, 0
	s_addc_u32 s7, s7, s23
	v_readfirstlane_b32 s11, v1
	s_mul_i32 s23, s14, s7
	s_delay_alu instid0(VALU_DEP_1)
	s_mul_hi_u32 s24, s14, s11
	s_mul_i32 s22, s22, s11
	s_add_i32 s23, s24, s23
	s_mul_i32 s14, s14, s11
	s_add_i32 s23, s23, s22
	s_mul_hi_u32 s24, s7, s14
	s_mul_i32 s25, s7, s14
	s_mul_hi_u32 s14, s11, s14
	s_mul_hi_u32 s26, s11, s23
	s_mul_i32 s11, s11, s23
	s_mul_hi_u32 s22, s7, s23
	s_add_u32 s11, s14, s11
	s_addc_u32 s14, 0, s26
	s_add_u32 s11, s11, s25
	s_mul_i32 s23, s7, s23
	s_addc_u32 s11, s14, s24
	s_addc_u32 s14, s22, 0
	s_add_u32 s11, s11, s23
	s_addc_u32 s14, 0, s14
	v_add_co_u32 v1, s11, v1, s11
	s_delay_alu instid0(VALU_DEP_1) | instskip(SKIP_1) | instid1(VALU_DEP_1)
	s_cmp_lg_u32 s11, 0
	s_addc_u32 s7, s7, s14
	v_readfirstlane_b32 s11, v1
	s_mul_i32 s14, s15, s7
	s_mul_hi_u32 s7, s15, s7
	s_delay_alu instid0(VALU_DEP_1) | instskip(NEXT) | instid1(SALU_CYCLE_1)
	s_mul_hi_u32 s11, s15, s11
	s_add_u32 s11, s11, s14
	s_addc_u32 s7, 0, s7
	s_add_u32 s11, s11, 0
	s_addc_u32 s7, s7, 0
	s_addc_u32 s11, 0, 0
	s_add_u32 s7, s7, 0
	s_addc_u32 s11, 0, s11
	s_mul_hi_u32 s14, s20, s7
	s_mul_i32 s23, s20, s11
	s_mul_i32 s24, s20, s7
	s_add_i32 s14, s14, s23
	v_sub_co_u32 v1, s23, s15, s24
	s_mul_i32 s22, s21, s7
	s_delay_alu instid0(SALU_CYCLE_1) | instskip(NEXT) | instid1(VALU_DEP_1)
	s_add_i32 s14, s14, s22
	v_sub_co_u32 v2, s24, v1, s20
	s_sub_i32 s22, 0, s14
	s_cmp_lg_u32 s23, 0
	s_subb_u32 s22, s22, s21
	s_cmp_lg_u32 s24, 0
	v_readfirstlane_b32 s24, v2
	s_subb_u32 s22, s22, 0
	s_delay_alu instid0(SALU_CYCLE_1) | instskip(SKIP_1) | instid1(VALU_DEP_1)
	s_cmp_ge_u32 s22, s21
	s_cselect_b32 s25, -1, 0
	s_cmp_ge_u32 s24, s20
	s_cselect_b32 s24, -1, 0
	s_cmp_eq_u32 s22, s21
	s_cselect_b32 s22, s24, s25
	s_add_u32 s24, s7, 1
	s_addc_u32 s25, s11, 0
	s_add_u32 s26, s7, 2
	s_addc_u32 s27, s11, 0
	s_cmp_lg_u32 s22, 0
	s_cselect_b32 s22, s26, s24
	s_cselect_b32 s24, s27, s25
	s_cmp_lg_u32 s23, 0
	v_readfirstlane_b32 s23, v1
	s_subb_u32 s14, 0, s14
	s_delay_alu instid0(SALU_CYCLE_1) | instskip(SKIP_1) | instid1(VALU_DEP_1)
	s_cmp_ge_u32 s14, s21
	s_cselect_b32 s25, -1, 0
	s_cmp_ge_u32 s23, s20
	s_cselect_b32 s20, -1, 0
	s_cmp_eq_u32 s14, s21
	s_cselect_b32 s14, s20, s25
	s_delay_alu instid0(SALU_CYCLE_1) | instskip(SKIP_2) | instid1(SALU_CYCLE_1)
	s_cmp_lg_u32 s14, 0
	s_cselect_b32 s21, s24, s11
	s_cselect_b32 s20, s22, s7
	s_xor_b64 s[20:21], s[20:21], s[12:13]
	s_delay_alu instid0(SALU_CYCLE_1)
	s_sub_u32 s24, s20, s12
	s_subb_u32 s25, s21, s12
	s_load_b64 s[22:23], s[0:1], 0x38
	s_and_not1_b32 vcc_lo, exec_lo, s10
	s_cbranch_vccnz .LBB94_5
.LBB94_4:
	v_cvt_f32_u32_e32 v1, s16
	s_sub_i32 s10, 0, s16
	s_mov_b32 s25, 0
	s_delay_alu instid0(VALU_DEP_1) | instskip(SKIP_2) | instid1(VALU_DEP_1)
	v_rcp_iflag_f32_e32 v1, v1
	s_waitcnt_depctr 0xfff
	v_mul_f32_e32 v1, 0x4f7ffffe, v1
	v_cvt_u32_f32_e32 v1, v1
	s_delay_alu instid0(VALU_DEP_1) | instskip(NEXT) | instid1(VALU_DEP_1)
	v_readfirstlane_b32 s7, v1
	s_mul_i32 s10, s10, s7
	s_delay_alu instid0(SALU_CYCLE_1) | instskip(NEXT) | instid1(SALU_CYCLE_1)
	s_mul_hi_u32 s10, s7, s10
	s_add_i32 s7, s7, s10
	s_delay_alu instid0(SALU_CYCLE_1) | instskip(NEXT) | instid1(SALU_CYCLE_1)
	s_mul_hi_u32 s7, s15, s7
	s_mul_i32 s10, s7, s16
	s_add_i32 s11, s7, 1
	s_sub_i32 s10, s15, s10
	s_delay_alu instid0(SALU_CYCLE_1)
	s_sub_i32 s12, s10, s16
	s_cmp_ge_u32 s10, s16
	s_cselect_b32 s7, s11, s7
	s_cselect_b32 s10, s12, s10
	s_add_i32 s11, s7, 1
	s_cmp_ge_u32 s10, s16
	s_cselect_b32 s24, s11, s7
.LBB94_5:
	s_delay_alu instid0(SALU_CYCLE_1)
	s_mul_i32 s7, s24, s17
	s_mul_hi_u32 s10, s24, s16
	v_mov_b32_e32 v1, 0
	s_add_i32 s7, s10, s7
	s_mul_i32 s10, s25, s16
	s_mul_i32 s16, s24, s16
	s_add_i32 s17, s7, s10
	s_sub_u32 s10, s15, s16
	s_subb_u32 s11, 0, s17
	v_mov_b32_e32 v2, 0
	s_lshl_b64 s[10:11], s[10:11], 3
	v_mov_b32_e32 v3, 0
	s_waitcnt lgkmcnt(0)
	s_add_u32 s8, s8, s10
	s_addc_u32 s9, s9, s11
	s_load_b64 s[20:21], s[8:9], 0x0
	s_load_b128 s[8:11], s[0:1], 0x40
	s_waitcnt lgkmcnt(0)
	s_lshl_b64 s[12:13], s[20:21], 3
	s_mul_i32 s7, s21, s8
	s_add_u32 s2, s2, s12
	s_addc_u32 s3, s3, s13
	s_load_b128 s[12:15], s[2:3], 0x0
	s_lshl_b64 s[2:3], s[24:25], 6
	s_delay_alu instid0(SALU_CYCLE_1) | instskip(SKIP_3) | instid1(SALU_CYCLE_1)
	v_or_b32_e32 v6, s2, v0
	v_mov_b32_e32 v7, s3
	s_mul_i32 s2, s20, s9
	s_mul_hi_u32 s3, s20, s8
	s_add_i32 s3, s3, s2
	s_delay_alu instid0(VALU_DEP_1) | instskip(SKIP_2) | instid1(VALU_DEP_1)
	v_cmp_gt_i64_e64 s2, s[18:19], v[6:7]
	s_add_i32 s19, s3, s7
	s_mul_i32 s18, s20, s8
	s_and_saveexec_b32 s3, s2
	s_cbranch_execz .LBB94_7
; %bb.6:
	v_add_co_u32 v2, vcc_lo, v6, s18
	v_add_co_ci_u32_e32 v3, vcc_lo, s19, v7, vcc_lo
	s_delay_alu instid0(VALU_DEP_1) | instskip(NEXT) | instid1(VALU_DEP_1)
	v_lshlrev_b64 v[2:3], 3, v[2:3]
	v_add_co_u32 v2, vcc_lo, s22, v2
	s_delay_alu instid0(VALU_DEP_2)
	v_add_co_ci_u32_e32 v3, vcc_lo, s23, v3, vcc_lo
	global_load_b64 v[2:3], v[2:3], off
	s_waitcnt vmcnt(0)
	v_mul_f64 v[2:3], v[4:5], v[2:3]
.LBB94_7:
	s_or_b32 exec_lo, exec_lo, s3
	s_waitcnt vmcnt(0)
	v_lshlrev_b64 v[4:5], 3, v[6:7]
	s_waitcnt lgkmcnt(0)
	v_cmp_ge_i64_e64 s3, s[12:13], s[14:15]
	v_mov_b32_e32 v8, 0
	v_mov_b32_e32 v9, 0x3ff00000
	s_delay_alu instid0(VALU_DEP_4)
	v_add_co_u32 v12, vcc_lo, s22, v4
	v_add_co_ci_u32_e32 v13, vcc_lo, s23, v5, vcc_lo
	s_and_b32 vcc_lo, exec_lo, s3
	v_cmp_eq_u32_e64 s3, 0, v0
	s_cbranch_vccnz .LBB94_49
; %bb.8:
	s_clause 0x1
	s_load_b128 s[24:27], s[0:1], 0x28
	s_load_b64 s[22:23], s[0:1], 0x58
	s_lshl_b64 s[0:1], s[16:17], 2
	v_lshlrev_b32_e32 v14, 3, v0
	s_add_u32 s7, s10, s0
	s_addc_u32 s33, s11, s1
	s_sub_u32 s12, s12, s4
	s_subb_u32 s13, s13, 0
	s_sub_u32 s14, s14, s4
	v_mov_b32_e32 v4, 0
	v_mov_b32_e32 v5, 0x3ff00000
	s_subb_u32 s15, s15, 0
	s_cmp_lg_u32 s6, 0
	v_or_b32_e32 v15, 0x200, v14
	s_cselect_b32 s34, -1, 0
	v_mov_b32_e32 v20, 0
	s_waitcnt lgkmcnt(0)
	v_add_co_u32 v16, s0, s24, v14
	s_delay_alu instid0(VALU_DEP_1)
	v_add_co_ci_u32_e64 v17, null, s25, 0, s0
	v_add_co_u32 v18, s0, s26, v14
	s_add_u32 s24, s20, s4
	v_add_co_ci_u32_e64 v19, null, s27, 0, s0
	v_cmp_ne_u32_e64 s0, 0, v0
	s_addc_u32 s25, s21, 0
	s_cmp_eq_u32 s6, 0
	s_mov_b64 s[26:27], s[12:13]
	s_cselect_b32 s1, -1, 0
	s_branch .LBB94_11
.LBB94_9:                               ;   in Loop: Header=BB94_11 Depth=1
	s_add_u32 s26, s26, 1
	s_addc_u32 s27, s27, 0
	s_delay_alu instid0(SALU_CYCLE_1)
	v_cmp_ge_i64_e64 s13, s[26:27], s[14:15]
.LBB94_10:                              ;   in Loop: Header=BB94_11 Depth=1
	s_delay_alu instid0(VALU_DEP_2) | instskip(SKIP_1) | instid1(VALU_DEP_3)
	v_dual_mov_b32 v2, v10 :: v_dual_mov_b32 v3, v11
	v_dual_mov_b32 v4, v8 :: v_dual_mov_b32 v5, v9
	s_and_not1_b32 vcc_lo, exec_lo, s13
	s_cbranch_vccz .LBB94_50
.LBB94_11:                              ; =>This Loop Header: Depth=1
                                        ;     Child Loop BB94_47 Depth 2
                                        ;       Child Loop BB94_48 Depth 3
	s_sub_i32 s13, s26, s12
	s_delay_alu instid0(SALU_CYCLE_1) | instskip(NEXT) | instid1(SALU_CYCLE_1)
	s_and_b32 s13, s13, 63
	s_cmp_lg_u32 s13, 0
	s_cbranch_scc1 .LBB94_15
; %bb.12:                               ;   in Loop: Header=BB94_11 Depth=1
	s_sub_u32 s28, s14, s26
	s_subb_u32 s29, s15, s27
	v_mov_b32_e32 v6, -1
	v_dual_mov_b32 v7, -1 :: v_dual_mov_b32 v8, 0
	v_cmp_gt_i64_e32 vcc_lo, s[28:29], v[0:1]
	v_mov_b32_e32 v9, 0xbff00000
	s_and_saveexec_b32 s28, vcc_lo
	s_cbranch_execz .LBB94_14
; %bb.13:                               ;   in Loop: Header=BB94_11 Depth=1
	s_lshl_b64 s[30:31], s[26:27], 3
	s_delay_alu instid0(SALU_CYCLE_1)
	v_add_co_u32 v6, vcc_lo, v16, s30
	v_add_co_ci_u32_e32 v7, vcc_lo, s31, v17, vcc_lo
	v_add_co_u32 v8, vcc_lo, v18, s30
	v_add_co_ci_u32_e32 v9, vcc_lo, s31, v19, vcc_lo
	global_load_b64 v[6:7], v[6:7], off
	global_load_b64 v[8:9], v[8:9], off
	s_waitcnt vmcnt(1)
	v_sub_co_u32 v6, vcc_lo, v6, s4
	v_subrev_co_ci_u32_e32 v7, vcc_lo, 0, v7, vcc_lo
.LBB94_14:                              ;   in Loop: Header=BB94_11 Depth=1
	s_or_b32 exec_lo, exec_lo, s28
	ds_store_b64 v14, v[6:7]
	s_waitcnt vmcnt(0)
	ds_store_b64 v15, v[8:9]
.LBB94_15:                              ;   in Loop: Header=BB94_11 Depth=1
	s_lshl_b32 s13, s13, 3
	s_waitcnt lgkmcnt(0)
	v_mov_b32_e32 v6, s13
	s_waitcnt_vscnt null, 0x0
	s_barrier
	buffer_gl0_inv
	ds_load_2addr_stride64_b64 v[6:9], v6 offset1:1
	s_waitcnt lgkmcnt(0)
	v_cmp_neq_f64_e32 vcc_lo, 0, v[8:9]
	v_readfirstlane_b32 s28, v6
	v_readfirstlane_b32 s29, v7
	s_delay_alu instid0(VALU_DEP_1) | instskip(SKIP_1) | instid1(SALU_CYCLE_1)
	s_cmp_lg_u64 s[28:29], s[20:21]
	s_cselect_b32 s13, -1, 0
	s_or_b32 s13, s34, s13
	s_delay_alu instid0(SALU_CYCLE_1) | instskip(SKIP_3) | instid1(SALU_CYCLE_1)
	s_or_b32 vcc_lo, vcc_lo, s13
	v_cndmask_b32_e32 v7, 0x3ff00000, v9, vcc_lo
	v_cndmask_b32_e32 v6, 0, v8, vcc_lo
	s_or_b32 s13, s0, vcc_lo
	s_xor_b32 s30, s13, -1
	s_delay_alu instid0(SALU_CYCLE_1)
	s_and_saveexec_b32 s13, s30
	s_cbranch_execz .LBB94_19
; %bb.16:                               ;   in Loop: Header=BB94_11 Depth=1
	v_mbcnt_lo_u32_b32 v6, exec_lo, 0
	s_mov_b32 s30, exec_lo
	s_delay_alu instid0(VALU_DEP_1)
	v_cmpx_eq_u32_e32 0, v6
	s_cbranch_execz .LBB94_18
; %bb.17:                               ;   in Loop: Header=BB94_11 Depth=1
	v_dual_mov_b32 v6, s24 :: v_dual_mov_b32 v7, s25
	global_atomic_min_u64 v20, v[6:7], s[22:23]
.LBB94_18:                              ;   in Loop: Header=BB94_11 Depth=1
	s_or_b32 exec_lo, exec_lo, s30
	v_mov_b32_e32 v6, 0
	v_mov_b32_e32 v7, 0x3ff00000
.LBB94_19:                              ;   in Loop: Header=BB94_11 Depth=1
	s_or_b32 exec_lo, exec_lo, s13
	s_cmp_lt_i32 s5, 1
	s_mov_b32 s13, 0
	s_cbranch_scc1 .LBB94_24
; %bb.20:                               ;   in Loop: Header=BB94_11 Depth=1
	s_cmp_eq_u32 s5, 1
	s_cbranch_scc0 .LBB94_25
; %bb.21:                               ;   in Loop: Header=BB94_11 Depth=1
	v_cmp_ge_i64_e64 s30, s[28:29], s[20:21]
	v_dual_mov_b32 v9, v5 :: v_dual_mov_b32 v8, v4
	s_delay_alu instid0(VALU_DEP_2)
	s_and_b32 vcc_lo, exec_lo, s30
	s_mov_b32 s30, 0
	s_cbranch_vccz .LBB94_27
; %bb.22:                               ;   in Loop: Header=BB94_11 Depth=1
	s_cmp_eq_u64 s[28:29], s[20:21]
	s_cbranch_scc0 .LBB94_26
; %bb.23:                               ;   in Loop: Header=BB94_11 Depth=1
	v_div_scale_f64 v[8:9], null, v[6:7], v[6:7], 1.0
	v_div_scale_f64 v[23:24], vcc_lo, 1.0, v[6:7], 1.0
	s_delay_alu instid0(VALU_DEP_2) | instskip(SKIP_2) | instid1(VALU_DEP_1)
	v_rcp_f64_e32 v[10:11], v[8:9]
	s_waitcnt_depctr 0xfff
	v_fma_f64 v[21:22], -v[8:9], v[10:11], 1.0
	v_fma_f64 v[10:11], v[10:11], v[21:22], v[10:11]
	s_delay_alu instid0(VALU_DEP_1) | instskip(NEXT) | instid1(VALU_DEP_1)
	v_fma_f64 v[21:22], -v[8:9], v[10:11], 1.0
	v_fma_f64 v[10:11], v[10:11], v[21:22], v[10:11]
	s_delay_alu instid0(VALU_DEP_1) | instskip(NEXT) | instid1(VALU_DEP_1)
	v_mul_f64 v[21:22], v[23:24], v[10:11]
	v_fma_f64 v[8:9], -v[8:9], v[21:22], v[23:24]
	s_delay_alu instid0(VALU_DEP_1) | instskip(NEXT) | instid1(VALU_DEP_1)
	v_div_fmas_f64 v[8:9], v[8:9], v[10:11], v[21:22]
	v_div_fixup_f64 v[8:9], v[8:9], v[6:7], 1.0
	s_delay_alu instid0(VALU_DEP_1) | instskip(NEXT) | instid1(VALU_DEP_2)
	v_cndmask_b32_e64 v9, v5, v9, s1
	v_cndmask_b32_e64 v8, v4, v8, s1
	s_branch .LBB94_27
.LBB94_24:                              ;   in Loop: Header=BB94_11 Depth=1
	s_mov_b32 s30, 0
                                        ; implicit-def: $vgpr10_vgpr11
                                        ; implicit-def: $vgpr8_vgpr9
                                        ; implicit-def: $sgpr31
	s_cbranch_execnz .LBB94_28
	s_branch .LBB94_30
.LBB94_25:                              ;   in Loop: Header=BB94_11 Depth=1
	s_mov_b32 s30, -1
                                        ; implicit-def: $vgpr10_vgpr11
                                        ; implicit-def: $vgpr8_vgpr9
                                        ; implicit-def: $sgpr31
	s_branch .LBB94_30
.LBB94_26:                              ;   in Loop: Header=BB94_11 Depth=1
	s_mov_b32 s30, -1
                                        ; implicit-def: $vgpr8_vgpr9
.LBB94_27:                              ;   in Loop: Header=BB94_11 Depth=1
	v_dual_mov_b32 v11, v3 :: v_dual_mov_b32 v10, v2
	s_mov_b32 s31, 4
	s_branch .LBB94_30
.LBB94_28:                              ;   in Loop: Header=BB94_11 Depth=1
	s_cmp_eq_u32 s5, 0
	s_cbranch_scc1 .LBB94_34
; %bb.29:                               ;   in Loop: Header=BB94_11 Depth=1
	s_mov_b32 s30, -1
                                        ; implicit-def: $vgpr10_vgpr11
                                        ; implicit-def: $vgpr8_vgpr9
                                        ; implicit-def: $sgpr31
.LBB94_30:                              ;   in Loop: Header=BB94_11 Depth=1
	s_delay_alu instid0(SALU_CYCLE_1)
	s_and_b32 vcc_lo, exec_lo, s30
	s_cbranch_vccnz .LBB94_37
.LBB94_31:                              ;   in Loop: Header=BB94_11 Depth=1
	s_and_b32 vcc_lo, exec_lo, s13
	s_cbranch_vccnz .LBB94_42
.LBB94_32:                              ;   in Loop: Header=BB94_11 Depth=1
	s_cmp_gt_i32 s31, 3
	s_mov_b32 s13, -1
	s_cbranch_scc1 .LBB94_43
.LBB94_33:                              ;   in Loop: Header=BB94_11 Depth=1
	s_cmp_eq_u32 s31, 0
	s_cselect_b32 s28, -1, 0
	s_delay_alu instid0(SALU_CYCLE_1)
	s_and_not1_b32 vcc_lo, exec_lo, s28
	s_cbranch_vccz .LBB94_9
	s_branch .LBB94_44
.LBB94_34:                              ;   in Loop: Header=BB94_11 Depth=1
	v_cmp_le_i64_e64 s30, s[28:29], s[20:21]
	s_delay_alu instid0(VALU_DEP_1)
	s_and_b32 vcc_lo, exec_lo, s30
	s_mov_b32 s30, 0
	s_cbranch_vccz .LBB94_36
; %bb.35:                               ;   in Loop: Header=BB94_11 Depth=1
	s_cmp_lg_u64 s[28:29], s[20:21]
	s_mov_b32 s13, -1
	s_cselect_b32 s30, -1, 0
.LBB94_36:                              ;   in Loop: Header=BB94_11 Depth=1
	v_dual_mov_b32 v11, v3 :: v_dual_mov_b32 v10, v2
	v_dual_mov_b32 v9, v5 :: v_dual_mov_b32 v8, v4
	s_mov_b32 s31, 2
	s_and_b32 vcc_lo, exec_lo, s30
	s_cbranch_vccz .LBB94_31
.LBB94_37:                              ;   in Loop: Header=BB94_11 Depth=1
	s_and_saveexec_b32 s13, s3
	s_cbranch_execz .LBB94_39
; %bb.38:                               ;   in Loop: Header=BB94_11 Depth=1
	s_lshl_b64 s[30:31], s[28:29], 2
	s_delay_alu instid0(SALU_CYCLE_1)
	s_add_u32 s30, s7, s30
	s_addc_u32 s31, s33, s31
	global_load_b32 v8, v20, s[30:31] glc
	s_waitcnt vmcnt(0)
	v_cmp_ne_u32_e32 vcc_lo, 0, v8
	s_cbranch_vccz .LBB94_45
.LBB94_39:                              ;   in Loop: Header=BB94_11 Depth=1
	s_or_b32 exec_lo, exec_lo, s13
	v_mov_b32_e32 v10, 0
	v_mov_b32_e32 v11, 0
	s_waitcnt_vscnt null, 0x0
	s_barrier
	buffer_gl0_inv
	buffer_gl1_inv
	buffer_gl0_inv
	s_and_saveexec_b32 s13, s2
	s_cbranch_execz .LBB94_41
; %bb.40:                               ;   in Loop: Header=BB94_11 Depth=1
	s_mul_i32 s30, s28, s9
	s_mul_hi_u32 s31, s28, s8
	s_mul_i32 s29, s29, s8
	s_add_i32 s30, s31, s30
	s_mul_i32 s28, s28, s8
	s_add_i32 s29, s30, s29
	s_delay_alu instid0(SALU_CYCLE_1) | instskip(NEXT) | instid1(SALU_CYCLE_1)
	s_lshl_b64 s[28:29], s[28:29], 3
	v_add_co_u32 v8, vcc_lo, v12, s28
	v_add_co_ci_u32_e32 v9, vcc_lo, s29, v13, vcc_lo
	global_load_b64 v[8:9], v[8:9], off
	s_waitcnt vmcnt(0)
	v_fma_f64 v[10:11], -v[6:7], v[8:9], v[2:3]
.LBB94_41:                              ;   in Loop: Header=BB94_11 Depth=1
	s_or_b32 exec_lo, exec_lo, s13
	v_dual_mov_b32 v9, v5 :: v_dual_mov_b32 v8, v4
	s_mov_b32 s31, 0
	s_branch .LBB94_32
.LBB94_42:                              ;   in Loop: Header=BB94_11 Depth=1
	v_div_scale_f64 v[8:9], null, v[6:7], v[6:7], 1.0
	v_div_scale_f64 v[23:24], vcc_lo, 1.0, v[6:7], 1.0
	s_mov_b32 s31, 2
	s_delay_alu instid0(VALU_DEP_2) | instskip(SKIP_2) | instid1(VALU_DEP_1)
	v_rcp_f64_e32 v[10:11], v[8:9]
	s_waitcnt_depctr 0xfff
	v_fma_f64 v[21:22], -v[8:9], v[10:11], 1.0
	v_fma_f64 v[10:11], v[10:11], v[21:22], v[10:11]
	s_delay_alu instid0(VALU_DEP_1) | instskip(NEXT) | instid1(VALU_DEP_1)
	v_fma_f64 v[21:22], -v[8:9], v[10:11], 1.0
	v_fma_f64 v[10:11], v[10:11], v[21:22], v[10:11]
	s_delay_alu instid0(VALU_DEP_1) | instskip(NEXT) | instid1(VALU_DEP_1)
	v_mul_f64 v[21:22], v[23:24], v[10:11]
	v_fma_f64 v[8:9], -v[8:9], v[21:22], v[23:24]
	s_delay_alu instid0(VALU_DEP_1) | instskip(SKIP_1) | instid1(VALU_DEP_2)
	v_div_fmas_f64 v[8:9], v[8:9], v[10:11], v[21:22]
	v_dual_mov_b32 v11, v3 :: v_dual_mov_b32 v10, v2
	v_div_fixup_f64 v[6:7], v[8:9], v[6:7], 1.0
	s_delay_alu instid0(VALU_DEP_1) | instskip(NEXT) | instid1(VALU_DEP_2)
	v_cndmask_b32_e64 v9, v5, v7, s1
	v_cndmask_b32_e64 v8, v4, v6, s1
	s_cmp_gt_i32 s31, 3
	s_mov_b32 s13, -1
	s_cbranch_scc0 .LBB94_33
.LBB94_43:                              ;   in Loop: Header=BB94_11 Depth=1
	s_branch .LBB94_9
.LBB94_44:                              ;   in Loop: Header=BB94_11 Depth=1
                                        ; implicit-def: $sgpr26_sgpr27
	s_branch .LBB94_10
.LBB94_45:                              ;   in Loop: Header=BB94_11 Depth=1
	s_mov_b32 s35, 0
	s_branch .LBB94_47
	.p2align	6
.LBB94_46:                              ;   in Loop: Header=BB94_47 Depth=2
	global_load_b32 v8, v20, s[30:31] glc
	s_cmpk_lt_u32 s35, 0xf43
	s_cselect_b32 s36, -1, 0
	s_delay_alu instid0(SALU_CYCLE_1)
	s_cmp_lg_u32 s36, 0
	s_addc_u32 s35, s35, 0
	s_waitcnt vmcnt(0)
	v_cmp_ne_u32_e32 vcc_lo, 0, v8
	s_cbranch_vccnz .LBB94_39
.LBB94_47:                              ;   Parent Loop BB94_11 Depth=1
                                        ; =>  This Loop Header: Depth=2
                                        ;       Child Loop BB94_48 Depth 3
	s_cmp_eq_u32 s35, 0
	s_mov_b32 s36, s35
	s_cbranch_scc1 .LBB94_46
.LBB94_48:                              ;   Parent Loop BB94_11 Depth=1
                                        ;     Parent Loop BB94_47 Depth=2
                                        ; =>    This Inner Loop Header: Depth=3
	s_add_i32 s36, s36, -1
	s_sleep 1
	s_cmp_eq_u32 s36, 0
	s_cbranch_scc0 .LBB94_48
	s_branch .LBB94_46
.LBB94_49:
	v_dual_mov_b32 v11, v3 :: v_dual_mov_b32 v10, v2
.LBB94_50:
	s_and_saveexec_b32 s0, s2
	s_cbranch_execz .LBB94_52
; %bb.51:
	s_delay_alu instid0(VALU_DEP_1) | instskip(SKIP_3) | instid1(VALU_DEP_1)
	v_mul_f64 v[1:2], v[8:9], v[10:11]
	s_cmp_eq_u32 s6, 0
	s_cselect_b32 vcc_lo, -1, 0
	s_lshl_b64 s[2:3], s[18:19], 3
	v_dual_cndmask_b32 v2, v11, v2 :: v_dual_cndmask_b32 v1, v10, v1
	v_add_co_u32 v3, vcc_lo, v12, s2
	v_add_co_ci_u32_e32 v4, vcc_lo, s3, v13, vcc_lo
	global_store_b64 v[3:4], v[1:2], off
.LBB94_52:
	s_or_b32 exec_lo, exec_lo, s0
	s_waitcnt_vscnt null, 0x0
	buffer_gl1_inv
	buffer_gl0_inv
	s_barrier
	buffer_gl0_inv
	s_mov_b32 s0, exec_lo
	v_cmpx_eq_u32_e32 0, v0
	s_cbranch_execz .LBB94_54
; %bb.53:
	s_lshl_b64 s[0:1], s[20:21], 2
	v_dual_mov_b32 v0, 0 :: v_dual_mov_b32 v1, 1
	s_add_u32 s2, s10, s0
	s_addc_u32 s3, s11, s1
	s_lshl_b64 s[0:1], s[16:17], 2
	s_delay_alu instid0(SALU_CYCLE_1)
	s_add_u32 s0, s2, s0
	s_addc_u32 s1, s3, s1
	global_store_b32 v0, v1, s[0:1]
.LBB94_54:
	s_nop 0
	s_sendmsg sendmsg(MSG_DEALLOC_VGPRS)
	s_endpgm
.LBB94_55:
                                        ; implicit-def: $sgpr24_sgpr25
	s_load_b64 s[22:23], s[0:1], 0x38
	s_branch .LBB94_4
	.section	.rodata,"a",@progbits
	.p2align	6, 0x0
	.amdhsa_kernel _ZN9rocsparseL5csrsmILj64ELj64ELb1ElldEEv20rocsparse_operation_T3_S2_NS_24const_host_device_scalarIT4_EEPKT2_PKS2_PKS4_PS4_lPiSA_PS2_21rocsparse_index_base_20rocsparse_fill_mode_20rocsparse_diag_type_b
		.amdhsa_group_segment_fixed_size 1024
		.amdhsa_private_segment_fixed_size 0
		.amdhsa_kernarg_size 112
		.amdhsa_user_sgpr_count 15
		.amdhsa_user_sgpr_dispatch_ptr 0
		.amdhsa_user_sgpr_queue_ptr 0
		.amdhsa_user_sgpr_kernarg_segment_ptr 1
		.amdhsa_user_sgpr_dispatch_id 0
		.amdhsa_user_sgpr_private_segment_size 0
		.amdhsa_wavefront_size32 1
		.amdhsa_uses_dynamic_stack 0
		.amdhsa_enable_private_segment 0
		.amdhsa_system_sgpr_workgroup_id_x 1
		.amdhsa_system_sgpr_workgroup_id_y 0
		.amdhsa_system_sgpr_workgroup_id_z 0
		.amdhsa_system_sgpr_workgroup_info 0
		.amdhsa_system_vgpr_workitem_id 0
		.amdhsa_next_free_vgpr 25
		.amdhsa_next_free_sgpr 37
		.amdhsa_reserve_vcc 1
		.amdhsa_float_round_mode_32 0
		.amdhsa_float_round_mode_16_64 0
		.amdhsa_float_denorm_mode_32 3
		.amdhsa_float_denorm_mode_16_64 3
		.amdhsa_dx10_clamp 1
		.amdhsa_ieee_mode 1
		.amdhsa_fp16_overflow 0
		.amdhsa_workgroup_processor_mode 1
		.amdhsa_memory_ordered 1
		.amdhsa_forward_progress 0
		.amdhsa_shared_vgpr_count 0
		.amdhsa_exception_fp_ieee_invalid_op 0
		.amdhsa_exception_fp_denorm_src 0
		.amdhsa_exception_fp_ieee_div_zero 0
		.amdhsa_exception_fp_ieee_overflow 0
		.amdhsa_exception_fp_ieee_underflow 0
		.amdhsa_exception_fp_ieee_inexact 0
		.amdhsa_exception_int_div_zero 0
	.end_amdhsa_kernel
	.section	.text._ZN9rocsparseL5csrsmILj64ELj64ELb1ElldEEv20rocsparse_operation_T3_S2_NS_24const_host_device_scalarIT4_EEPKT2_PKS2_PKS4_PS4_lPiSA_PS2_21rocsparse_index_base_20rocsparse_fill_mode_20rocsparse_diag_type_b,"axG",@progbits,_ZN9rocsparseL5csrsmILj64ELj64ELb1ElldEEv20rocsparse_operation_T3_S2_NS_24const_host_device_scalarIT4_EEPKT2_PKS2_PKS4_PS4_lPiSA_PS2_21rocsparse_index_base_20rocsparse_fill_mode_20rocsparse_diag_type_b,comdat
.Lfunc_end94:
	.size	_ZN9rocsparseL5csrsmILj64ELj64ELb1ElldEEv20rocsparse_operation_T3_S2_NS_24const_host_device_scalarIT4_EEPKT2_PKS2_PKS4_PS4_lPiSA_PS2_21rocsparse_index_base_20rocsparse_fill_mode_20rocsparse_diag_type_b, .Lfunc_end94-_ZN9rocsparseL5csrsmILj64ELj64ELb1ElldEEv20rocsparse_operation_T3_S2_NS_24const_host_device_scalarIT4_EEPKT2_PKS2_PKS4_PS4_lPiSA_PS2_21rocsparse_index_base_20rocsparse_fill_mode_20rocsparse_diag_type_b
                                        ; -- End function
	.section	.AMDGPU.csdata,"",@progbits
; Kernel info:
; codeLenInByte = 2596
; NumSgprs: 39
; NumVgprs: 25
; ScratchSize: 0
; MemoryBound: 0
; FloatMode: 240
; IeeeMode: 1
; LDSByteSize: 1024 bytes/workgroup (compile time only)
; SGPRBlocks: 4
; VGPRBlocks: 3
; NumSGPRsForWavesPerEU: 39
; NumVGPRsForWavesPerEU: 25
; Occupancy: 16
; WaveLimiterHint : 1
; COMPUTE_PGM_RSRC2:SCRATCH_EN: 0
; COMPUTE_PGM_RSRC2:USER_SGPR: 15
; COMPUTE_PGM_RSRC2:TRAP_HANDLER: 0
; COMPUTE_PGM_RSRC2:TGID_X_EN: 1
; COMPUTE_PGM_RSRC2:TGID_Y_EN: 0
; COMPUTE_PGM_RSRC2:TGID_Z_EN: 0
; COMPUTE_PGM_RSRC2:TIDIG_COMP_CNT: 0
	.section	.text._ZN9rocsparseL5csrsmILj64ELj64ELb0ElldEEv20rocsparse_operation_T3_S2_NS_24const_host_device_scalarIT4_EEPKT2_PKS2_PKS4_PS4_lPiSA_PS2_21rocsparse_index_base_20rocsparse_fill_mode_20rocsparse_diag_type_b,"axG",@progbits,_ZN9rocsparseL5csrsmILj64ELj64ELb0ElldEEv20rocsparse_operation_T3_S2_NS_24const_host_device_scalarIT4_EEPKT2_PKS2_PKS4_PS4_lPiSA_PS2_21rocsparse_index_base_20rocsparse_fill_mode_20rocsparse_diag_type_b,comdat
	.globl	_ZN9rocsparseL5csrsmILj64ELj64ELb0ElldEEv20rocsparse_operation_T3_S2_NS_24const_host_device_scalarIT4_EEPKT2_PKS2_PKS4_PS4_lPiSA_PS2_21rocsparse_index_base_20rocsparse_fill_mode_20rocsparse_diag_type_b ; -- Begin function _ZN9rocsparseL5csrsmILj64ELj64ELb0ElldEEv20rocsparse_operation_T3_S2_NS_24const_host_device_scalarIT4_EEPKT2_PKS2_PKS4_PS4_lPiSA_PS2_21rocsparse_index_base_20rocsparse_fill_mode_20rocsparse_diag_type_b
	.p2align	8
	.type	_ZN9rocsparseL5csrsmILj64ELj64ELb0ElldEEv20rocsparse_operation_T3_S2_NS_24const_host_device_scalarIT4_EEPKT2_PKS2_PKS4_PS4_lPiSA_PS2_21rocsparse_index_base_20rocsparse_fill_mode_20rocsparse_diag_type_b,@function
_ZN9rocsparseL5csrsmILj64ELj64ELb0ElldEEv20rocsparse_operation_T3_S2_NS_24const_host_device_scalarIT4_EEPKT2_PKS2_PKS4_PS4_lPiSA_PS2_21rocsparse_index_base_20rocsparse_fill_mode_20rocsparse_diag_type_b: ; @_ZN9rocsparseL5csrsmILj64ELj64ELb0ElldEEv20rocsparse_operation_T3_S2_NS_24const_host_device_scalarIT4_EEPKT2_PKS2_PKS4_PS4_lPiSA_PS2_21rocsparse_index_base_20rocsparse_fill_mode_20rocsparse_diag_type_b
; %bb.0:
	s_clause 0x2
	s_load_b128 s[4:7], s[0:1], 0x60
	s_load_b64 s[2:3], s[0:1], 0x18
	s_load_b128 s[16:19], s[0:1], 0x8
	s_waitcnt lgkmcnt(0)
	s_bitcmp1_b32 s7, 0
	v_dual_mov_b32 v5, s3 :: v_dual_mov_b32 v4, s2
	s_cselect_b32 s7, -1, 0
	s_delay_alu instid0(SALU_CYCLE_1)
	s_and_b32 vcc_lo, exec_lo, s7
	s_cbranch_vccnz .LBB95_2
; %bb.1:
	v_dual_mov_b32 v1, s2 :: v_dual_mov_b32 v2, s3
	flat_load_b64 v[4:5], v[1:2]
.LBB95_2:
	s_clause 0x1
	s_load_b64 s[8:9], s[0:1], 0x50
	s_load_b64 s[2:3], s[0:1], 0x20
	s_mov_b32 s10, 0
	s_mov_b32 s11, s17
	s_delay_alu instid0(SALU_CYCLE_1)
	s_cmp_lg_u64 s[10:11], 0
	s_cbranch_scc0 .LBB95_52
; %bb.3:
	s_ashr_i32 s12, s17, 31
	s_delay_alu instid0(SALU_CYCLE_1) | instskip(SKIP_2) | instid1(SALU_CYCLE_1)
	s_add_u32 s20, s16, s12
	s_mov_b32 s13, s12
	s_addc_u32 s21, s17, s12
	s_xor_b64 s[20:21], s[20:21], s[12:13]
	s_delay_alu instid0(SALU_CYCLE_1) | instskip(SKIP_3) | instid1(VALU_DEP_1)
	v_cvt_f32_u32_e32 v1, s20
	v_cvt_f32_u32_e32 v2, s21
	s_sub_u32 s14, 0, s20
	s_subb_u32 s22, 0, s21
	v_fmamk_f32 v1, v2, 0x4f800000, v1
	s_delay_alu instid0(VALU_DEP_1) | instskip(SKIP_2) | instid1(VALU_DEP_1)
	v_rcp_f32_e32 v1, v1
	s_waitcnt_depctr 0xfff
	v_mul_f32_e32 v1, 0x5f7ffffc, v1
	v_mul_f32_e32 v2, 0x2f800000, v1
	s_delay_alu instid0(VALU_DEP_1) | instskip(NEXT) | instid1(VALU_DEP_1)
	v_trunc_f32_e32 v2, v2
	v_fmamk_f32 v1, v2, 0xcf800000, v1
	v_cvt_u32_f32_e32 v2, v2
	s_delay_alu instid0(VALU_DEP_2) | instskip(NEXT) | instid1(VALU_DEP_2)
	v_cvt_u32_f32_e32 v1, v1
	v_readfirstlane_b32 s7, v2
	s_delay_alu instid0(VALU_DEP_2) | instskip(NEXT) | instid1(VALU_DEP_2)
	v_readfirstlane_b32 s11, v1
	s_mul_i32 s23, s14, s7
	s_delay_alu instid0(VALU_DEP_1)
	s_mul_hi_u32 s25, s14, s11
	s_mul_i32 s24, s22, s11
	s_add_i32 s23, s25, s23
	s_mul_i32 s26, s14, s11
	s_add_i32 s23, s23, s24
	s_mul_hi_u32 s25, s11, s26
	s_mul_hi_u32 s27, s7, s26
	s_mul_i32 s24, s7, s26
	s_mul_hi_u32 s26, s11, s23
	s_mul_i32 s11, s11, s23
	s_mul_hi_u32 s28, s7, s23
	s_add_u32 s11, s25, s11
	s_addc_u32 s25, 0, s26
	s_add_u32 s11, s11, s24
	s_mul_i32 s23, s7, s23
	s_addc_u32 s11, s25, s27
	s_addc_u32 s24, s28, 0
	s_add_u32 s11, s11, s23
	s_addc_u32 s23, 0, s24
	v_add_co_u32 v1, s11, v1, s11
	s_delay_alu instid0(VALU_DEP_1) | instskip(SKIP_1) | instid1(VALU_DEP_1)
	s_cmp_lg_u32 s11, 0
	s_addc_u32 s7, s7, s23
	v_readfirstlane_b32 s11, v1
	s_mul_i32 s23, s14, s7
	s_delay_alu instid0(VALU_DEP_1)
	s_mul_hi_u32 s24, s14, s11
	s_mul_i32 s22, s22, s11
	s_add_i32 s23, s24, s23
	s_mul_i32 s14, s14, s11
	s_add_i32 s23, s23, s22
	s_mul_hi_u32 s24, s7, s14
	s_mul_i32 s25, s7, s14
	s_mul_hi_u32 s14, s11, s14
	s_mul_hi_u32 s26, s11, s23
	s_mul_i32 s11, s11, s23
	s_mul_hi_u32 s22, s7, s23
	s_add_u32 s11, s14, s11
	s_addc_u32 s14, 0, s26
	s_add_u32 s11, s11, s25
	s_mul_i32 s23, s7, s23
	s_addc_u32 s11, s14, s24
	s_addc_u32 s14, s22, 0
	s_add_u32 s11, s11, s23
	s_addc_u32 s14, 0, s14
	v_add_co_u32 v1, s11, v1, s11
	s_delay_alu instid0(VALU_DEP_1) | instskip(SKIP_1) | instid1(VALU_DEP_1)
	s_cmp_lg_u32 s11, 0
	s_addc_u32 s7, s7, s14
	v_readfirstlane_b32 s11, v1
	s_mul_i32 s14, s15, s7
	s_mul_hi_u32 s7, s15, s7
	s_delay_alu instid0(VALU_DEP_1) | instskip(NEXT) | instid1(SALU_CYCLE_1)
	s_mul_hi_u32 s11, s15, s11
	s_add_u32 s11, s11, s14
	s_addc_u32 s7, 0, s7
	s_add_u32 s11, s11, 0
	s_addc_u32 s7, s7, 0
	s_addc_u32 s11, 0, 0
	s_add_u32 s7, s7, 0
	s_addc_u32 s11, 0, s11
	s_mul_hi_u32 s14, s20, s7
	s_mul_i32 s23, s20, s11
	s_mul_i32 s24, s20, s7
	s_add_i32 s14, s14, s23
	v_sub_co_u32 v1, s23, s15, s24
	s_mul_i32 s22, s21, s7
	s_delay_alu instid0(SALU_CYCLE_1) | instskip(NEXT) | instid1(VALU_DEP_1)
	s_add_i32 s14, s14, s22
	v_sub_co_u32 v2, s24, v1, s20
	s_sub_i32 s22, 0, s14
	s_cmp_lg_u32 s23, 0
	s_subb_u32 s22, s22, s21
	s_cmp_lg_u32 s24, 0
	v_readfirstlane_b32 s24, v2
	s_subb_u32 s22, s22, 0
	s_delay_alu instid0(SALU_CYCLE_1) | instskip(SKIP_1) | instid1(VALU_DEP_1)
	s_cmp_ge_u32 s22, s21
	s_cselect_b32 s25, -1, 0
	s_cmp_ge_u32 s24, s20
	s_cselect_b32 s24, -1, 0
	s_cmp_eq_u32 s22, s21
	s_cselect_b32 s22, s24, s25
	s_add_u32 s24, s7, 1
	s_addc_u32 s25, s11, 0
	s_add_u32 s26, s7, 2
	s_addc_u32 s27, s11, 0
	s_cmp_lg_u32 s22, 0
	s_cselect_b32 s22, s26, s24
	s_cselect_b32 s24, s27, s25
	s_cmp_lg_u32 s23, 0
	v_readfirstlane_b32 s23, v1
	s_subb_u32 s14, 0, s14
	s_delay_alu instid0(SALU_CYCLE_1) | instskip(SKIP_1) | instid1(VALU_DEP_1)
	s_cmp_ge_u32 s14, s21
	s_cselect_b32 s25, -1, 0
	s_cmp_ge_u32 s23, s20
	s_cselect_b32 s20, -1, 0
	s_cmp_eq_u32 s14, s21
	s_cselect_b32 s14, s20, s25
	s_delay_alu instid0(SALU_CYCLE_1) | instskip(SKIP_2) | instid1(SALU_CYCLE_1)
	s_cmp_lg_u32 s14, 0
	s_cselect_b32 s21, s24, s11
	s_cselect_b32 s20, s22, s7
	s_xor_b64 s[20:21], s[20:21], s[12:13]
	s_delay_alu instid0(SALU_CYCLE_1)
	s_sub_u32 s24, s20, s12
	s_subb_u32 s25, s21, s12
	s_load_b64 s[22:23], s[0:1], 0x38
	s_and_not1_b32 vcc_lo, exec_lo, s10
	s_cbranch_vccnz .LBB95_5
.LBB95_4:
	v_cvt_f32_u32_e32 v1, s16
	s_sub_i32 s10, 0, s16
	s_mov_b32 s25, 0
	s_delay_alu instid0(VALU_DEP_1) | instskip(SKIP_2) | instid1(VALU_DEP_1)
	v_rcp_iflag_f32_e32 v1, v1
	s_waitcnt_depctr 0xfff
	v_mul_f32_e32 v1, 0x4f7ffffe, v1
	v_cvt_u32_f32_e32 v1, v1
	s_delay_alu instid0(VALU_DEP_1) | instskip(NEXT) | instid1(VALU_DEP_1)
	v_readfirstlane_b32 s7, v1
	s_mul_i32 s10, s10, s7
	s_delay_alu instid0(SALU_CYCLE_1) | instskip(NEXT) | instid1(SALU_CYCLE_1)
	s_mul_hi_u32 s10, s7, s10
	s_add_i32 s7, s7, s10
	s_delay_alu instid0(SALU_CYCLE_1) | instskip(NEXT) | instid1(SALU_CYCLE_1)
	s_mul_hi_u32 s7, s15, s7
	s_mul_i32 s10, s7, s16
	s_add_i32 s11, s7, 1
	s_sub_i32 s10, s15, s10
	s_delay_alu instid0(SALU_CYCLE_1)
	s_sub_i32 s12, s10, s16
	s_cmp_ge_u32 s10, s16
	s_cselect_b32 s7, s11, s7
	s_cselect_b32 s10, s12, s10
	s_add_i32 s11, s7, 1
	s_cmp_ge_u32 s10, s16
	s_cselect_b32 s24, s11, s7
.LBB95_5:
	s_delay_alu instid0(SALU_CYCLE_1)
	s_mul_i32 s7, s24, s17
	s_mul_hi_u32 s10, s24, s16
	v_mov_b32_e32 v1, 0
	s_add_i32 s7, s10, s7
	s_mul_i32 s10, s25, s16
	s_mul_i32 s16, s24, s16
	s_add_i32 s17, s7, s10
	s_sub_u32 s10, s15, s16
	s_subb_u32 s11, 0, s17
	v_mov_b32_e32 v2, 0
	s_lshl_b64 s[10:11], s[10:11], 3
	v_mov_b32_e32 v3, 0
	s_waitcnt lgkmcnt(0)
	s_add_u32 s8, s8, s10
	s_addc_u32 s9, s9, s11
	s_load_b64 s[20:21], s[8:9], 0x0
	s_load_b128 s[8:11], s[0:1], 0x40
	s_waitcnt lgkmcnt(0)
	s_lshl_b64 s[12:13], s[20:21], 3
	s_mul_i32 s7, s21, s8
	s_add_u32 s2, s2, s12
	s_addc_u32 s3, s3, s13
	s_load_b128 s[12:15], s[2:3], 0x0
	s_lshl_b64 s[2:3], s[24:25], 6
	s_delay_alu instid0(SALU_CYCLE_1) | instskip(SKIP_3) | instid1(SALU_CYCLE_1)
	v_or_b32_e32 v6, s2, v0
	v_mov_b32_e32 v7, s3
	s_mul_i32 s2, s20, s9
	s_mul_hi_u32 s3, s20, s8
	s_add_i32 s3, s3, s2
	s_delay_alu instid0(VALU_DEP_1) | instskip(SKIP_2) | instid1(VALU_DEP_1)
	v_cmp_gt_i64_e64 s2, s[18:19], v[6:7]
	s_add_i32 s19, s3, s7
	s_mul_i32 s18, s20, s8
	s_and_saveexec_b32 s3, s2
	s_cbranch_execz .LBB95_7
; %bb.6:
	v_add_co_u32 v2, vcc_lo, v6, s18
	v_add_co_ci_u32_e32 v3, vcc_lo, s19, v7, vcc_lo
	s_delay_alu instid0(VALU_DEP_1) | instskip(NEXT) | instid1(VALU_DEP_1)
	v_lshlrev_b64 v[2:3], 3, v[2:3]
	v_add_co_u32 v2, vcc_lo, s22, v2
	s_delay_alu instid0(VALU_DEP_2)
	v_add_co_ci_u32_e32 v3, vcc_lo, s23, v3, vcc_lo
	global_load_b64 v[2:3], v[2:3], off
	s_waitcnt vmcnt(0)
	v_mul_f64 v[2:3], v[4:5], v[2:3]
.LBB95_7:
	s_or_b32 exec_lo, exec_lo, s3
	s_waitcnt vmcnt(0)
	v_lshlrev_b64 v[4:5], 3, v[6:7]
	s_waitcnt lgkmcnt(0)
	v_cmp_ge_i64_e64 s3, s[12:13], s[14:15]
	v_mov_b32_e32 v8, 0
	v_mov_b32_e32 v9, 0x3ff00000
	s_delay_alu instid0(VALU_DEP_4)
	v_add_co_u32 v12, vcc_lo, s22, v4
	v_add_co_ci_u32_e32 v13, vcc_lo, s23, v5, vcc_lo
	s_and_b32 vcc_lo, exec_lo, s3
	v_cmp_eq_u32_e64 s3, 0, v0
	s_cbranch_vccnz .LBB95_46
; %bb.8:
	s_clause 0x1
	s_load_b128 s[24:27], s[0:1], 0x28
	s_load_b64 s[22:23], s[0:1], 0x58
	s_lshl_b64 s[0:1], s[16:17], 2
	v_lshlrev_b32_e32 v14, 3, v0
	s_add_u32 s7, s10, s0
	s_addc_u32 s33, s11, s1
	s_sub_u32 s12, s12, s4
	s_subb_u32 s13, s13, 0
	s_sub_u32 s14, s14, s4
	v_mov_b32_e32 v4, 0
	v_mov_b32_e32 v5, 0x3ff00000
	s_subb_u32 s15, s15, 0
	s_cmp_lg_u32 s6, 0
	v_or_b32_e32 v15, 0x200, v14
	s_cselect_b32 s34, -1, 0
	v_mov_b32_e32 v20, 0
	s_waitcnt lgkmcnt(0)
	v_add_co_u32 v16, s0, s24, v14
	s_delay_alu instid0(VALU_DEP_1)
	v_add_co_ci_u32_e64 v17, null, s25, 0, s0
	v_add_co_u32 v18, s0, s26, v14
	s_add_u32 s24, s20, s4
	v_add_co_ci_u32_e64 v19, null, s27, 0, s0
	v_cmp_ne_u32_e64 s0, 0, v0
	s_addc_u32 s25, s21, 0
	s_cmp_eq_u32 s6, 0
	s_mov_b64 s[26:27], s[12:13]
	s_cselect_b32 s1, -1, 0
	s_branch .LBB95_11
.LBB95_9:                               ;   in Loop: Header=BB95_11 Depth=1
	s_add_u32 s26, s26, 1
	s_addc_u32 s27, s27, 0
	s_delay_alu instid0(SALU_CYCLE_1)
	v_cmp_ge_i64_e64 s13, s[26:27], s[14:15]
.LBB95_10:                              ;   in Loop: Header=BB95_11 Depth=1
	s_delay_alu instid0(VALU_DEP_2) | instskip(SKIP_1) | instid1(VALU_DEP_3)
	v_dual_mov_b32 v2, v10 :: v_dual_mov_b32 v3, v11
	v_dual_mov_b32 v4, v8 :: v_dual_mov_b32 v5, v9
	s_and_not1_b32 vcc_lo, exec_lo, s13
	s_cbranch_vccz .LBB95_47
.LBB95_11:                              ; =>This Loop Header: Depth=1
                                        ;     Child Loop BB95_39 Depth 2
	s_sub_i32 s13, s26, s12
	s_delay_alu instid0(SALU_CYCLE_1) | instskip(NEXT) | instid1(SALU_CYCLE_1)
	s_and_b32 s13, s13, 63
	s_cmp_lg_u32 s13, 0
	s_cbranch_scc1 .LBB95_15
; %bb.12:                               ;   in Loop: Header=BB95_11 Depth=1
	s_sub_u32 s28, s14, s26
	s_subb_u32 s29, s15, s27
	v_mov_b32_e32 v6, -1
	v_dual_mov_b32 v7, -1 :: v_dual_mov_b32 v8, 0
	v_cmp_gt_i64_e32 vcc_lo, s[28:29], v[0:1]
	v_mov_b32_e32 v9, 0xbff00000
	s_and_saveexec_b32 s28, vcc_lo
	s_cbranch_execz .LBB95_14
; %bb.13:                               ;   in Loop: Header=BB95_11 Depth=1
	s_lshl_b64 s[30:31], s[26:27], 3
	s_delay_alu instid0(SALU_CYCLE_1)
	v_add_co_u32 v6, vcc_lo, v16, s30
	v_add_co_ci_u32_e32 v7, vcc_lo, s31, v17, vcc_lo
	v_add_co_u32 v8, vcc_lo, v18, s30
	v_add_co_ci_u32_e32 v9, vcc_lo, s31, v19, vcc_lo
	global_load_b64 v[6:7], v[6:7], off
	global_load_b64 v[8:9], v[8:9], off
	s_waitcnt vmcnt(1)
	v_sub_co_u32 v6, vcc_lo, v6, s4
	v_subrev_co_ci_u32_e32 v7, vcc_lo, 0, v7, vcc_lo
.LBB95_14:                              ;   in Loop: Header=BB95_11 Depth=1
	s_or_b32 exec_lo, exec_lo, s28
	ds_store_b64 v14, v[6:7]
	s_waitcnt vmcnt(0)
	ds_store_b64 v15, v[8:9]
.LBB95_15:                              ;   in Loop: Header=BB95_11 Depth=1
	s_lshl_b32 s13, s13, 3
	s_waitcnt lgkmcnt(0)
	v_mov_b32_e32 v6, s13
	s_waitcnt_vscnt null, 0x0
	s_barrier
	buffer_gl0_inv
	ds_load_2addr_stride64_b64 v[6:9], v6 offset1:1
	s_waitcnt lgkmcnt(0)
	v_cmp_neq_f64_e32 vcc_lo, 0, v[8:9]
	v_readfirstlane_b32 s28, v6
	v_readfirstlane_b32 s29, v7
	s_delay_alu instid0(VALU_DEP_1) | instskip(SKIP_1) | instid1(SALU_CYCLE_1)
	s_cmp_lg_u64 s[28:29], s[20:21]
	s_cselect_b32 s13, -1, 0
	s_or_b32 s13, s34, s13
	s_delay_alu instid0(SALU_CYCLE_1) | instskip(SKIP_3) | instid1(SALU_CYCLE_1)
	s_or_b32 vcc_lo, vcc_lo, s13
	v_cndmask_b32_e32 v7, 0x3ff00000, v9, vcc_lo
	v_cndmask_b32_e32 v6, 0, v8, vcc_lo
	s_or_b32 s13, s0, vcc_lo
	s_xor_b32 s30, s13, -1
	s_delay_alu instid0(SALU_CYCLE_1)
	s_and_saveexec_b32 s13, s30
	s_cbranch_execz .LBB95_19
; %bb.16:                               ;   in Loop: Header=BB95_11 Depth=1
	v_mbcnt_lo_u32_b32 v6, exec_lo, 0
	s_mov_b32 s30, exec_lo
	s_delay_alu instid0(VALU_DEP_1)
	v_cmpx_eq_u32_e32 0, v6
	s_cbranch_execz .LBB95_18
; %bb.17:                               ;   in Loop: Header=BB95_11 Depth=1
	v_dual_mov_b32 v6, s24 :: v_dual_mov_b32 v7, s25
	global_atomic_min_u64 v20, v[6:7], s[22:23]
.LBB95_18:                              ;   in Loop: Header=BB95_11 Depth=1
	s_or_b32 exec_lo, exec_lo, s30
	v_mov_b32_e32 v6, 0
	v_mov_b32_e32 v7, 0x3ff00000
.LBB95_19:                              ;   in Loop: Header=BB95_11 Depth=1
	s_or_b32 exec_lo, exec_lo, s13
	s_cmp_lt_i32 s5, 1
	s_mov_b32 s13, 0
	s_cbranch_scc1 .LBB95_24
; %bb.20:                               ;   in Loop: Header=BB95_11 Depth=1
	s_cmp_eq_u32 s5, 1
	s_cbranch_scc0 .LBB95_25
; %bb.21:                               ;   in Loop: Header=BB95_11 Depth=1
	v_cmp_ge_i64_e64 s30, s[28:29], s[20:21]
	v_dual_mov_b32 v9, v5 :: v_dual_mov_b32 v8, v4
	s_delay_alu instid0(VALU_DEP_2)
	s_and_b32 vcc_lo, exec_lo, s30
	s_mov_b32 s30, 0
	s_cbranch_vccz .LBB95_27
; %bb.22:                               ;   in Loop: Header=BB95_11 Depth=1
	s_cmp_eq_u64 s[28:29], s[20:21]
	s_cbranch_scc0 .LBB95_26
; %bb.23:                               ;   in Loop: Header=BB95_11 Depth=1
	v_div_scale_f64 v[8:9], null, v[6:7], v[6:7], 1.0
	v_div_scale_f64 v[23:24], vcc_lo, 1.0, v[6:7], 1.0
	s_delay_alu instid0(VALU_DEP_2) | instskip(SKIP_2) | instid1(VALU_DEP_1)
	v_rcp_f64_e32 v[10:11], v[8:9]
	s_waitcnt_depctr 0xfff
	v_fma_f64 v[21:22], -v[8:9], v[10:11], 1.0
	v_fma_f64 v[10:11], v[10:11], v[21:22], v[10:11]
	s_delay_alu instid0(VALU_DEP_1) | instskip(NEXT) | instid1(VALU_DEP_1)
	v_fma_f64 v[21:22], -v[8:9], v[10:11], 1.0
	v_fma_f64 v[10:11], v[10:11], v[21:22], v[10:11]
	s_delay_alu instid0(VALU_DEP_1) | instskip(NEXT) | instid1(VALU_DEP_1)
	v_mul_f64 v[21:22], v[23:24], v[10:11]
	v_fma_f64 v[8:9], -v[8:9], v[21:22], v[23:24]
	s_delay_alu instid0(VALU_DEP_1) | instskip(NEXT) | instid1(VALU_DEP_1)
	v_div_fmas_f64 v[8:9], v[8:9], v[10:11], v[21:22]
	v_div_fixup_f64 v[8:9], v[8:9], v[6:7], 1.0
	s_delay_alu instid0(VALU_DEP_1) | instskip(NEXT) | instid1(VALU_DEP_2)
	v_cndmask_b32_e64 v9, v5, v9, s1
	v_cndmask_b32_e64 v8, v4, v8, s1
	s_branch .LBB95_27
.LBB95_24:                              ;   in Loop: Header=BB95_11 Depth=1
	s_mov_b32 s30, 0
                                        ; implicit-def: $vgpr10_vgpr11
                                        ; implicit-def: $vgpr8_vgpr9
                                        ; implicit-def: $sgpr31
	s_cbranch_execnz .LBB95_28
	s_branch .LBB95_30
.LBB95_25:                              ;   in Loop: Header=BB95_11 Depth=1
	s_mov_b32 s30, -1
                                        ; implicit-def: $vgpr10_vgpr11
                                        ; implicit-def: $vgpr8_vgpr9
                                        ; implicit-def: $sgpr31
	s_branch .LBB95_30
.LBB95_26:                              ;   in Loop: Header=BB95_11 Depth=1
	s_mov_b32 s30, -1
                                        ; implicit-def: $vgpr8_vgpr9
.LBB95_27:                              ;   in Loop: Header=BB95_11 Depth=1
	v_dual_mov_b32 v11, v3 :: v_dual_mov_b32 v10, v2
	s_mov_b32 s31, 4
	s_branch .LBB95_30
.LBB95_28:                              ;   in Loop: Header=BB95_11 Depth=1
	s_cmp_eq_u32 s5, 0
	s_cbranch_scc1 .LBB95_34
; %bb.29:                               ;   in Loop: Header=BB95_11 Depth=1
	s_mov_b32 s30, -1
                                        ; implicit-def: $vgpr10_vgpr11
                                        ; implicit-def: $vgpr8_vgpr9
                                        ; implicit-def: $sgpr31
.LBB95_30:                              ;   in Loop: Header=BB95_11 Depth=1
	s_delay_alu instid0(SALU_CYCLE_1)
	s_and_b32 vcc_lo, exec_lo, s30
	s_cbranch_vccnz .LBB95_37
.LBB95_31:                              ;   in Loop: Header=BB95_11 Depth=1
	s_and_b32 vcc_lo, exec_lo, s13
	s_cbranch_vccnz .LBB95_43
.LBB95_32:                              ;   in Loop: Header=BB95_11 Depth=1
	s_cmp_gt_i32 s31, 3
	s_mov_b32 s13, -1
	s_cbranch_scc1 .LBB95_44
.LBB95_33:                              ;   in Loop: Header=BB95_11 Depth=1
	s_cmp_eq_u32 s31, 0
	s_cselect_b32 s28, -1, 0
	s_delay_alu instid0(SALU_CYCLE_1)
	s_and_not1_b32 vcc_lo, exec_lo, s28
	s_cbranch_vccz .LBB95_9
	s_branch .LBB95_45
.LBB95_34:                              ;   in Loop: Header=BB95_11 Depth=1
	v_cmp_le_i64_e64 s30, s[28:29], s[20:21]
	s_delay_alu instid0(VALU_DEP_1)
	s_and_b32 vcc_lo, exec_lo, s30
	s_mov_b32 s30, 0
	s_cbranch_vccz .LBB95_36
; %bb.35:                               ;   in Loop: Header=BB95_11 Depth=1
	s_cmp_lg_u64 s[28:29], s[20:21]
	s_mov_b32 s13, -1
	s_cselect_b32 s30, -1, 0
.LBB95_36:                              ;   in Loop: Header=BB95_11 Depth=1
	v_dual_mov_b32 v11, v3 :: v_dual_mov_b32 v10, v2
	v_dual_mov_b32 v9, v5 :: v_dual_mov_b32 v8, v4
	s_mov_b32 s31, 2
	s_and_b32 vcc_lo, exec_lo, s30
	s_cbranch_vccz .LBB95_31
.LBB95_37:                              ;   in Loop: Header=BB95_11 Depth=1
	s_and_saveexec_b32 s13, s3
	s_cbranch_execz .LBB95_40
; %bb.38:                               ;   in Loop: Header=BB95_11 Depth=1
	s_lshl_b64 s[30:31], s[28:29], 2
	s_delay_alu instid0(SALU_CYCLE_1)
	s_add_u32 s30, s7, s30
	s_addc_u32 s31, s33, s31
	global_load_b32 v8, v20, s[30:31] glc
	s_waitcnt vmcnt(0)
	v_cmp_ne_u32_e32 vcc_lo, 0, v8
	s_cbranch_vccnz .LBB95_40
.LBB95_39:                              ;   Parent Loop BB95_11 Depth=1
                                        ; =>  This Inner Loop Header: Depth=2
	global_load_b32 v8, v20, s[30:31] glc
	s_waitcnt vmcnt(0)
	v_cmp_eq_u32_e32 vcc_lo, 0, v8
	s_cbranch_vccnz .LBB95_39
.LBB95_40:                              ;   in Loop: Header=BB95_11 Depth=1
	s_or_b32 exec_lo, exec_lo, s13
	v_mov_b32_e32 v10, 0
	v_mov_b32_e32 v11, 0
	s_waitcnt_vscnt null, 0x0
	s_barrier
	buffer_gl0_inv
	buffer_gl1_inv
	buffer_gl0_inv
	s_and_saveexec_b32 s13, s2
	s_cbranch_execz .LBB95_42
; %bb.41:                               ;   in Loop: Header=BB95_11 Depth=1
	s_mul_i32 s30, s28, s9
	s_mul_hi_u32 s31, s28, s8
	s_mul_i32 s29, s29, s8
	s_add_i32 s30, s31, s30
	s_mul_i32 s28, s28, s8
	s_add_i32 s29, s30, s29
	s_delay_alu instid0(SALU_CYCLE_1) | instskip(NEXT) | instid1(SALU_CYCLE_1)
	s_lshl_b64 s[28:29], s[28:29], 3
	v_add_co_u32 v8, vcc_lo, v12, s28
	v_add_co_ci_u32_e32 v9, vcc_lo, s29, v13, vcc_lo
	global_load_b64 v[8:9], v[8:9], off
	s_waitcnt vmcnt(0)
	v_fma_f64 v[10:11], -v[6:7], v[8:9], v[2:3]
.LBB95_42:                              ;   in Loop: Header=BB95_11 Depth=1
	s_or_b32 exec_lo, exec_lo, s13
	v_dual_mov_b32 v9, v5 :: v_dual_mov_b32 v8, v4
	s_mov_b32 s31, 0
	s_branch .LBB95_32
.LBB95_43:                              ;   in Loop: Header=BB95_11 Depth=1
	v_div_scale_f64 v[8:9], null, v[6:7], v[6:7], 1.0
	v_div_scale_f64 v[23:24], vcc_lo, 1.0, v[6:7], 1.0
	s_mov_b32 s31, 2
	s_delay_alu instid0(VALU_DEP_2) | instskip(SKIP_2) | instid1(VALU_DEP_1)
	v_rcp_f64_e32 v[10:11], v[8:9]
	s_waitcnt_depctr 0xfff
	v_fma_f64 v[21:22], -v[8:9], v[10:11], 1.0
	v_fma_f64 v[10:11], v[10:11], v[21:22], v[10:11]
	s_delay_alu instid0(VALU_DEP_1) | instskip(NEXT) | instid1(VALU_DEP_1)
	v_fma_f64 v[21:22], -v[8:9], v[10:11], 1.0
	v_fma_f64 v[10:11], v[10:11], v[21:22], v[10:11]
	s_delay_alu instid0(VALU_DEP_1) | instskip(NEXT) | instid1(VALU_DEP_1)
	v_mul_f64 v[21:22], v[23:24], v[10:11]
	v_fma_f64 v[8:9], -v[8:9], v[21:22], v[23:24]
	s_delay_alu instid0(VALU_DEP_1) | instskip(SKIP_1) | instid1(VALU_DEP_2)
	v_div_fmas_f64 v[8:9], v[8:9], v[10:11], v[21:22]
	v_dual_mov_b32 v11, v3 :: v_dual_mov_b32 v10, v2
	v_div_fixup_f64 v[6:7], v[8:9], v[6:7], 1.0
	s_delay_alu instid0(VALU_DEP_1) | instskip(NEXT) | instid1(VALU_DEP_2)
	v_cndmask_b32_e64 v9, v5, v7, s1
	v_cndmask_b32_e64 v8, v4, v6, s1
	s_cmp_gt_i32 s31, 3
	s_mov_b32 s13, -1
	s_cbranch_scc0 .LBB95_33
.LBB95_44:                              ;   in Loop: Header=BB95_11 Depth=1
	s_branch .LBB95_9
.LBB95_45:                              ;   in Loop: Header=BB95_11 Depth=1
                                        ; implicit-def: $sgpr26_sgpr27
	s_branch .LBB95_10
.LBB95_46:
	v_dual_mov_b32 v11, v3 :: v_dual_mov_b32 v10, v2
.LBB95_47:
	s_and_saveexec_b32 s0, s2
	s_cbranch_execz .LBB95_49
; %bb.48:
	s_delay_alu instid0(VALU_DEP_1) | instskip(SKIP_3) | instid1(VALU_DEP_1)
	v_mul_f64 v[1:2], v[8:9], v[10:11]
	s_cmp_eq_u32 s6, 0
	s_cselect_b32 vcc_lo, -1, 0
	s_lshl_b64 s[2:3], s[18:19], 3
	v_dual_cndmask_b32 v2, v11, v2 :: v_dual_cndmask_b32 v1, v10, v1
	v_add_co_u32 v3, vcc_lo, v12, s2
	v_add_co_ci_u32_e32 v4, vcc_lo, s3, v13, vcc_lo
	global_store_b64 v[3:4], v[1:2], off
.LBB95_49:
	s_or_b32 exec_lo, exec_lo, s0
	s_waitcnt_vscnt null, 0x0
	buffer_gl1_inv
	buffer_gl0_inv
	s_barrier
	buffer_gl0_inv
	s_mov_b32 s0, exec_lo
	v_cmpx_eq_u32_e32 0, v0
	s_cbranch_execz .LBB95_51
; %bb.50:
	s_lshl_b64 s[0:1], s[20:21], 2
	v_dual_mov_b32 v0, 0 :: v_dual_mov_b32 v1, 1
	s_add_u32 s2, s10, s0
	s_addc_u32 s3, s11, s1
	s_lshl_b64 s[0:1], s[16:17], 2
	s_delay_alu instid0(SALU_CYCLE_1)
	s_add_u32 s0, s2, s0
	s_addc_u32 s1, s3, s1
	global_store_b32 v0, v1, s[0:1]
.LBB95_51:
	s_nop 0
	s_sendmsg sendmsg(MSG_DEALLOC_VGPRS)
	s_endpgm
.LBB95_52:
                                        ; implicit-def: $sgpr24_sgpr25
	s_load_b64 s[22:23], s[0:1], 0x38
	s_branch .LBB95_4
	.section	.rodata,"a",@progbits
	.p2align	6, 0x0
	.amdhsa_kernel _ZN9rocsparseL5csrsmILj64ELj64ELb0ElldEEv20rocsparse_operation_T3_S2_NS_24const_host_device_scalarIT4_EEPKT2_PKS2_PKS4_PS4_lPiSA_PS2_21rocsparse_index_base_20rocsparse_fill_mode_20rocsparse_diag_type_b
		.amdhsa_group_segment_fixed_size 1024
		.amdhsa_private_segment_fixed_size 0
		.amdhsa_kernarg_size 112
		.amdhsa_user_sgpr_count 15
		.amdhsa_user_sgpr_dispatch_ptr 0
		.amdhsa_user_sgpr_queue_ptr 0
		.amdhsa_user_sgpr_kernarg_segment_ptr 1
		.amdhsa_user_sgpr_dispatch_id 0
		.amdhsa_user_sgpr_private_segment_size 0
		.amdhsa_wavefront_size32 1
		.amdhsa_uses_dynamic_stack 0
		.amdhsa_enable_private_segment 0
		.amdhsa_system_sgpr_workgroup_id_x 1
		.amdhsa_system_sgpr_workgroup_id_y 0
		.amdhsa_system_sgpr_workgroup_id_z 0
		.amdhsa_system_sgpr_workgroup_info 0
		.amdhsa_system_vgpr_workitem_id 0
		.amdhsa_next_free_vgpr 25
		.amdhsa_next_free_sgpr 35
		.amdhsa_reserve_vcc 1
		.amdhsa_float_round_mode_32 0
		.amdhsa_float_round_mode_16_64 0
		.amdhsa_float_denorm_mode_32 3
		.amdhsa_float_denorm_mode_16_64 3
		.amdhsa_dx10_clamp 1
		.amdhsa_ieee_mode 1
		.amdhsa_fp16_overflow 0
		.amdhsa_workgroup_processor_mode 1
		.amdhsa_memory_ordered 1
		.amdhsa_forward_progress 0
		.amdhsa_shared_vgpr_count 0
		.amdhsa_exception_fp_ieee_invalid_op 0
		.amdhsa_exception_fp_denorm_src 0
		.amdhsa_exception_fp_ieee_div_zero 0
		.amdhsa_exception_fp_ieee_overflow 0
		.amdhsa_exception_fp_ieee_underflow 0
		.amdhsa_exception_fp_ieee_inexact 0
		.amdhsa_exception_int_div_zero 0
	.end_amdhsa_kernel
	.section	.text._ZN9rocsparseL5csrsmILj64ELj64ELb0ElldEEv20rocsparse_operation_T3_S2_NS_24const_host_device_scalarIT4_EEPKT2_PKS2_PKS4_PS4_lPiSA_PS2_21rocsparse_index_base_20rocsparse_fill_mode_20rocsparse_diag_type_b,"axG",@progbits,_ZN9rocsparseL5csrsmILj64ELj64ELb0ElldEEv20rocsparse_operation_T3_S2_NS_24const_host_device_scalarIT4_EEPKT2_PKS2_PKS4_PS4_lPiSA_PS2_21rocsparse_index_base_20rocsparse_fill_mode_20rocsparse_diag_type_b,comdat
.Lfunc_end95:
	.size	_ZN9rocsparseL5csrsmILj64ELj64ELb0ElldEEv20rocsparse_operation_T3_S2_NS_24const_host_device_scalarIT4_EEPKT2_PKS2_PKS4_PS4_lPiSA_PS2_21rocsparse_index_base_20rocsparse_fill_mode_20rocsparse_diag_type_b, .Lfunc_end95-_ZN9rocsparseL5csrsmILj64ELj64ELb0ElldEEv20rocsparse_operation_T3_S2_NS_24const_host_device_scalarIT4_EEPKT2_PKS2_PKS4_PS4_lPiSA_PS2_21rocsparse_index_base_20rocsparse_fill_mode_20rocsparse_diag_type_b
                                        ; -- End function
	.section	.AMDGPU.csdata,"",@progbits
; Kernel info:
; codeLenInByte = 2536
; NumSgprs: 37
; NumVgprs: 25
; ScratchSize: 0
; MemoryBound: 0
; FloatMode: 240
; IeeeMode: 1
; LDSByteSize: 1024 bytes/workgroup (compile time only)
; SGPRBlocks: 4
; VGPRBlocks: 3
; NumSGPRsForWavesPerEU: 37
; NumVGPRsForWavesPerEU: 25
; Occupancy: 16
; WaveLimiterHint : 1
; COMPUTE_PGM_RSRC2:SCRATCH_EN: 0
; COMPUTE_PGM_RSRC2:USER_SGPR: 15
; COMPUTE_PGM_RSRC2:TRAP_HANDLER: 0
; COMPUTE_PGM_RSRC2:TGID_X_EN: 1
; COMPUTE_PGM_RSRC2:TGID_Y_EN: 0
; COMPUTE_PGM_RSRC2:TGID_Z_EN: 0
; COMPUTE_PGM_RSRC2:TIDIG_COMP_CNT: 0
	.section	.text._ZN9rocsparseL5csrsmILj128ELj64ELb1ElldEEv20rocsparse_operation_T3_S2_NS_24const_host_device_scalarIT4_EEPKT2_PKS2_PKS4_PS4_lPiSA_PS2_21rocsparse_index_base_20rocsparse_fill_mode_20rocsparse_diag_type_b,"axG",@progbits,_ZN9rocsparseL5csrsmILj128ELj64ELb1ElldEEv20rocsparse_operation_T3_S2_NS_24const_host_device_scalarIT4_EEPKT2_PKS2_PKS4_PS4_lPiSA_PS2_21rocsparse_index_base_20rocsparse_fill_mode_20rocsparse_diag_type_b,comdat
	.globl	_ZN9rocsparseL5csrsmILj128ELj64ELb1ElldEEv20rocsparse_operation_T3_S2_NS_24const_host_device_scalarIT4_EEPKT2_PKS2_PKS4_PS4_lPiSA_PS2_21rocsparse_index_base_20rocsparse_fill_mode_20rocsparse_diag_type_b ; -- Begin function _ZN9rocsparseL5csrsmILj128ELj64ELb1ElldEEv20rocsparse_operation_T3_S2_NS_24const_host_device_scalarIT4_EEPKT2_PKS2_PKS4_PS4_lPiSA_PS2_21rocsparse_index_base_20rocsparse_fill_mode_20rocsparse_diag_type_b
	.p2align	8
	.type	_ZN9rocsparseL5csrsmILj128ELj64ELb1ElldEEv20rocsparse_operation_T3_S2_NS_24const_host_device_scalarIT4_EEPKT2_PKS2_PKS4_PS4_lPiSA_PS2_21rocsparse_index_base_20rocsparse_fill_mode_20rocsparse_diag_type_b,@function
_ZN9rocsparseL5csrsmILj128ELj64ELb1ElldEEv20rocsparse_operation_T3_S2_NS_24const_host_device_scalarIT4_EEPKT2_PKS2_PKS4_PS4_lPiSA_PS2_21rocsparse_index_base_20rocsparse_fill_mode_20rocsparse_diag_type_b: ; @_ZN9rocsparseL5csrsmILj128ELj64ELb1ElldEEv20rocsparse_operation_T3_S2_NS_24const_host_device_scalarIT4_EEPKT2_PKS2_PKS4_PS4_lPiSA_PS2_21rocsparse_index_base_20rocsparse_fill_mode_20rocsparse_diag_type_b
; %bb.0:
	s_clause 0x2
	s_load_b128 s[4:7], s[0:1], 0x60
	s_load_b64 s[2:3], s[0:1], 0x18
	s_load_b128 s[16:19], s[0:1], 0x8
	s_waitcnt lgkmcnt(0)
	s_bitcmp1_b32 s7, 0
	v_dual_mov_b32 v5, s3 :: v_dual_mov_b32 v4, s2
	s_cselect_b32 s7, -1, 0
	s_delay_alu instid0(SALU_CYCLE_1)
	s_and_b32 vcc_lo, exec_lo, s7
	s_cbranch_vccnz .LBB96_2
; %bb.1:
	v_dual_mov_b32 v1, s2 :: v_dual_mov_b32 v2, s3
	flat_load_b64 v[4:5], v[1:2]
.LBB96_2:
	s_clause 0x1
	s_load_b64 s[8:9], s[0:1], 0x50
	s_load_b64 s[2:3], s[0:1], 0x20
	s_mov_b32 s10, 0
	s_mov_b32 s11, s17
	s_delay_alu instid0(SALU_CYCLE_1)
	s_cmp_lg_u64 s[10:11], 0
	s_cbranch_scc0 .LBB96_55
; %bb.3:
	s_ashr_i32 s12, s17, 31
	s_delay_alu instid0(SALU_CYCLE_1) | instskip(SKIP_2) | instid1(SALU_CYCLE_1)
	s_add_u32 s20, s16, s12
	s_mov_b32 s13, s12
	s_addc_u32 s21, s17, s12
	s_xor_b64 s[20:21], s[20:21], s[12:13]
	s_delay_alu instid0(SALU_CYCLE_1) | instskip(SKIP_3) | instid1(VALU_DEP_1)
	v_cvt_f32_u32_e32 v1, s20
	v_cvt_f32_u32_e32 v2, s21
	s_sub_u32 s14, 0, s20
	s_subb_u32 s22, 0, s21
	v_fmamk_f32 v1, v2, 0x4f800000, v1
	s_delay_alu instid0(VALU_DEP_1) | instskip(SKIP_2) | instid1(VALU_DEP_1)
	v_rcp_f32_e32 v1, v1
	s_waitcnt_depctr 0xfff
	v_mul_f32_e32 v1, 0x5f7ffffc, v1
	v_mul_f32_e32 v2, 0x2f800000, v1
	s_delay_alu instid0(VALU_DEP_1) | instskip(NEXT) | instid1(VALU_DEP_1)
	v_trunc_f32_e32 v2, v2
	v_fmamk_f32 v1, v2, 0xcf800000, v1
	v_cvt_u32_f32_e32 v2, v2
	s_delay_alu instid0(VALU_DEP_2) | instskip(NEXT) | instid1(VALU_DEP_2)
	v_cvt_u32_f32_e32 v1, v1
	v_readfirstlane_b32 s7, v2
	s_delay_alu instid0(VALU_DEP_2) | instskip(NEXT) | instid1(VALU_DEP_2)
	v_readfirstlane_b32 s11, v1
	s_mul_i32 s23, s14, s7
	s_delay_alu instid0(VALU_DEP_1)
	s_mul_hi_u32 s25, s14, s11
	s_mul_i32 s24, s22, s11
	s_add_i32 s23, s25, s23
	s_mul_i32 s26, s14, s11
	s_add_i32 s23, s23, s24
	s_mul_hi_u32 s25, s11, s26
	s_mul_hi_u32 s27, s7, s26
	s_mul_i32 s24, s7, s26
	s_mul_hi_u32 s26, s11, s23
	s_mul_i32 s11, s11, s23
	s_mul_hi_u32 s28, s7, s23
	s_add_u32 s11, s25, s11
	s_addc_u32 s25, 0, s26
	s_add_u32 s11, s11, s24
	s_mul_i32 s23, s7, s23
	s_addc_u32 s11, s25, s27
	s_addc_u32 s24, s28, 0
	s_add_u32 s11, s11, s23
	s_addc_u32 s23, 0, s24
	v_add_co_u32 v1, s11, v1, s11
	s_delay_alu instid0(VALU_DEP_1) | instskip(SKIP_1) | instid1(VALU_DEP_1)
	s_cmp_lg_u32 s11, 0
	s_addc_u32 s7, s7, s23
	v_readfirstlane_b32 s11, v1
	s_mul_i32 s23, s14, s7
	s_delay_alu instid0(VALU_DEP_1)
	s_mul_hi_u32 s24, s14, s11
	s_mul_i32 s22, s22, s11
	s_add_i32 s23, s24, s23
	s_mul_i32 s14, s14, s11
	s_add_i32 s23, s23, s22
	s_mul_hi_u32 s24, s7, s14
	s_mul_i32 s25, s7, s14
	s_mul_hi_u32 s14, s11, s14
	s_mul_hi_u32 s26, s11, s23
	s_mul_i32 s11, s11, s23
	s_mul_hi_u32 s22, s7, s23
	s_add_u32 s11, s14, s11
	s_addc_u32 s14, 0, s26
	s_add_u32 s11, s11, s25
	s_mul_i32 s23, s7, s23
	s_addc_u32 s11, s14, s24
	s_addc_u32 s14, s22, 0
	s_add_u32 s11, s11, s23
	s_addc_u32 s14, 0, s14
	v_add_co_u32 v1, s11, v1, s11
	s_delay_alu instid0(VALU_DEP_1) | instskip(SKIP_1) | instid1(VALU_DEP_1)
	s_cmp_lg_u32 s11, 0
	s_addc_u32 s7, s7, s14
	v_readfirstlane_b32 s11, v1
	s_mul_i32 s14, s15, s7
	s_mul_hi_u32 s7, s15, s7
	s_delay_alu instid0(VALU_DEP_1) | instskip(NEXT) | instid1(SALU_CYCLE_1)
	s_mul_hi_u32 s11, s15, s11
	s_add_u32 s11, s11, s14
	s_addc_u32 s7, 0, s7
	s_add_u32 s11, s11, 0
	s_addc_u32 s7, s7, 0
	s_addc_u32 s11, 0, 0
	s_add_u32 s7, s7, 0
	s_addc_u32 s11, 0, s11
	s_mul_hi_u32 s14, s20, s7
	s_mul_i32 s23, s20, s11
	s_mul_i32 s24, s20, s7
	s_add_i32 s14, s14, s23
	v_sub_co_u32 v1, s23, s15, s24
	s_mul_i32 s22, s21, s7
	s_delay_alu instid0(SALU_CYCLE_1) | instskip(NEXT) | instid1(VALU_DEP_1)
	s_add_i32 s14, s14, s22
	v_sub_co_u32 v2, s24, v1, s20
	s_sub_i32 s22, 0, s14
	s_cmp_lg_u32 s23, 0
	s_subb_u32 s22, s22, s21
	s_cmp_lg_u32 s24, 0
	v_readfirstlane_b32 s24, v2
	s_subb_u32 s22, s22, 0
	s_delay_alu instid0(SALU_CYCLE_1) | instskip(SKIP_1) | instid1(VALU_DEP_1)
	s_cmp_ge_u32 s22, s21
	s_cselect_b32 s25, -1, 0
	s_cmp_ge_u32 s24, s20
	s_cselect_b32 s24, -1, 0
	s_cmp_eq_u32 s22, s21
	s_cselect_b32 s22, s24, s25
	s_add_u32 s24, s7, 1
	s_addc_u32 s25, s11, 0
	s_add_u32 s26, s7, 2
	s_addc_u32 s27, s11, 0
	s_cmp_lg_u32 s22, 0
	s_cselect_b32 s22, s26, s24
	s_cselect_b32 s24, s27, s25
	s_cmp_lg_u32 s23, 0
	v_readfirstlane_b32 s23, v1
	s_subb_u32 s14, 0, s14
	s_delay_alu instid0(SALU_CYCLE_1) | instskip(SKIP_1) | instid1(VALU_DEP_1)
	s_cmp_ge_u32 s14, s21
	s_cselect_b32 s25, -1, 0
	s_cmp_ge_u32 s23, s20
	s_cselect_b32 s20, -1, 0
	s_cmp_eq_u32 s14, s21
	s_cselect_b32 s14, s20, s25
	s_delay_alu instid0(SALU_CYCLE_1) | instskip(SKIP_2) | instid1(SALU_CYCLE_1)
	s_cmp_lg_u32 s14, 0
	s_cselect_b32 s21, s24, s11
	s_cselect_b32 s20, s22, s7
	s_xor_b64 s[20:21], s[20:21], s[12:13]
	s_delay_alu instid0(SALU_CYCLE_1)
	s_sub_u32 s24, s20, s12
	s_subb_u32 s25, s21, s12
	s_load_b64 s[22:23], s[0:1], 0x38
	s_and_not1_b32 vcc_lo, exec_lo, s10
	s_cbranch_vccnz .LBB96_5
.LBB96_4:
	v_cvt_f32_u32_e32 v1, s16
	s_sub_i32 s10, 0, s16
	s_mov_b32 s25, 0
	s_delay_alu instid0(VALU_DEP_1) | instskip(SKIP_2) | instid1(VALU_DEP_1)
	v_rcp_iflag_f32_e32 v1, v1
	s_waitcnt_depctr 0xfff
	v_mul_f32_e32 v1, 0x4f7ffffe, v1
	v_cvt_u32_f32_e32 v1, v1
	s_delay_alu instid0(VALU_DEP_1) | instskip(NEXT) | instid1(VALU_DEP_1)
	v_readfirstlane_b32 s7, v1
	s_mul_i32 s10, s10, s7
	s_delay_alu instid0(SALU_CYCLE_1) | instskip(NEXT) | instid1(SALU_CYCLE_1)
	s_mul_hi_u32 s10, s7, s10
	s_add_i32 s7, s7, s10
	s_delay_alu instid0(SALU_CYCLE_1) | instskip(NEXT) | instid1(SALU_CYCLE_1)
	s_mul_hi_u32 s7, s15, s7
	s_mul_i32 s10, s7, s16
	s_add_i32 s11, s7, 1
	s_sub_i32 s10, s15, s10
	s_delay_alu instid0(SALU_CYCLE_1)
	s_sub_i32 s12, s10, s16
	s_cmp_ge_u32 s10, s16
	s_cselect_b32 s7, s11, s7
	s_cselect_b32 s10, s12, s10
	s_add_i32 s11, s7, 1
	s_cmp_ge_u32 s10, s16
	s_cselect_b32 s24, s11, s7
.LBB96_5:
	s_delay_alu instid0(SALU_CYCLE_1)
	s_mul_i32 s7, s24, s17
	s_mul_hi_u32 s10, s24, s16
	v_mov_b32_e32 v1, 0
	s_add_i32 s7, s10, s7
	s_mul_i32 s10, s25, s16
	s_mul_i32 s16, s24, s16
	s_add_i32 s17, s7, s10
	s_sub_u32 s10, s15, s16
	s_subb_u32 s11, 0, s17
	v_mov_b32_e32 v2, 0
	s_lshl_b64 s[10:11], s[10:11], 3
	v_mov_b32_e32 v3, 0
	s_waitcnt lgkmcnt(0)
	s_add_u32 s8, s8, s10
	s_addc_u32 s9, s9, s11
	s_load_b64 s[20:21], s[8:9], 0x0
	s_load_b128 s[8:11], s[0:1], 0x40
	s_waitcnt lgkmcnt(0)
	s_lshl_b64 s[12:13], s[20:21], 3
	s_mul_i32 s7, s21, s8
	s_add_u32 s2, s2, s12
	s_addc_u32 s3, s3, s13
	s_load_b128 s[12:15], s[2:3], 0x0
	s_lshl_b64 s[2:3], s[24:25], 7
	s_delay_alu instid0(SALU_CYCLE_1) | instskip(SKIP_3) | instid1(SALU_CYCLE_1)
	v_or_b32_e32 v6, s2, v0
	v_mov_b32_e32 v7, s3
	s_mul_i32 s2, s20, s9
	s_mul_hi_u32 s3, s20, s8
	s_add_i32 s3, s3, s2
	s_delay_alu instid0(VALU_DEP_1) | instskip(SKIP_2) | instid1(VALU_DEP_1)
	v_cmp_gt_i64_e64 s2, s[18:19], v[6:7]
	s_add_i32 s19, s3, s7
	s_mul_i32 s18, s20, s8
	s_and_saveexec_b32 s3, s2
	s_cbranch_execz .LBB96_7
; %bb.6:
	v_add_co_u32 v2, vcc_lo, v6, s18
	v_add_co_ci_u32_e32 v3, vcc_lo, s19, v7, vcc_lo
	s_delay_alu instid0(VALU_DEP_1) | instskip(NEXT) | instid1(VALU_DEP_1)
	v_lshlrev_b64 v[2:3], 3, v[2:3]
	v_add_co_u32 v2, vcc_lo, s22, v2
	s_delay_alu instid0(VALU_DEP_2)
	v_add_co_ci_u32_e32 v3, vcc_lo, s23, v3, vcc_lo
	global_load_b64 v[2:3], v[2:3], off
	s_waitcnt vmcnt(0)
	v_mul_f64 v[2:3], v[4:5], v[2:3]
.LBB96_7:
	s_or_b32 exec_lo, exec_lo, s3
	s_waitcnt vmcnt(0)
	v_lshlrev_b64 v[4:5], 3, v[6:7]
	s_waitcnt lgkmcnt(0)
	v_cmp_ge_i64_e64 s3, s[12:13], s[14:15]
	v_mov_b32_e32 v8, 0
	v_mov_b32_e32 v9, 0x3ff00000
	s_delay_alu instid0(VALU_DEP_4)
	v_add_co_u32 v12, vcc_lo, s22, v4
	v_add_co_ci_u32_e32 v13, vcc_lo, s23, v5, vcc_lo
	s_and_b32 vcc_lo, exec_lo, s3
	v_cmp_eq_u32_e64 s3, 0, v0
	s_cbranch_vccnz .LBB96_49
; %bb.8:
	s_clause 0x1
	s_load_b128 s[24:27], s[0:1], 0x28
	s_load_b64 s[22:23], s[0:1], 0x58
	s_lshl_b64 s[0:1], s[16:17], 2
	v_lshlrev_b32_e32 v14, 3, v0
	s_add_u32 s7, s10, s0
	s_addc_u32 s33, s11, s1
	s_sub_u32 s12, s12, s4
	s_subb_u32 s13, s13, 0
	s_sub_u32 s14, s14, s4
	v_mov_b32_e32 v4, 0
	v_mov_b32_e32 v5, 0x3ff00000
	s_subb_u32 s15, s15, 0
	s_cmp_lg_u32 s6, 0
	v_or_b32_e32 v15, 0x400, v14
	s_cselect_b32 s34, -1, 0
	v_mov_b32_e32 v20, 0
	s_waitcnt lgkmcnt(0)
	v_add_co_u32 v16, s0, s24, v14
	s_delay_alu instid0(VALU_DEP_1)
	v_add_co_ci_u32_e64 v17, null, s25, 0, s0
	v_add_co_u32 v18, s0, s26, v14
	s_add_u32 s24, s20, s4
	v_add_co_ci_u32_e64 v19, null, s27, 0, s0
	v_cmp_ne_u32_e64 s0, 0, v0
	s_addc_u32 s25, s21, 0
	s_cmp_eq_u32 s6, 0
	s_mov_b64 s[26:27], s[12:13]
	s_cselect_b32 s1, -1, 0
	s_branch .LBB96_11
.LBB96_9:                               ;   in Loop: Header=BB96_11 Depth=1
	s_add_u32 s26, s26, 1
	s_addc_u32 s27, s27, 0
	s_delay_alu instid0(SALU_CYCLE_1)
	v_cmp_ge_i64_e64 s13, s[26:27], s[14:15]
.LBB96_10:                              ;   in Loop: Header=BB96_11 Depth=1
	s_delay_alu instid0(VALU_DEP_2) | instskip(SKIP_1) | instid1(VALU_DEP_3)
	v_dual_mov_b32 v2, v10 :: v_dual_mov_b32 v3, v11
	v_dual_mov_b32 v4, v8 :: v_dual_mov_b32 v5, v9
	s_and_not1_b32 vcc_lo, exec_lo, s13
	s_cbranch_vccz .LBB96_50
.LBB96_11:                              ; =>This Loop Header: Depth=1
                                        ;     Child Loop BB96_47 Depth 2
                                        ;       Child Loop BB96_48 Depth 3
	s_sub_i32 s13, s26, s12
	s_delay_alu instid0(SALU_CYCLE_1) | instskip(NEXT) | instid1(SALU_CYCLE_1)
	s_and_b32 s13, s13, 0x7f
	s_cmp_lg_u32 s13, 0
	s_cbranch_scc1 .LBB96_15
; %bb.12:                               ;   in Loop: Header=BB96_11 Depth=1
	s_sub_u32 s28, s14, s26
	s_subb_u32 s29, s15, s27
	v_mov_b32_e32 v6, -1
	v_dual_mov_b32 v7, -1 :: v_dual_mov_b32 v8, 0
	v_cmp_gt_i64_e32 vcc_lo, s[28:29], v[0:1]
	v_mov_b32_e32 v9, 0xbff00000
	s_and_saveexec_b32 s28, vcc_lo
	s_cbranch_execz .LBB96_14
; %bb.13:                               ;   in Loop: Header=BB96_11 Depth=1
	s_lshl_b64 s[30:31], s[26:27], 3
	s_delay_alu instid0(SALU_CYCLE_1)
	v_add_co_u32 v6, vcc_lo, v16, s30
	v_add_co_ci_u32_e32 v7, vcc_lo, s31, v17, vcc_lo
	v_add_co_u32 v8, vcc_lo, v18, s30
	v_add_co_ci_u32_e32 v9, vcc_lo, s31, v19, vcc_lo
	global_load_b64 v[6:7], v[6:7], off
	global_load_b64 v[8:9], v[8:9], off
	s_waitcnt vmcnt(1)
	v_sub_co_u32 v6, vcc_lo, v6, s4
	v_subrev_co_ci_u32_e32 v7, vcc_lo, 0, v7, vcc_lo
.LBB96_14:                              ;   in Loop: Header=BB96_11 Depth=1
	s_or_b32 exec_lo, exec_lo, s28
	ds_store_b64 v14, v[6:7]
	s_waitcnt vmcnt(0)
	ds_store_b64 v15, v[8:9]
.LBB96_15:                              ;   in Loop: Header=BB96_11 Depth=1
	s_lshl_b32 s13, s13, 3
	s_waitcnt lgkmcnt(0)
	v_mov_b32_e32 v6, s13
	s_waitcnt_vscnt null, 0x0
	s_barrier
	buffer_gl0_inv
	ds_load_2addr_stride64_b64 v[6:9], v6 offset1:2
	s_waitcnt lgkmcnt(0)
	v_cmp_neq_f64_e32 vcc_lo, 0, v[8:9]
	v_readfirstlane_b32 s28, v6
	v_readfirstlane_b32 s29, v7
	s_delay_alu instid0(VALU_DEP_1) | instskip(SKIP_1) | instid1(SALU_CYCLE_1)
	s_cmp_lg_u64 s[28:29], s[20:21]
	s_cselect_b32 s13, -1, 0
	s_or_b32 s13, s34, s13
	s_delay_alu instid0(SALU_CYCLE_1) | instskip(SKIP_3) | instid1(SALU_CYCLE_1)
	s_or_b32 vcc_lo, vcc_lo, s13
	v_cndmask_b32_e32 v7, 0x3ff00000, v9, vcc_lo
	v_cndmask_b32_e32 v6, 0, v8, vcc_lo
	s_or_b32 s13, s0, vcc_lo
	s_xor_b32 s30, s13, -1
	s_delay_alu instid0(SALU_CYCLE_1)
	s_and_saveexec_b32 s13, s30
	s_cbranch_execz .LBB96_19
; %bb.16:                               ;   in Loop: Header=BB96_11 Depth=1
	v_mbcnt_lo_u32_b32 v6, exec_lo, 0
	s_mov_b32 s30, exec_lo
	s_delay_alu instid0(VALU_DEP_1)
	v_cmpx_eq_u32_e32 0, v6
	s_cbranch_execz .LBB96_18
; %bb.17:                               ;   in Loop: Header=BB96_11 Depth=1
	v_dual_mov_b32 v6, s24 :: v_dual_mov_b32 v7, s25
	global_atomic_min_u64 v20, v[6:7], s[22:23]
.LBB96_18:                              ;   in Loop: Header=BB96_11 Depth=1
	s_or_b32 exec_lo, exec_lo, s30
	v_mov_b32_e32 v6, 0
	v_mov_b32_e32 v7, 0x3ff00000
.LBB96_19:                              ;   in Loop: Header=BB96_11 Depth=1
	s_or_b32 exec_lo, exec_lo, s13
	s_cmp_lt_i32 s5, 1
	s_mov_b32 s13, 0
	s_cbranch_scc1 .LBB96_24
; %bb.20:                               ;   in Loop: Header=BB96_11 Depth=1
	s_cmp_eq_u32 s5, 1
	s_cbranch_scc0 .LBB96_25
; %bb.21:                               ;   in Loop: Header=BB96_11 Depth=1
	v_cmp_ge_i64_e64 s30, s[28:29], s[20:21]
	v_dual_mov_b32 v9, v5 :: v_dual_mov_b32 v8, v4
	s_delay_alu instid0(VALU_DEP_2)
	s_and_b32 vcc_lo, exec_lo, s30
	s_mov_b32 s30, 0
	s_cbranch_vccz .LBB96_27
; %bb.22:                               ;   in Loop: Header=BB96_11 Depth=1
	s_cmp_eq_u64 s[28:29], s[20:21]
	s_cbranch_scc0 .LBB96_26
; %bb.23:                               ;   in Loop: Header=BB96_11 Depth=1
	v_div_scale_f64 v[8:9], null, v[6:7], v[6:7], 1.0
	v_div_scale_f64 v[23:24], vcc_lo, 1.0, v[6:7], 1.0
	s_delay_alu instid0(VALU_DEP_2) | instskip(SKIP_2) | instid1(VALU_DEP_1)
	v_rcp_f64_e32 v[10:11], v[8:9]
	s_waitcnt_depctr 0xfff
	v_fma_f64 v[21:22], -v[8:9], v[10:11], 1.0
	v_fma_f64 v[10:11], v[10:11], v[21:22], v[10:11]
	s_delay_alu instid0(VALU_DEP_1) | instskip(NEXT) | instid1(VALU_DEP_1)
	v_fma_f64 v[21:22], -v[8:9], v[10:11], 1.0
	v_fma_f64 v[10:11], v[10:11], v[21:22], v[10:11]
	s_delay_alu instid0(VALU_DEP_1) | instskip(NEXT) | instid1(VALU_DEP_1)
	v_mul_f64 v[21:22], v[23:24], v[10:11]
	v_fma_f64 v[8:9], -v[8:9], v[21:22], v[23:24]
	s_delay_alu instid0(VALU_DEP_1) | instskip(NEXT) | instid1(VALU_DEP_1)
	v_div_fmas_f64 v[8:9], v[8:9], v[10:11], v[21:22]
	v_div_fixup_f64 v[8:9], v[8:9], v[6:7], 1.0
	s_delay_alu instid0(VALU_DEP_1) | instskip(NEXT) | instid1(VALU_DEP_2)
	v_cndmask_b32_e64 v9, v5, v9, s1
	v_cndmask_b32_e64 v8, v4, v8, s1
	s_branch .LBB96_27
.LBB96_24:                              ;   in Loop: Header=BB96_11 Depth=1
	s_mov_b32 s30, 0
                                        ; implicit-def: $vgpr10_vgpr11
                                        ; implicit-def: $vgpr8_vgpr9
                                        ; implicit-def: $sgpr31
	s_cbranch_execnz .LBB96_28
	s_branch .LBB96_30
.LBB96_25:                              ;   in Loop: Header=BB96_11 Depth=1
	s_mov_b32 s30, -1
                                        ; implicit-def: $vgpr10_vgpr11
                                        ; implicit-def: $vgpr8_vgpr9
                                        ; implicit-def: $sgpr31
	s_branch .LBB96_30
.LBB96_26:                              ;   in Loop: Header=BB96_11 Depth=1
	s_mov_b32 s30, -1
                                        ; implicit-def: $vgpr8_vgpr9
.LBB96_27:                              ;   in Loop: Header=BB96_11 Depth=1
	v_dual_mov_b32 v11, v3 :: v_dual_mov_b32 v10, v2
	s_mov_b32 s31, 4
	s_branch .LBB96_30
.LBB96_28:                              ;   in Loop: Header=BB96_11 Depth=1
	s_cmp_eq_u32 s5, 0
	s_cbranch_scc1 .LBB96_34
; %bb.29:                               ;   in Loop: Header=BB96_11 Depth=1
	s_mov_b32 s30, -1
                                        ; implicit-def: $vgpr10_vgpr11
                                        ; implicit-def: $vgpr8_vgpr9
                                        ; implicit-def: $sgpr31
.LBB96_30:                              ;   in Loop: Header=BB96_11 Depth=1
	s_delay_alu instid0(SALU_CYCLE_1)
	s_and_b32 vcc_lo, exec_lo, s30
	s_cbranch_vccnz .LBB96_37
.LBB96_31:                              ;   in Loop: Header=BB96_11 Depth=1
	s_and_b32 vcc_lo, exec_lo, s13
	s_cbranch_vccnz .LBB96_42
.LBB96_32:                              ;   in Loop: Header=BB96_11 Depth=1
	s_cmp_gt_i32 s31, 3
	s_mov_b32 s13, -1
	s_cbranch_scc1 .LBB96_43
.LBB96_33:                              ;   in Loop: Header=BB96_11 Depth=1
	s_cmp_eq_u32 s31, 0
	s_cselect_b32 s28, -1, 0
	s_delay_alu instid0(SALU_CYCLE_1)
	s_and_not1_b32 vcc_lo, exec_lo, s28
	s_cbranch_vccz .LBB96_9
	s_branch .LBB96_44
.LBB96_34:                              ;   in Loop: Header=BB96_11 Depth=1
	v_cmp_le_i64_e64 s30, s[28:29], s[20:21]
	s_delay_alu instid0(VALU_DEP_1)
	s_and_b32 vcc_lo, exec_lo, s30
	s_mov_b32 s30, 0
	s_cbranch_vccz .LBB96_36
; %bb.35:                               ;   in Loop: Header=BB96_11 Depth=1
	s_cmp_lg_u64 s[28:29], s[20:21]
	s_mov_b32 s13, -1
	s_cselect_b32 s30, -1, 0
.LBB96_36:                              ;   in Loop: Header=BB96_11 Depth=1
	v_dual_mov_b32 v11, v3 :: v_dual_mov_b32 v10, v2
	v_dual_mov_b32 v9, v5 :: v_dual_mov_b32 v8, v4
	s_mov_b32 s31, 2
	s_and_b32 vcc_lo, exec_lo, s30
	s_cbranch_vccz .LBB96_31
.LBB96_37:                              ;   in Loop: Header=BB96_11 Depth=1
	s_and_saveexec_b32 s13, s3
	s_cbranch_execz .LBB96_39
; %bb.38:                               ;   in Loop: Header=BB96_11 Depth=1
	s_lshl_b64 s[30:31], s[28:29], 2
	s_delay_alu instid0(SALU_CYCLE_1)
	s_add_u32 s30, s7, s30
	s_addc_u32 s31, s33, s31
	global_load_b32 v8, v20, s[30:31] glc
	s_waitcnt vmcnt(0)
	v_cmp_ne_u32_e32 vcc_lo, 0, v8
	s_cbranch_vccz .LBB96_45
.LBB96_39:                              ;   in Loop: Header=BB96_11 Depth=1
	s_or_b32 exec_lo, exec_lo, s13
	v_mov_b32_e32 v10, 0
	v_mov_b32_e32 v11, 0
	s_waitcnt_vscnt null, 0x0
	s_barrier
	buffer_gl0_inv
	buffer_gl1_inv
	buffer_gl0_inv
	s_and_saveexec_b32 s13, s2
	s_cbranch_execz .LBB96_41
; %bb.40:                               ;   in Loop: Header=BB96_11 Depth=1
	s_mul_i32 s30, s28, s9
	s_mul_hi_u32 s31, s28, s8
	s_mul_i32 s29, s29, s8
	s_add_i32 s30, s31, s30
	s_mul_i32 s28, s28, s8
	s_add_i32 s29, s30, s29
	s_delay_alu instid0(SALU_CYCLE_1) | instskip(NEXT) | instid1(SALU_CYCLE_1)
	s_lshl_b64 s[28:29], s[28:29], 3
	v_add_co_u32 v8, vcc_lo, v12, s28
	v_add_co_ci_u32_e32 v9, vcc_lo, s29, v13, vcc_lo
	global_load_b64 v[8:9], v[8:9], off
	s_waitcnt vmcnt(0)
	v_fma_f64 v[10:11], -v[6:7], v[8:9], v[2:3]
.LBB96_41:                              ;   in Loop: Header=BB96_11 Depth=1
	s_or_b32 exec_lo, exec_lo, s13
	v_dual_mov_b32 v9, v5 :: v_dual_mov_b32 v8, v4
	s_mov_b32 s31, 0
	s_branch .LBB96_32
.LBB96_42:                              ;   in Loop: Header=BB96_11 Depth=1
	v_div_scale_f64 v[8:9], null, v[6:7], v[6:7], 1.0
	v_div_scale_f64 v[23:24], vcc_lo, 1.0, v[6:7], 1.0
	s_mov_b32 s31, 2
	s_delay_alu instid0(VALU_DEP_2) | instskip(SKIP_2) | instid1(VALU_DEP_1)
	v_rcp_f64_e32 v[10:11], v[8:9]
	s_waitcnt_depctr 0xfff
	v_fma_f64 v[21:22], -v[8:9], v[10:11], 1.0
	v_fma_f64 v[10:11], v[10:11], v[21:22], v[10:11]
	s_delay_alu instid0(VALU_DEP_1) | instskip(NEXT) | instid1(VALU_DEP_1)
	v_fma_f64 v[21:22], -v[8:9], v[10:11], 1.0
	v_fma_f64 v[10:11], v[10:11], v[21:22], v[10:11]
	s_delay_alu instid0(VALU_DEP_1) | instskip(NEXT) | instid1(VALU_DEP_1)
	v_mul_f64 v[21:22], v[23:24], v[10:11]
	v_fma_f64 v[8:9], -v[8:9], v[21:22], v[23:24]
	s_delay_alu instid0(VALU_DEP_1) | instskip(SKIP_1) | instid1(VALU_DEP_2)
	v_div_fmas_f64 v[8:9], v[8:9], v[10:11], v[21:22]
	v_dual_mov_b32 v11, v3 :: v_dual_mov_b32 v10, v2
	v_div_fixup_f64 v[6:7], v[8:9], v[6:7], 1.0
	s_delay_alu instid0(VALU_DEP_1) | instskip(NEXT) | instid1(VALU_DEP_2)
	v_cndmask_b32_e64 v9, v5, v7, s1
	v_cndmask_b32_e64 v8, v4, v6, s1
	s_cmp_gt_i32 s31, 3
	s_mov_b32 s13, -1
	s_cbranch_scc0 .LBB96_33
.LBB96_43:                              ;   in Loop: Header=BB96_11 Depth=1
	s_branch .LBB96_9
.LBB96_44:                              ;   in Loop: Header=BB96_11 Depth=1
                                        ; implicit-def: $sgpr26_sgpr27
	s_branch .LBB96_10
.LBB96_45:                              ;   in Loop: Header=BB96_11 Depth=1
	s_mov_b32 s35, 0
	s_branch .LBB96_47
	.p2align	6
.LBB96_46:                              ;   in Loop: Header=BB96_47 Depth=2
	global_load_b32 v8, v20, s[30:31] glc
	s_cmpk_lt_u32 s35, 0xf43
	s_cselect_b32 s36, -1, 0
	s_delay_alu instid0(SALU_CYCLE_1)
	s_cmp_lg_u32 s36, 0
	s_addc_u32 s35, s35, 0
	s_waitcnt vmcnt(0)
	v_cmp_ne_u32_e32 vcc_lo, 0, v8
	s_cbranch_vccnz .LBB96_39
.LBB96_47:                              ;   Parent Loop BB96_11 Depth=1
                                        ; =>  This Loop Header: Depth=2
                                        ;       Child Loop BB96_48 Depth 3
	s_cmp_eq_u32 s35, 0
	s_mov_b32 s36, s35
	s_cbranch_scc1 .LBB96_46
.LBB96_48:                              ;   Parent Loop BB96_11 Depth=1
                                        ;     Parent Loop BB96_47 Depth=2
                                        ; =>    This Inner Loop Header: Depth=3
	s_add_i32 s36, s36, -1
	s_sleep 1
	s_cmp_eq_u32 s36, 0
	s_cbranch_scc0 .LBB96_48
	s_branch .LBB96_46
.LBB96_49:
	v_dual_mov_b32 v11, v3 :: v_dual_mov_b32 v10, v2
.LBB96_50:
	s_and_saveexec_b32 s0, s2
	s_cbranch_execz .LBB96_52
; %bb.51:
	s_delay_alu instid0(VALU_DEP_1) | instskip(SKIP_3) | instid1(VALU_DEP_1)
	v_mul_f64 v[1:2], v[8:9], v[10:11]
	s_cmp_eq_u32 s6, 0
	s_cselect_b32 vcc_lo, -1, 0
	s_lshl_b64 s[2:3], s[18:19], 3
	v_dual_cndmask_b32 v2, v11, v2 :: v_dual_cndmask_b32 v1, v10, v1
	v_add_co_u32 v3, vcc_lo, v12, s2
	v_add_co_ci_u32_e32 v4, vcc_lo, s3, v13, vcc_lo
	global_store_b64 v[3:4], v[1:2], off
.LBB96_52:
	s_or_b32 exec_lo, exec_lo, s0
	s_waitcnt_vscnt null, 0x0
	buffer_gl1_inv
	buffer_gl0_inv
	s_barrier
	buffer_gl0_inv
	s_mov_b32 s0, exec_lo
	v_cmpx_eq_u32_e32 0, v0
	s_cbranch_execz .LBB96_54
; %bb.53:
	s_lshl_b64 s[0:1], s[20:21], 2
	v_dual_mov_b32 v0, 0 :: v_dual_mov_b32 v1, 1
	s_add_u32 s2, s10, s0
	s_addc_u32 s3, s11, s1
	s_lshl_b64 s[0:1], s[16:17], 2
	s_delay_alu instid0(SALU_CYCLE_1)
	s_add_u32 s0, s2, s0
	s_addc_u32 s1, s3, s1
	global_store_b32 v0, v1, s[0:1]
.LBB96_54:
	s_nop 0
	s_sendmsg sendmsg(MSG_DEALLOC_VGPRS)
	s_endpgm
.LBB96_55:
                                        ; implicit-def: $sgpr24_sgpr25
	s_load_b64 s[22:23], s[0:1], 0x38
	s_branch .LBB96_4
	.section	.rodata,"a",@progbits
	.p2align	6, 0x0
	.amdhsa_kernel _ZN9rocsparseL5csrsmILj128ELj64ELb1ElldEEv20rocsparse_operation_T3_S2_NS_24const_host_device_scalarIT4_EEPKT2_PKS2_PKS4_PS4_lPiSA_PS2_21rocsparse_index_base_20rocsparse_fill_mode_20rocsparse_diag_type_b
		.amdhsa_group_segment_fixed_size 2048
		.amdhsa_private_segment_fixed_size 0
		.amdhsa_kernarg_size 112
		.amdhsa_user_sgpr_count 15
		.amdhsa_user_sgpr_dispatch_ptr 0
		.amdhsa_user_sgpr_queue_ptr 0
		.amdhsa_user_sgpr_kernarg_segment_ptr 1
		.amdhsa_user_sgpr_dispatch_id 0
		.amdhsa_user_sgpr_private_segment_size 0
		.amdhsa_wavefront_size32 1
		.amdhsa_uses_dynamic_stack 0
		.amdhsa_enable_private_segment 0
		.amdhsa_system_sgpr_workgroup_id_x 1
		.amdhsa_system_sgpr_workgroup_id_y 0
		.amdhsa_system_sgpr_workgroup_id_z 0
		.amdhsa_system_sgpr_workgroup_info 0
		.amdhsa_system_vgpr_workitem_id 0
		.amdhsa_next_free_vgpr 25
		.amdhsa_next_free_sgpr 37
		.amdhsa_reserve_vcc 1
		.amdhsa_float_round_mode_32 0
		.amdhsa_float_round_mode_16_64 0
		.amdhsa_float_denorm_mode_32 3
		.amdhsa_float_denorm_mode_16_64 3
		.amdhsa_dx10_clamp 1
		.amdhsa_ieee_mode 1
		.amdhsa_fp16_overflow 0
		.amdhsa_workgroup_processor_mode 1
		.amdhsa_memory_ordered 1
		.amdhsa_forward_progress 0
		.amdhsa_shared_vgpr_count 0
		.amdhsa_exception_fp_ieee_invalid_op 0
		.amdhsa_exception_fp_denorm_src 0
		.amdhsa_exception_fp_ieee_div_zero 0
		.amdhsa_exception_fp_ieee_overflow 0
		.amdhsa_exception_fp_ieee_underflow 0
		.amdhsa_exception_fp_ieee_inexact 0
		.amdhsa_exception_int_div_zero 0
	.end_amdhsa_kernel
	.section	.text._ZN9rocsparseL5csrsmILj128ELj64ELb1ElldEEv20rocsparse_operation_T3_S2_NS_24const_host_device_scalarIT4_EEPKT2_PKS2_PKS4_PS4_lPiSA_PS2_21rocsparse_index_base_20rocsparse_fill_mode_20rocsparse_diag_type_b,"axG",@progbits,_ZN9rocsparseL5csrsmILj128ELj64ELb1ElldEEv20rocsparse_operation_T3_S2_NS_24const_host_device_scalarIT4_EEPKT2_PKS2_PKS4_PS4_lPiSA_PS2_21rocsparse_index_base_20rocsparse_fill_mode_20rocsparse_diag_type_b,comdat
.Lfunc_end96:
	.size	_ZN9rocsparseL5csrsmILj128ELj64ELb1ElldEEv20rocsparse_operation_T3_S2_NS_24const_host_device_scalarIT4_EEPKT2_PKS2_PKS4_PS4_lPiSA_PS2_21rocsparse_index_base_20rocsparse_fill_mode_20rocsparse_diag_type_b, .Lfunc_end96-_ZN9rocsparseL5csrsmILj128ELj64ELb1ElldEEv20rocsparse_operation_T3_S2_NS_24const_host_device_scalarIT4_EEPKT2_PKS2_PKS4_PS4_lPiSA_PS2_21rocsparse_index_base_20rocsparse_fill_mode_20rocsparse_diag_type_b
                                        ; -- End function
	.section	.AMDGPU.csdata,"",@progbits
; Kernel info:
; codeLenInByte = 2600
; NumSgprs: 39
; NumVgprs: 25
; ScratchSize: 0
; MemoryBound: 0
; FloatMode: 240
; IeeeMode: 1
; LDSByteSize: 2048 bytes/workgroup (compile time only)
; SGPRBlocks: 4
; VGPRBlocks: 3
; NumSGPRsForWavesPerEU: 39
; NumVGPRsForWavesPerEU: 25
; Occupancy: 16
; WaveLimiterHint : 1
; COMPUTE_PGM_RSRC2:SCRATCH_EN: 0
; COMPUTE_PGM_RSRC2:USER_SGPR: 15
; COMPUTE_PGM_RSRC2:TRAP_HANDLER: 0
; COMPUTE_PGM_RSRC2:TGID_X_EN: 1
; COMPUTE_PGM_RSRC2:TGID_Y_EN: 0
; COMPUTE_PGM_RSRC2:TGID_Z_EN: 0
; COMPUTE_PGM_RSRC2:TIDIG_COMP_CNT: 0
	.section	.text._ZN9rocsparseL5csrsmILj128ELj64ELb0ElldEEv20rocsparse_operation_T3_S2_NS_24const_host_device_scalarIT4_EEPKT2_PKS2_PKS4_PS4_lPiSA_PS2_21rocsparse_index_base_20rocsparse_fill_mode_20rocsparse_diag_type_b,"axG",@progbits,_ZN9rocsparseL5csrsmILj128ELj64ELb0ElldEEv20rocsparse_operation_T3_S2_NS_24const_host_device_scalarIT4_EEPKT2_PKS2_PKS4_PS4_lPiSA_PS2_21rocsparse_index_base_20rocsparse_fill_mode_20rocsparse_diag_type_b,comdat
	.globl	_ZN9rocsparseL5csrsmILj128ELj64ELb0ElldEEv20rocsparse_operation_T3_S2_NS_24const_host_device_scalarIT4_EEPKT2_PKS2_PKS4_PS4_lPiSA_PS2_21rocsparse_index_base_20rocsparse_fill_mode_20rocsparse_diag_type_b ; -- Begin function _ZN9rocsparseL5csrsmILj128ELj64ELb0ElldEEv20rocsparse_operation_T3_S2_NS_24const_host_device_scalarIT4_EEPKT2_PKS2_PKS4_PS4_lPiSA_PS2_21rocsparse_index_base_20rocsparse_fill_mode_20rocsparse_diag_type_b
	.p2align	8
	.type	_ZN9rocsparseL5csrsmILj128ELj64ELb0ElldEEv20rocsparse_operation_T3_S2_NS_24const_host_device_scalarIT4_EEPKT2_PKS2_PKS4_PS4_lPiSA_PS2_21rocsparse_index_base_20rocsparse_fill_mode_20rocsparse_diag_type_b,@function
_ZN9rocsparseL5csrsmILj128ELj64ELb0ElldEEv20rocsparse_operation_T3_S2_NS_24const_host_device_scalarIT4_EEPKT2_PKS2_PKS4_PS4_lPiSA_PS2_21rocsparse_index_base_20rocsparse_fill_mode_20rocsparse_diag_type_b: ; @_ZN9rocsparseL5csrsmILj128ELj64ELb0ElldEEv20rocsparse_operation_T3_S2_NS_24const_host_device_scalarIT4_EEPKT2_PKS2_PKS4_PS4_lPiSA_PS2_21rocsparse_index_base_20rocsparse_fill_mode_20rocsparse_diag_type_b
; %bb.0:
	s_clause 0x2
	s_load_b128 s[4:7], s[0:1], 0x60
	s_load_b64 s[2:3], s[0:1], 0x18
	s_load_b128 s[16:19], s[0:1], 0x8
	s_waitcnt lgkmcnt(0)
	s_bitcmp1_b32 s7, 0
	v_dual_mov_b32 v5, s3 :: v_dual_mov_b32 v4, s2
	s_cselect_b32 s7, -1, 0
	s_delay_alu instid0(SALU_CYCLE_1)
	s_and_b32 vcc_lo, exec_lo, s7
	s_cbranch_vccnz .LBB97_2
; %bb.1:
	v_dual_mov_b32 v1, s2 :: v_dual_mov_b32 v2, s3
	flat_load_b64 v[4:5], v[1:2]
.LBB97_2:
	s_clause 0x1
	s_load_b64 s[8:9], s[0:1], 0x50
	s_load_b64 s[2:3], s[0:1], 0x20
	s_mov_b32 s10, 0
	s_mov_b32 s11, s17
	s_delay_alu instid0(SALU_CYCLE_1)
	s_cmp_lg_u64 s[10:11], 0
	s_cbranch_scc0 .LBB97_52
; %bb.3:
	s_ashr_i32 s12, s17, 31
	s_delay_alu instid0(SALU_CYCLE_1) | instskip(SKIP_2) | instid1(SALU_CYCLE_1)
	s_add_u32 s20, s16, s12
	s_mov_b32 s13, s12
	s_addc_u32 s21, s17, s12
	s_xor_b64 s[20:21], s[20:21], s[12:13]
	s_delay_alu instid0(SALU_CYCLE_1) | instskip(SKIP_3) | instid1(VALU_DEP_1)
	v_cvt_f32_u32_e32 v1, s20
	v_cvt_f32_u32_e32 v2, s21
	s_sub_u32 s14, 0, s20
	s_subb_u32 s22, 0, s21
	v_fmamk_f32 v1, v2, 0x4f800000, v1
	s_delay_alu instid0(VALU_DEP_1) | instskip(SKIP_2) | instid1(VALU_DEP_1)
	v_rcp_f32_e32 v1, v1
	s_waitcnt_depctr 0xfff
	v_mul_f32_e32 v1, 0x5f7ffffc, v1
	v_mul_f32_e32 v2, 0x2f800000, v1
	s_delay_alu instid0(VALU_DEP_1) | instskip(NEXT) | instid1(VALU_DEP_1)
	v_trunc_f32_e32 v2, v2
	v_fmamk_f32 v1, v2, 0xcf800000, v1
	v_cvt_u32_f32_e32 v2, v2
	s_delay_alu instid0(VALU_DEP_2) | instskip(NEXT) | instid1(VALU_DEP_2)
	v_cvt_u32_f32_e32 v1, v1
	v_readfirstlane_b32 s7, v2
	s_delay_alu instid0(VALU_DEP_2) | instskip(NEXT) | instid1(VALU_DEP_2)
	v_readfirstlane_b32 s11, v1
	s_mul_i32 s23, s14, s7
	s_delay_alu instid0(VALU_DEP_1)
	s_mul_hi_u32 s25, s14, s11
	s_mul_i32 s24, s22, s11
	s_add_i32 s23, s25, s23
	s_mul_i32 s26, s14, s11
	s_add_i32 s23, s23, s24
	s_mul_hi_u32 s25, s11, s26
	s_mul_hi_u32 s27, s7, s26
	s_mul_i32 s24, s7, s26
	s_mul_hi_u32 s26, s11, s23
	s_mul_i32 s11, s11, s23
	s_mul_hi_u32 s28, s7, s23
	s_add_u32 s11, s25, s11
	s_addc_u32 s25, 0, s26
	s_add_u32 s11, s11, s24
	s_mul_i32 s23, s7, s23
	s_addc_u32 s11, s25, s27
	s_addc_u32 s24, s28, 0
	s_add_u32 s11, s11, s23
	s_addc_u32 s23, 0, s24
	v_add_co_u32 v1, s11, v1, s11
	s_delay_alu instid0(VALU_DEP_1) | instskip(SKIP_1) | instid1(VALU_DEP_1)
	s_cmp_lg_u32 s11, 0
	s_addc_u32 s7, s7, s23
	v_readfirstlane_b32 s11, v1
	s_mul_i32 s23, s14, s7
	s_delay_alu instid0(VALU_DEP_1)
	s_mul_hi_u32 s24, s14, s11
	s_mul_i32 s22, s22, s11
	s_add_i32 s23, s24, s23
	s_mul_i32 s14, s14, s11
	s_add_i32 s23, s23, s22
	s_mul_hi_u32 s24, s7, s14
	s_mul_i32 s25, s7, s14
	s_mul_hi_u32 s14, s11, s14
	s_mul_hi_u32 s26, s11, s23
	s_mul_i32 s11, s11, s23
	s_mul_hi_u32 s22, s7, s23
	s_add_u32 s11, s14, s11
	s_addc_u32 s14, 0, s26
	s_add_u32 s11, s11, s25
	s_mul_i32 s23, s7, s23
	s_addc_u32 s11, s14, s24
	s_addc_u32 s14, s22, 0
	s_add_u32 s11, s11, s23
	s_addc_u32 s14, 0, s14
	v_add_co_u32 v1, s11, v1, s11
	s_delay_alu instid0(VALU_DEP_1) | instskip(SKIP_1) | instid1(VALU_DEP_1)
	s_cmp_lg_u32 s11, 0
	s_addc_u32 s7, s7, s14
	v_readfirstlane_b32 s11, v1
	s_mul_i32 s14, s15, s7
	s_mul_hi_u32 s7, s15, s7
	s_delay_alu instid0(VALU_DEP_1) | instskip(NEXT) | instid1(SALU_CYCLE_1)
	s_mul_hi_u32 s11, s15, s11
	s_add_u32 s11, s11, s14
	s_addc_u32 s7, 0, s7
	s_add_u32 s11, s11, 0
	s_addc_u32 s7, s7, 0
	s_addc_u32 s11, 0, 0
	s_add_u32 s7, s7, 0
	s_addc_u32 s11, 0, s11
	s_mul_hi_u32 s14, s20, s7
	s_mul_i32 s23, s20, s11
	s_mul_i32 s24, s20, s7
	s_add_i32 s14, s14, s23
	v_sub_co_u32 v1, s23, s15, s24
	s_mul_i32 s22, s21, s7
	s_delay_alu instid0(SALU_CYCLE_1) | instskip(NEXT) | instid1(VALU_DEP_1)
	s_add_i32 s14, s14, s22
	v_sub_co_u32 v2, s24, v1, s20
	s_sub_i32 s22, 0, s14
	s_cmp_lg_u32 s23, 0
	s_subb_u32 s22, s22, s21
	s_cmp_lg_u32 s24, 0
	v_readfirstlane_b32 s24, v2
	s_subb_u32 s22, s22, 0
	s_delay_alu instid0(SALU_CYCLE_1) | instskip(SKIP_1) | instid1(VALU_DEP_1)
	s_cmp_ge_u32 s22, s21
	s_cselect_b32 s25, -1, 0
	s_cmp_ge_u32 s24, s20
	s_cselect_b32 s24, -1, 0
	s_cmp_eq_u32 s22, s21
	s_cselect_b32 s22, s24, s25
	s_add_u32 s24, s7, 1
	s_addc_u32 s25, s11, 0
	s_add_u32 s26, s7, 2
	s_addc_u32 s27, s11, 0
	s_cmp_lg_u32 s22, 0
	s_cselect_b32 s22, s26, s24
	s_cselect_b32 s24, s27, s25
	s_cmp_lg_u32 s23, 0
	v_readfirstlane_b32 s23, v1
	s_subb_u32 s14, 0, s14
	s_delay_alu instid0(SALU_CYCLE_1) | instskip(SKIP_1) | instid1(VALU_DEP_1)
	s_cmp_ge_u32 s14, s21
	s_cselect_b32 s25, -1, 0
	s_cmp_ge_u32 s23, s20
	s_cselect_b32 s20, -1, 0
	s_cmp_eq_u32 s14, s21
	s_cselect_b32 s14, s20, s25
	s_delay_alu instid0(SALU_CYCLE_1) | instskip(SKIP_2) | instid1(SALU_CYCLE_1)
	s_cmp_lg_u32 s14, 0
	s_cselect_b32 s21, s24, s11
	s_cselect_b32 s20, s22, s7
	s_xor_b64 s[20:21], s[20:21], s[12:13]
	s_delay_alu instid0(SALU_CYCLE_1)
	s_sub_u32 s24, s20, s12
	s_subb_u32 s25, s21, s12
	s_load_b64 s[22:23], s[0:1], 0x38
	s_and_not1_b32 vcc_lo, exec_lo, s10
	s_cbranch_vccnz .LBB97_5
.LBB97_4:
	v_cvt_f32_u32_e32 v1, s16
	s_sub_i32 s10, 0, s16
	s_mov_b32 s25, 0
	s_delay_alu instid0(VALU_DEP_1) | instskip(SKIP_2) | instid1(VALU_DEP_1)
	v_rcp_iflag_f32_e32 v1, v1
	s_waitcnt_depctr 0xfff
	v_mul_f32_e32 v1, 0x4f7ffffe, v1
	v_cvt_u32_f32_e32 v1, v1
	s_delay_alu instid0(VALU_DEP_1) | instskip(NEXT) | instid1(VALU_DEP_1)
	v_readfirstlane_b32 s7, v1
	s_mul_i32 s10, s10, s7
	s_delay_alu instid0(SALU_CYCLE_1) | instskip(NEXT) | instid1(SALU_CYCLE_1)
	s_mul_hi_u32 s10, s7, s10
	s_add_i32 s7, s7, s10
	s_delay_alu instid0(SALU_CYCLE_1) | instskip(NEXT) | instid1(SALU_CYCLE_1)
	s_mul_hi_u32 s7, s15, s7
	s_mul_i32 s10, s7, s16
	s_add_i32 s11, s7, 1
	s_sub_i32 s10, s15, s10
	s_delay_alu instid0(SALU_CYCLE_1)
	s_sub_i32 s12, s10, s16
	s_cmp_ge_u32 s10, s16
	s_cselect_b32 s7, s11, s7
	s_cselect_b32 s10, s12, s10
	s_add_i32 s11, s7, 1
	s_cmp_ge_u32 s10, s16
	s_cselect_b32 s24, s11, s7
.LBB97_5:
	s_delay_alu instid0(SALU_CYCLE_1)
	s_mul_i32 s7, s24, s17
	s_mul_hi_u32 s10, s24, s16
	v_mov_b32_e32 v1, 0
	s_add_i32 s7, s10, s7
	s_mul_i32 s10, s25, s16
	s_mul_i32 s16, s24, s16
	s_add_i32 s17, s7, s10
	s_sub_u32 s10, s15, s16
	s_subb_u32 s11, 0, s17
	v_mov_b32_e32 v2, 0
	s_lshl_b64 s[10:11], s[10:11], 3
	v_mov_b32_e32 v3, 0
	s_waitcnt lgkmcnt(0)
	s_add_u32 s8, s8, s10
	s_addc_u32 s9, s9, s11
	s_load_b64 s[20:21], s[8:9], 0x0
	s_load_b128 s[8:11], s[0:1], 0x40
	s_waitcnt lgkmcnt(0)
	s_lshl_b64 s[12:13], s[20:21], 3
	s_mul_i32 s7, s21, s8
	s_add_u32 s2, s2, s12
	s_addc_u32 s3, s3, s13
	s_load_b128 s[12:15], s[2:3], 0x0
	s_lshl_b64 s[2:3], s[24:25], 7
	s_delay_alu instid0(SALU_CYCLE_1) | instskip(SKIP_3) | instid1(SALU_CYCLE_1)
	v_or_b32_e32 v6, s2, v0
	v_mov_b32_e32 v7, s3
	s_mul_i32 s2, s20, s9
	s_mul_hi_u32 s3, s20, s8
	s_add_i32 s3, s3, s2
	s_delay_alu instid0(VALU_DEP_1) | instskip(SKIP_2) | instid1(VALU_DEP_1)
	v_cmp_gt_i64_e64 s2, s[18:19], v[6:7]
	s_add_i32 s19, s3, s7
	s_mul_i32 s18, s20, s8
	s_and_saveexec_b32 s3, s2
	s_cbranch_execz .LBB97_7
; %bb.6:
	v_add_co_u32 v2, vcc_lo, v6, s18
	v_add_co_ci_u32_e32 v3, vcc_lo, s19, v7, vcc_lo
	s_delay_alu instid0(VALU_DEP_1) | instskip(NEXT) | instid1(VALU_DEP_1)
	v_lshlrev_b64 v[2:3], 3, v[2:3]
	v_add_co_u32 v2, vcc_lo, s22, v2
	s_delay_alu instid0(VALU_DEP_2)
	v_add_co_ci_u32_e32 v3, vcc_lo, s23, v3, vcc_lo
	global_load_b64 v[2:3], v[2:3], off
	s_waitcnt vmcnt(0)
	v_mul_f64 v[2:3], v[4:5], v[2:3]
.LBB97_7:
	s_or_b32 exec_lo, exec_lo, s3
	s_waitcnt vmcnt(0)
	v_lshlrev_b64 v[4:5], 3, v[6:7]
	s_waitcnt lgkmcnt(0)
	v_cmp_ge_i64_e64 s3, s[12:13], s[14:15]
	v_mov_b32_e32 v8, 0
	v_mov_b32_e32 v9, 0x3ff00000
	s_delay_alu instid0(VALU_DEP_4)
	v_add_co_u32 v12, vcc_lo, s22, v4
	v_add_co_ci_u32_e32 v13, vcc_lo, s23, v5, vcc_lo
	s_and_b32 vcc_lo, exec_lo, s3
	v_cmp_eq_u32_e64 s3, 0, v0
	s_cbranch_vccnz .LBB97_46
; %bb.8:
	s_clause 0x1
	s_load_b128 s[24:27], s[0:1], 0x28
	s_load_b64 s[22:23], s[0:1], 0x58
	s_lshl_b64 s[0:1], s[16:17], 2
	v_lshlrev_b32_e32 v14, 3, v0
	s_add_u32 s7, s10, s0
	s_addc_u32 s33, s11, s1
	s_sub_u32 s12, s12, s4
	s_subb_u32 s13, s13, 0
	s_sub_u32 s14, s14, s4
	v_mov_b32_e32 v4, 0
	v_mov_b32_e32 v5, 0x3ff00000
	s_subb_u32 s15, s15, 0
	s_cmp_lg_u32 s6, 0
	v_or_b32_e32 v15, 0x400, v14
	s_cselect_b32 s34, -1, 0
	v_mov_b32_e32 v20, 0
	s_waitcnt lgkmcnt(0)
	v_add_co_u32 v16, s0, s24, v14
	s_delay_alu instid0(VALU_DEP_1)
	v_add_co_ci_u32_e64 v17, null, s25, 0, s0
	v_add_co_u32 v18, s0, s26, v14
	s_add_u32 s24, s20, s4
	v_add_co_ci_u32_e64 v19, null, s27, 0, s0
	v_cmp_ne_u32_e64 s0, 0, v0
	s_addc_u32 s25, s21, 0
	s_cmp_eq_u32 s6, 0
	s_mov_b64 s[26:27], s[12:13]
	s_cselect_b32 s1, -1, 0
	s_branch .LBB97_11
.LBB97_9:                               ;   in Loop: Header=BB97_11 Depth=1
	s_add_u32 s26, s26, 1
	s_addc_u32 s27, s27, 0
	s_delay_alu instid0(SALU_CYCLE_1)
	v_cmp_ge_i64_e64 s13, s[26:27], s[14:15]
.LBB97_10:                              ;   in Loop: Header=BB97_11 Depth=1
	s_delay_alu instid0(VALU_DEP_2) | instskip(SKIP_1) | instid1(VALU_DEP_3)
	v_dual_mov_b32 v2, v10 :: v_dual_mov_b32 v3, v11
	v_dual_mov_b32 v4, v8 :: v_dual_mov_b32 v5, v9
	s_and_not1_b32 vcc_lo, exec_lo, s13
	s_cbranch_vccz .LBB97_47
.LBB97_11:                              ; =>This Loop Header: Depth=1
                                        ;     Child Loop BB97_39 Depth 2
	s_sub_i32 s13, s26, s12
	s_delay_alu instid0(SALU_CYCLE_1) | instskip(NEXT) | instid1(SALU_CYCLE_1)
	s_and_b32 s13, s13, 0x7f
	s_cmp_lg_u32 s13, 0
	s_cbranch_scc1 .LBB97_15
; %bb.12:                               ;   in Loop: Header=BB97_11 Depth=1
	s_sub_u32 s28, s14, s26
	s_subb_u32 s29, s15, s27
	v_mov_b32_e32 v6, -1
	v_dual_mov_b32 v7, -1 :: v_dual_mov_b32 v8, 0
	v_cmp_gt_i64_e32 vcc_lo, s[28:29], v[0:1]
	v_mov_b32_e32 v9, 0xbff00000
	s_and_saveexec_b32 s28, vcc_lo
	s_cbranch_execz .LBB97_14
; %bb.13:                               ;   in Loop: Header=BB97_11 Depth=1
	s_lshl_b64 s[30:31], s[26:27], 3
	s_delay_alu instid0(SALU_CYCLE_1)
	v_add_co_u32 v6, vcc_lo, v16, s30
	v_add_co_ci_u32_e32 v7, vcc_lo, s31, v17, vcc_lo
	v_add_co_u32 v8, vcc_lo, v18, s30
	v_add_co_ci_u32_e32 v9, vcc_lo, s31, v19, vcc_lo
	global_load_b64 v[6:7], v[6:7], off
	global_load_b64 v[8:9], v[8:9], off
	s_waitcnt vmcnt(1)
	v_sub_co_u32 v6, vcc_lo, v6, s4
	v_subrev_co_ci_u32_e32 v7, vcc_lo, 0, v7, vcc_lo
.LBB97_14:                              ;   in Loop: Header=BB97_11 Depth=1
	s_or_b32 exec_lo, exec_lo, s28
	ds_store_b64 v14, v[6:7]
	s_waitcnt vmcnt(0)
	ds_store_b64 v15, v[8:9]
.LBB97_15:                              ;   in Loop: Header=BB97_11 Depth=1
	s_lshl_b32 s13, s13, 3
	s_waitcnt lgkmcnt(0)
	v_mov_b32_e32 v6, s13
	s_waitcnt_vscnt null, 0x0
	s_barrier
	buffer_gl0_inv
	ds_load_2addr_stride64_b64 v[6:9], v6 offset1:2
	s_waitcnt lgkmcnt(0)
	v_cmp_neq_f64_e32 vcc_lo, 0, v[8:9]
	v_readfirstlane_b32 s28, v6
	v_readfirstlane_b32 s29, v7
	s_delay_alu instid0(VALU_DEP_1) | instskip(SKIP_1) | instid1(SALU_CYCLE_1)
	s_cmp_lg_u64 s[28:29], s[20:21]
	s_cselect_b32 s13, -1, 0
	s_or_b32 s13, s34, s13
	s_delay_alu instid0(SALU_CYCLE_1) | instskip(SKIP_3) | instid1(SALU_CYCLE_1)
	s_or_b32 vcc_lo, vcc_lo, s13
	v_cndmask_b32_e32 v7, 0x3ff00000, v9, vcc_lo
	v_cndmask_b32_e32 v6, 0, v8, vcc_lo
	s_or_b32 s13, s0, vcc_lo
	s_xor_b32 s30, s13, -1
	s_delay_alu instid0(SALU_CYCLE_1)
	s_and_saveexec_b32 s13, s30
	s_cbranch_execz .LBB97_19
; %bb.16:                               ;   in Loop: Header=BB97_11 Depth=1
	v_mbcnt_lo_u32_b32 v6, exec_lo, 0
	s_mov_b32 s30, exec_lo
	s_delay_alu instid0(VALU_DEP_1)
	v_cmpx_eq_u32_e32 0, v6
	s_cbranch_execz .LBB97_18
; %bb.17:                               ;   in Loop: Header=BB97_11 Depth=1
	v_dual_mov_b32 v6, s24 :: v_dual_mov_b32 v7, s25
	global_atomic_min_u64 v20, v[6:7], s[22:23]
.LBB97_18:                              ;   in Loop: Header=BB97_11 Depth=1
	s_or_b32 exec_lo, exec_lo, s30
	v_mov_b32_e32 v6, 0
	v_mov_b32_e32 v7, 0x3ff00000
.LBB97_19:                              ;   in Loop: Header=BB97_11 Depth=1
	s_or_b32 exec_lo, exec_lo, s13
	s_cmp_lt_i32 s5, 1
	s_mov_b32 s13, 0
	s_cbranch_scc1 .LBB97_24
; %bb.20:                               ;   in Loop: Header=BB97_11 Depth=1
	s_cmp_eq_u32 s5, 1
	s_cbranch_scc0 .LBB97_25
; %bb.21:                               ;   in Loop: Header=BB97_11 Depth=1
	v_cmp_ge_i64_e64 s30, s[28:29], s[20:21]
	v_dual_mov_b32 v9, v5 :: v_dual_mov_b32 v8, v4
	s_delay_alu instid0(VALU_DEP_2)
	s_and_b32 vcc_lo, exec_lo, s30
	s_mov_b32 s30, 0
	s_cbranch_vccz .LBB97_27
; %bb.22:                               ;   in Loop: Header=BB97_11 Depth=1
	s_cmp_eq_u64 s[28:29], s[20:21]
	s_cbranch_scc0 .LBB97_26
; %bb.23:                               ;   in Loop: Header=BB97_11 Depth=1
	v_div_scale_f64 v[8:9], null, v[6:7], v[6:7], 1.0
	v_div_scale_f64 v[23:24], vcc_lo, 1.0, v[6:7], 1.0
	s_delay_alu instid0(VALU_DEP_2) | instskip(SKIP_2) | instid1(VALU_DEP_1)
	v_rcp_f64_e32 v[10:11], v[8:9]
	s_waitcnt_depctr 0xfff
	v_fma_f64 v[21:22], -v[8:9], v[10:11], 1.0
	v_fma_f64 v[10:11], v[10:11], v[21:22], v[10:11]
	s_delay_alu instid0(VALU_DEP_1) | instskip(NEXT) | instid1(VALU_DEP_1)
	v_fma_f64 v[21:22], -v[8:9], v[10:11], 1.0
	v_fma_f64 v[10:11], v[10:11], v[21:22], v[10:11]
	s_delay_alu instid0(VALU_DEP_1) | instskip(NEXT) | instid1(VALU_DEP_1)
	v_mul_f64 v[21:22], v[23:24], v[10:11]
	v_fma_f64 v[8:9], -v[8:9], v[21:22], v[23:24]
	s_delay_alu instid0(VALU_DEP_1) | instskip(NEXT) | instid1(VALU_DEP_1)
	v_div_fmas_f64 v[8:9], v[8:9], v[10:11], v[21:22]
	v_div_fixup_f64 v[8:9], v[8:9], v[6:7], 1.0
	s_delay_alu instid0(VALU_DEP_1) | instskip(NEXT) | instid1(VALU_DEP_2)
	v_cndmask_b32_e64 v9, v5, v9, s1
	v_cndmask_b32_e64 v8, v4, v8, s1
	s_branch .LBB97_27
.LBB97_24:                              ;   in Loop: Header=BB97_11 Depth=1
	s_mov_b32 s30, 0
                                        ; implicit-def: $vgpr10_vgpr11
                                        ; implicit-def: $vgpr8_vgpr9
                                        ; implicit-def: $sgpr31
	s_cbranch_execnz .LBB97_28
	s_branch .LBB97_30
.LBB97_25:                              ;   in Loop: Header=BB97_11 Depth=1
	s_mov_b32 s30, -1
                                        ; implicit-def: $vgpr10_vgpr11
                                        ; implicit-def: $vgpr8_vgpr9
                                        ; implicit-def: $sgpr31
	s_branch .LBB97_30
.LBB97_26:                              ;   in Loop: Header=BB97_11 Depth=1
	s_mov_b32 s30, -1
                                        ; implicit-def: $vgpr8_vgpr9
.LBB97_27:                              ;   in Loop: Header=BB97_11 Depth=1
	v_dual_mov_b32 v11, v3 :: v_dual_mov_b32 v10, v2
	s_mov_b32 s31, 4
	s_branch .LBB97_30
.LBB97_28:                              ;   in Loop: Header=BB97_11 Depth=1
	s_cmp_eq_u32 s5, 0
	s_cbranch_scc1 .LBB97_34
; %bb.29:                               ;   in Loop: Header=BB97_11 Depth=1
	s_mov_b32 s30, -1
                                        ; implicit-def: $vgpr10_vgpr11
                                        ; implicit-def: $vgpr8_vgpr9
                                        ; implicit-def: $sgpr31
.LBB97_30:                              ;   in Loop: Header=BB97_11 Depth=1
	s_delay_alu instid0(SALU_CYCLE_1)
	s_and_b32 vcc_lo, exec_lo, s30
	s_cbranch_vccnz .LBB97_37
.LBB97_31:                              ;   in Loop: Header=BB97_11 Depth=1
	s_and_b32 vcc_lo, exec_lo, s13
	s_cbranch_vccnz .LBB97_43
.LBB97_32:                              ;   in Loop: Header=BB97_11 Depth=1
	s_cmp_gt_i32 s31, 3
	s_mov_b32 s13, -1
	s_cbranch_scc1 .LBB97_44
.LBB97_33:                              ;   in Loop: Header=BB97_11 Depth=1
	s_cmp_eq_u32 s31, 0
	s_cselect_b32 s28, -1, 0
	s_delay_alu instid0(SALU_CYCLE_1)
	s_and_not1_b32 vcc_lo, exec_lo, s28
	s_cbranch_vccz .LBB97_9
	s_branch .LBB97_45
.LBB97_34:                              ;   in Loop: Header=BB97_11 Depth=1
	v_cmp_le_i64_e64 s30, s[28:29], s[20:21]
	s_delay_alu instid0(VALU_DEP_1)
	s_and_b32 vcc_lo, exec_lo, s30
	s_mov_b32 s30, 0
	s_cbranch_vccz .LBB97_36
; %bb.35:                               ;   in Loop: Header=BB97_11 Depth=1
	s_cmp_lg_u64 s[28:29], s[20:21]
	s_mov_b32 s13, -1
	s_cselect_b32 s30, -1, 0
.LBB97_36:                              ;   in Loop: Header=BB97_11 Depth=1
	v_dual_mov_b32 v11, v3 :: v_dual_mov_b32 v10, v2
	v_dual_mov_b32 v9, v5 :: v_dual_mov_b32 v8, v4
	s_mov_b32 s31, 2
	s_and_b32 vcc_lo, exec_lo, s30
	s_cbranch_vccz .LBB97_31
.LBB97_37:                              ;   in Loop: Header=BB97_11 Depth=1
	s_and_saveexec_b32 s13, s3
	s_cbranch_execz .LBB97_40
; %bb.38:                               ;   in Loop: Header=BB97_11 Depth=1
	s_lshl_b64 s[30:31], s[28:29], 2
	s_delay_alu instid0(SALU_CYCLE_1)
	s_add_u32 s30, s7, s30
	s_addc_u32 s31, s33, s31
	global_load_b32 v8, v20, s[30:31] glc
	s_waitcnt vmcnt(0)
	v_cmp_ne_u32_e32 vcc_lo, 0, v8
	s_cbranch_vccnz .LBB97_40
.LBB97_39:                              ;   Parent Loop BB97_11 Depth=1
                                        ; =>  This Inner Loop Header: Depth=2
	global_load_b32 v8, v20, s[30:31] glc
	s_waitcnt vmcnt(0)
	v_cmp_eq_u32_e32 vcc_lo, 0, v8
	s_cbranch_vccnz .LBB97_39
.LBB97_40:                              ;   in Loop: Header=BB97_11 Depth=1
	s_or_b32 exec_lo, exec_lo, s13
	v_mov_b32_e32 v10, 0
	v_mov_b32_e32 v11, 0
	s_waitcnt_vscnt null, 0x0
	s_barrier
	buffer_gl0_inv
	buffer_gl1_inv
	buffer_gl0_inv
	s_and_saveexec_b32 s13, s2
	s_cbranch_execz .LBB97_42
; %bb.41:                               ;   in Loop: Header=BB97_11 Depth=1
	s_mul_i32 s30, s28, s9
	s_mul_hi_u32 s31, s28, s8
	s_mul_i32 s29, s29, s8
	s_add_i32 s30, s31, s30
	s_mul_i32 s28, s28, s8
	s_add_i32 s29, s30, s29
	s_delay_alu instid0(SALU_CYCLE_1) | instskip(NEXT) | instid1(SALU_CYCLE_1)
	s_lshl_b64 s[28:29], s[28:29], 3
	v_add_co_u32 v8, vcc_lo, v12, s28
	v_add_co_ci_u32_e32 v9, vcc_lo, s29, v13, vcc_lo
	global_load_b64 v[8:9], v[8:9], off
	s_waitcnt vmcnt(0)
	v_fma_f64 v[10:11], -v[6:7], v[8:9], v[2:3]
.LBB97_42:                              ;   in Loop: Header=BB97_11 Depth=1
	s_or_b32 exec_lo, exec_lo, s13
	v_dual_mov_b32 v9, v5 :: v_dual_mov_b32 v8, v4
	s_mov_b32 s31, 0
	s_branch .LBB97_32
.LBB97_43:                              ;   in Loop: Header=BB97_11 Depth=1
	v_div_scale_f64 v[8:9], null, v[6:7], v[6:7], 1.0
	v_div_scale_f64 v[23:24], vcc_lo, 1.0, v[6:7], 1.0
	s_mov_b32 s31, 2
	s_delay_alu instid0(VALU_DEP_2) | instskip(SKIP_2) | instid1(VALU_DEP_1)
	v_rcp_f64_e32 v[10:11], v[8:9]
	s_waitcnt_depctr 0xfff
	v_fma_f64 v[21:22], -v[8:9], v[10:11], 1.0
	v_fma_f64 v[10:11], v[10:11], v[21:22], v[10:11]
	s_delay_alu instid0(VALU_DEP_1) | instskip(NEXT) | instid1(VALU_DEP_1)
	v_fma_f64 v[21:22], -v[8:9], v[10:11], 1.0
	v_fma_f64 v[10:11], v[10:11], v[21:22], v[10:11]
	s_delay_alu instid0(VALU_DEP_1) | instskip(NEXT) | instid1(VALU_DEP_1)
	v_mul_f64 v[21:22], v[23:24], v[10:11]
	v_fma_f64 v[8:9], -v[8:9], v[21:22], v[23:24]
	s_delay_alu instid0(VALU_DEP_1) | instskip(SKIP_1) | instid1(VALU_DEP_2)
	v_div_fmas_f64 v[8:9], v[8:9], v[10:11], v[21:22]
	v_dual_mov_b32 v11, v3 :: v_dual_mov_b32 v10, v2
	v_div_fixup_f64 v[6:7], v[8:9], v[6:7], 1.0
	s_delay_alu instid0(VALU_DEP_1) | instskip(NEXT) | instid1(VALU_DEP_2)
	v_cndmask_b32_e64 v9, v5, v7, s1
	v_cndmask_b32_e64 v8, v4, v6, s1
	s_cmp_gt_i32 s31, 3
	s_mov_b32 s13, -1
	s_cbranch_scc0 .LBB97_33
.LBB97_44:                              ;   in Loop: Header=BB97_11 Depth=1
	s_branch .LBB97_9
.LBB97_45:                              ;   in Loop: Header=BB97_11 Depth=1
                                        ; implicit-def: $sgpr26_sgpr27
	s_branch .LBB97_10
.LBB97_46:
	v_dual_mov_b32 v11, v3 :: v_dual_mov_b32 v10, v2
.LBB97_47:
	s_and_saveexec_b32 s0, s2
	s_cbranch_execz .LBB97_49
; %bb.48:
	s_delay_alu instid0(VALU_DEP_1) | instskip(SKIP_3) | instid1(VALU_DEP_1)
	v_mul_f64 v[1:2], v[8:9], v[10:11]
	s_cmp_eq_u32 s6, 0
	s_cselect_b32 vcc_lo, -1, 0
	s_lshl_b64 s[2:3], s[18:19], 3
	v_dual_cndmask_b32 v2, v11, v2 :: v_dual_cndmask_b32 v1, v10, v1
	v_add_co_u32 v3, vcc_lo, v12, s2
	v_add_co_ci_u32_e32 v4, vcc_lo, s3, v13, vcc_lo
	global_store_b64 v[3:4], v[1:2], off
.LBB97_49:
	s_or_b32 exec_lo, exec_lo, s0
	s_waitcnt_vscnt null, 0x0
	buffer_gl1_inv
	buffer_gl0_inv
	s_barrier
	buffer_gl0_inv
	s_mov_b32 s0, exec_lo
	v_cmpx_eq_u32_e32 0, v0
	s_cbranch_execz .LBB97_51
; %bb.50:
	s_lshl_b64 s[0:1], s[20:21], 2
	v_dual_mov_b32 v0, 0 :: v_dual_mov_b32 v1, 1
	s_add_u32 s2, s10, s0
	s_addc_u32 s3, s11, s1
	s_lshl_b64 s[0:1], s[16:17], 2
	s_delay_alu instid0(SALU_CYCLE_1)
	s_add_u32 s0, s2, s0
	s_addc_u32 s1, s3, s1
	global_store_b32 v0, v1, s[0:1]
.LBB97_51:
	s_nop 0
	s_sendmsg sendmsg(MSG_DEALLOC_VGPRS)
	s_endpgm
.LBB97_52:
                                        ; implicit-def: $sgpr24_sgpr25
	s_load_b64 s[22:23], s[0:1], 0x38
	s_branch .LBB97_4
	.section	.rodata,"a",@progbits
	.p2align	6, 0x0
	.amdhsa_kernel _ZN9rocsparseL5csrsmILj128ELj64ELb0ElldEEv20rocsparse_operation_T3_S2_NS_24const_host_device_scalarIT4_EEPKT2_PKS2_PKS4_PS4_lPiSA_PS2_21rocsparse_index_base_20rocsparse_fill_mode_20rocsparse_diag_type_b
		.amdhsa_group_segment_fixed_size 2048
		.amdhsa_private_segment_fixed_size 0
		.amdhsa_kernarg_size 112
		.amdhsa_user_sgpr_count 15
		.amdhsa_user_sgpr_dispatch_ptr 0
		.amdhsa_user_sgpr_queue_ptr 0
		.amdhsa_user_sgpr_kernarg_segment_ptr 1
		.amdhsa_user_sgpr_dispatch_id 0
		.amdhsa_user_sgpr_private_segment_size 0
		.amdhsa_wavefront_size32 1
		.amdhsa_uses_dynamic_stack 0
		.amdhsa_enable_private_segment 0
		.amdhsa_system_sgpr_workgroup_id_x 1
		.amdhsa_system_sgpr_workgroup_id_y 0
		.amdhsa_system_sgpr_workgroup_id_z 0
		.amdhsa_system_sgpr_workgroup_info 0
		.amdhsa_system_vgpr_workitem_id 0
		.amdhsa_next_free_vgpr 25
		.amdhsa_next_free_sgpr 35
		.amdhsa_reserve_vcc 1
		.amdhsa_float_round_mode_32 0
		.amdhsa_float_round_mode_16_64 0
		.amdhsa_float_denorm_mode_32 3
		.amdhsa_float_denorm_mode_16_64 3
		.amdhsa_dx10_clamp 1
		.amdhsa_ieee_mode 1
		.amdhsa_fp16_overflow 0
		.amdhsa_workgroup_processor_mode 1
		.amdhsa_memory_ordered 1
		.amdhsa_forward_progress 0
		.amdhsa_shared_vgpr_count 0
		.amdhsa_exception_fp_ieee_invalid_op 0
		.amdhsa_exception_fp_denorm_src 0
		.amdhsa_exception_fp_ieee_div_zero 0
		.amdhsa_exception_fp_ieee_overflow 0
		.amdhsa_exception_fp_ieee_underflow 0
		.amdhsa_exception_fp_ieee_inexact 0
		.amdhsa_exception_int_div_zero 0
	.end_amdhsa_kernel
	.section	.text._ZN9rocsparseL5csrsmILj128ELj64ELb0ElldEEv20rocsparse_operation_T3_S2_NS_24const_host_device_scalarIT4_EEPKT2_PKS2_PKS4_PS4_lPiSA_PS2_21rocsparse_index_base_20rocsparse_fill_mode_20rocsparse_diag_type_b,"axG",@progbits,_ZN9rocsparseL5csrsmILj128ELj64ELb0ElldEEv20rocsparse_operation_T3_S2_NS_24const_host_device_scalarIT4_EEPKT2_PKS2_PKS4_PS4_lPiSA_PS2_21rocsparse_index_base_20rocsparse_fill_mode_20rocsparse_diag_type_b,comdat
.Lfunc_end97:
	.size	_ZN9rocsparseL5csrsmILj128ELj64ELb0ElldEEv20rocsparse_operation_T3_S2_NS_24const_host_device_scalarIT4_EEPKT2_PKS2_PKS4_PS4_lPiSA_PS2_21rocsparse_index_base_20rocsparse_fill_mode_20rocsparse_diag_type_b, .Lfunc_end97-_ZN9rocsparseL5csrsmILj128ELj64ELb0ElldEEv20rocsparse_operation_T3_S2_NS_24const_host_device_scalarIT4_EEPKT2_PKS2_PKS4_PS4_lPiSA_PS2_21rocsparse_index_base_20rocsparse_fill_mode_20rocsparse_diag_type_b
                                        ; -- End function
	.section	.AMDGPU.csdata,"",@progbits
; Kernel info:
; codeLenInByte = 2540
; NumSgprs: 37
; NumVgprs: 25
; ScratchSize: 0
; MemoryBound: 0
; FloatMode: 240
; IeeeMode: 1
; LDSByteSize: 2048 bytes/workgroup (compile time only)
; SGPRBlocks: 4
; VGPRBlocks: 3
; NumSGPRsForWavesPerEU: 37
; NumVGPRsForWavesPerEU: 25
; Occupancy: 16
; WaveLimiterHint : 1
; COMPUTE_PGM_RSRC2:SCRATCH_EN: 0
; COMPUTE_PGM_RSRC2:USER_SGPR: 15
; COMPUTE_PGM_RSRC2:TRAP_HANDLER: 0
; COMPUTE_PGM_RSRC2:TGID_X_EN: 1
; COMPUTE_PGM_RSRC2:TGID_Y_EN: 0
; COMPUTE_PGM_RSRC2:TGID_Z_EN: 0
; COMPUTE_PGM_RSRC2:TIDIG_COMP_CNT: 0
	.section	.text._ZN9rocsparseL5csrsmILj256ELj64ELb1ElldEEv20rocsparse_operation_T3_S2_NS_24const_host_device_scalarIT4_EEPKT2_PKS2_PKS4_PS4_lPiSA_PS2_21rocsparse_index_base_20rocsparse_fill_mode_20rocsparse_diag_type_b,"axG",@progbits,_ZN9rocsparseL5csrsmILj256ELj64ELb1ElldEEv20rocsparse_operation_T3_S2_NS_24const_host_device_scalarIT4_EEPKT2_PKS2_PKS4_PS4_lPiSA_PS2_21rocsparse_index_base_20rocsparse_fill_mode_20rocsparse_diag_type_b,comdat
	.globl	_ZN9rocsparseL5csrsmILj256ELj64ELb1ElldEEv20rocsparse_operation_T3_S2_NS_24const_host_device_scalarIT4_EEPKT2_PKS2_PKS4_PS4_lPiSA_PS2_21rocsparse_index_base_20rocsparse_fill_mode_20rocsparse_diag_type_b ; -- Begin function _ZN9rocsparseL5csrsmILj256ELj64ELb1ElldEEv20rocsparse_operation_T3_S2_NS_24const_host_device_scalarIT4_EEPKT2_PKS2_PKS4_PS4_lPiSA_PS2_21rocsparse_index_base_20rocsparse_fill_mode_20rocsparse_diag_type_b
	.p2align	8
	.type	_ZN9rocsparseL5csrsmILj256ELj64ELb1ElldEEv20rocsparse_operation_T3_S2_NS_24const_host_device_scalarIT4_EEPKT2_PKS2_PKS4_PS4_lPiSA_PS2_21rocsparse_index_base_20rocsparse_fill_mode_20rocsparse_diag_type_b,@function
_ZN9rocsparseL5csrsmILj256ELj64ELb1ElldEEv20rocsparse_operation_T3_S2_NS_24const_host_device_scalarIT4_EEPKT2_PKS2_PKS4_PS4_lPiSA_PS2_21rocsparse_index_base_20rocsparse_fill_mode_20rocsparse_diag_type_b: ; @_ZN9rocsparseL5csrsmILj256ELj64ELb1ElldEEv20rocsparse_operation_T3_S2_NS_24const_host_device_scalarIT4_EEPKT2_PKS2_PKS4_PS4_lPiSA_PS2_21rocsparse_index_base_20rocsparse_fill_mode_20rocsparse_diag_type_b
; %bb.0:
	s_clause 0x2
	s_load_b128 s[4:7], s[0:1], 0x60
	s_load_b64 s[2:3], s[0:1], 0x18
	s_load_b128 s[16:19], s[0:1], 0x8
	s_waitcnt lgkmcnt(0)
	s_bitcmp1_b32 s7, 0
	v_dual_mov_b32 v5, s3 :: v_dual_mov_b32 v4, s2
	s_cselect_b32 s7, -1, 0
	s_delay_alu instid0(SALU_CYCLE_1)
	s_and_b32 vcc_lo, exec_lo, s7
	s_cbranch_vccnz .LBB98_2
; %bb.1:
	v_dual_mov_b32 v1, s2 :: v_dual_mov_b32 v2, s3
	flat_load_b64 v[4:5], v[1:2]
.LBB98_2:
	s_clause 0x1
	s_load_b64 s[8:9], s[0:1], 0x50
	s_load_b64 s[2:3], s[0:1], 0x20
	s_mov_b32 s10, 0
	s_mov_b32 s11, s17
	s_delay_alu instid0(SALU_CYCLE_1)
	s_cmp_lg_u64 s[10:11], 0
	s_cbranch_scc0 .LBB98_55
; %bb.3:
	s_ashr_i32 s12, s17, 31
	s_delay_alu instid0(SALU_CYCLE_1) | instskip(SKIP_2) | instid1(SALU_CYCLE_1)
	s_add_u32 s20, s16, s12
	s_mov_b32 s13, s12
	s_addc_u32 s21, s17, s12
	s_xor_b64 s[20:21], s[20:21], s[12:13]
	s_delay_alu instid0(SALU_CYCLE_1) | instskip(SKIP_3) | instid1(VALU_DEP_1)
	v_cvt_f32_u32_e32 v1, s20
	v_cvt_f32_u32_e32 v2, s21
	s_sub_u32 s14, 0, s20
	s_subb_u32 s22, 0, s21
	v_fmamk_f32 v1, v2, 0x4f800000, v1
	s_delay_alu instid0(VALU_DEP_1) | instskip(SKIP_2) | instid1(VALU_DEP_1)
	v_rcp_f32_e32 v1, v1
	s_waitcnt_depctr 0xfff
	v_mul_f32_e32 v1, 0x5f7ffffc, v1
	v_mul_f32_e32 v2, 0x2f800000, v1
	s_delay_alu instid0(VALU_DEP_1) | instskip(NEXT) | instid1(VALU_DEP_1)
	v_trunc_f32_e32 v2, v2
	v_fmamk_f32 v1, v2, 0xcf800000, v1
	v_cvt_u32_f32_e32 v2, v2
	s_delay_alu instid0(VALU_DEP_2) | instskip(NEXT) | instid1(VALU_DEP_2)
	v_cvt_u32_f32_e32 v1, v1
	v_readfirstlane_b32 s7, v2
	s_delay_alu instid0(VALU_DEP_2) | instskip(NEXT) | instid1(VALU_DEP_2)
	v_readfirstlane_b32 s11, v1
	s_mul_i32 s23, s14, s7
	s_delay_alu instid0(VALU_DEP_1)
	s_mul_hi_u32 s25, s14, s11
	s_mul_i32 s24, s22, s11
	s_add_i32 s23, s25, s23
	s_mul_i32 s26, s14, s11
	s_add_i32 s23, s23, s24
	s_mul_hi_u32 s25, s11, s26
	s_mul_hi_u32 s27, s7, s26
	s_mul_i32 s24, s7, s26
	s_mul_hi_u32 s26, s11, s23
	s_mul_i32 s11, s11, s23
	s_mul_hi_u32 s28, s7, s23
	s_add_u32 s11, s25, s11
	s_addc_u32 s25, 0, s26
	s_add_u32 s11, s11, s24
	s_mul_i32 s23, s7, s23
	s_addc_u32 s11, s25, s27
	s_addc_u32 s24, s28, 0
	s_add_u32 s11, s11, s23
	s_addc_u32 s23, 0, s24
	v_add_co_u32 v1, s11, v1, s11
	s_delay_alu instid0(VALU_DEP_1) | instskip(SKIP_1) | instid1(VALU_DEP_1)
	s_cmp_lg_u32 s11, 0
	s_addc_u32 s7, s7, s23
	v_readfirstlane_b32 s11, v1
	s_mul_i32 s23, s14, s7
	s_delay_alu instid0(VALU_DEP_1)
	s_mul_hi_u32 s24, s14, s11
	s_mul_i32 s22, s22, s11
	s_add_i32 s23, s24, s23
	s_mul_i32 s14, s14, s11
	s_add_i32 s23, s23, s22
	s_mul_hi_u32 s24, s7, s14
	s_mul_i32 s25, s7, s14
	s_mul_hi_u32 s14, s11, s14
	s_mul_hi_u32 s26, s11, s23
	s_mul_i32 s11, s11, s23
	s_mul_hi_u32 s22, s7, s23
	s_add_u32 s11, s14, s11
	s_addc_u32 s14, 0, s26
	s_add_u32 s11, s11, s25
	s_mul_i32 s23, s7, s23
	s_addc_u32 s11, s14, s24
	s_addc_u32 s14, s22, 0
	s_add_u32 s11, s11, s23
	s_addc_u32 s14, 0, s14
	v_add_co_u32 v1, s11, v1, s11
	s_delay_alu instid0(VALU_DEP_1) | instskip(SKIP_1) | instid1(VALU_DEP_1)
	s_cmp_lg_u32 s11, 0
	s_addc_u32 s7, s7, s14
	v_readfirstlane_b32 s11, v1
	s_mul_i32 s14, s15, s7
	s_mul_hi_u32 s7, s15, s7
	s_delay_alu instid0(VALU_DEP_1) | instskip(NEXT) | instid1(SALU_CYCLE_1)
	s_mul_hi_u32 s11, s15, s11
	s_add_u32 s11, s11, s14
	s_addc_u32 s7, 0, s7
	s_add_u32 s11, s11, 0
	s_addc_u32 s7, s7, 0
	s_addc_u32 s11, 0, 0
	s_add_u32 s7, s7, 0
	s_addc_u32 s11, 0, s11
	s_mul_hi_u32 s14, s20, s7
	s_mul_i32 s23, s20, s11
	s_mul_i32 s24, s20, s7
	s_add_i32 s14, s14, s23
	v_sub_co_u32 v1, s23, s15, s24
	s_mul_i32 s22, s21, s7
	s_delay_alu instid0(SALU_CYCLE_1) | instskip(NEXT) | instid1(VALU_DEP_1)
	s_add_i32 s14, s14, s22
	v_sub_co_u32 v2, s24, v1, s20
	s_sub_i32 s22, 0, s14
	s_cmp_lg_u32 s23, 0
	s_subb_u32 s22, s22, s21
	s_cmp_lg_u32 s24, 0
	v_readfirstlane_b32 s24, v2
	s_subb_u32 s22, s22, 0
	s_delay_alu instid0(SALU_CYCLE_1) | instskip(SKIP_1) | instid1(VALU_DEP_1)
	s_cmp_ge_u32 s22, s21
	s_cselect_b32 s25, -1, 0
	s_cmp_ge_u32 s24, s20
	s_cselect_b32 s24, -1, 0
	s_cmp_eq_u32 s22, s21
	s_cselect_b32 s22, s24, s25
	s_add_u32 s24, s7, 1
	s_addc_u32 s25, s11, 0
	s_add_u32 s26, s7, 2
	s_addc_u32 s27, s11, 0
	s_cmp_lg_u32 s22, 0
	s_cselect_b32 s22, s26, s24
	s_cselect_b32 s24, s27, s25
	s_cmp_lg_u32 s23, 0
	v_readfirstlane_b32 s23, v1
	s_subb_u32 s14, 0, s14
	s_delay_alu instid0(SALU_CYCLE_1) | instskip(SKIP_1) | instid1(VALU_DEP_1)
	s_cmp_ge_u32 s14, s21
	s_cselect_b32 s25, -1, 0
	s_cmp_ge_u32 s23, s20
	s_cselect_b32 s20, -1, 0
	s_cmp_eq_u32 s14, s21
	s_cselect_b32 s14, s20, s25
	s_delay_alu instid0(SALU_CYCLE_1) | instskip(SKIP_2) | instid1(SALU_CYCLE_1)
	s_cmp_lg_u32 s14, 0
	s_cselect_b32 s21, s24, s11
	s_cselect_b32 s20, s22, s7
	s_xor_b64 s[20:21], s[20:21], s[12:13]
	s_delay_alu instid0(SALU_CYCLE_1)
	s_sub_u32 s24, s20, s12
	s_subb_u32 s25, s21, s12
	s_load_b64 s[22:23], s[0:1], 0x38
	s_and_not1_b32 vcc_lo, exec_lo, s10
	s_cbranch_vccnz .LBB98_5
.LBB98_4:
	v_cvt_f32_u32_e32 v1, s16
	s_sub_i32 s10, 0, s16
	s_mov_b32 s25, 0
	s_delay_alu instid0(VALU_DEP_1) | instskip(SKIP_2) | instid1(VALU_DEP_1)
	v_rcp_iflag_f32_e32 v1, v1
	s_waitcnt_depctr 0xfff
	v_mul_f32_e32 v1, 0x4f7ffffe, v1
	v_cvt_u32_f32_e32 v1, v1
	s_delay_alu instid0(VALU_DEP_1) | instskip(NEXT) | instid1(VALU_DEP_1)
	v_readfirstlane_b32 s7, v1
	s_mul_i32 s10, s10, s7
	s_delay_alu instid0(SALU_CYCLE_1) | instskip(NEXT) | instid1(SALU_CYCLE_1)
	s_mul_hi_u32 s10, s7, s10
	s_add_i32 s7, s7, s10
	s_delay_alu instid0(SALU_CYCLE_1) | instskip(NEXT) | instid1(SALU_CYCLE_1)
	s_mul_hi_u32 s7, s15, s7
	s_mul_i32 s10, s7, s16
	s_add_i32 s11, s7, 1
	s_sub_i32 s10, s15, s10
	s_delay_alu instid0(SALU_CYCLE_1)
	s_sub_i32 s12, s10, s16
	s_cmp_ge_u32 s10, s16
	s_cselect_b32 s7, s11, s7
	s_cselect_b32 s10, s12, s10
	s_add_i32 s11, s7, 1
	s_cmp_ge_u32 s10, s16
	s_cselect_b32 s24, s11, s7
.LBB98_5:
	s_delay_alu instid0(SALU_CYCLE_1)
	s_mul_i32 s7, s24, s17
	s_mul_hi_u32 s10, s24, s16
	v_mov_b32_e32 v1, 0
	s_add_i32 s7, s10, s7
	s_mul_i32 s10, s25, s16
	s_mul_i32 s16, s24, s16
	s_add_i32 s17, s7, s10
	s_sub_u32 s10, s15, s16
	s_subb_u32 s11, 0, s17
	v_mov_b32_e32 v2, 0
	s_lshl_b64 s[10:11], s[10:11], 3
	v_mov_b32_e32 v3, 0
	s_waitcnt lgkmcnt(0)
	s_add_u32 s8, s8, s10
	s_addc_u32 s9, s9, s11
	s_load_b64 s[20:21], s[8:9], 0x0
	s_load_b128 s[8:11], s[0:1], 0x40
	s_waitcnt lgkmcnt(0)
	s_lshl_b64 s[12:13], s[20:21], 3
	s_mul_i32 s7, s21, s8
	s_add_u32 s2, s2, s12
	s_addc_u32 s3, s3, s13
	s_load_b128 s[12:15], s[2:3], 0x0
	s_lshl_b64 s[2:3], s[24:25], 8
	s_delay_alu instid0(SALU_CYCLE_1) | instskip(SKIP_3) | instid1(SALU_CYCLE_1)
	v_or_b32_e32 v6, s2, v0
	v_mov_b32_e32 v7, s3
	s_mul_i32 s2, s20, s9
	s_mul_hi_u32 s3, s20, s8
	s_add_i32 s3, s3, s2
	s_delay_alu instid0(VALU_DEP_1) | instskip(SKIP_2) | instid1(VALU_DEP_1)
	v_cmp_gt_i64_e64 s2, s[18:19], v[6:7]
	s_add_i32 s19, s3, s7
	s_mul_i32 s18, s20, s8
	s_and_saveexec_b32 s3, s2
	s_cbranch_execz .LBB98_7
; %bb.6:
	v_add_co_u32 v2, vcc_lo, v6, s18
	v_add_co_ci_u32_e32 v3, vcc_lo, s19, v7, vcc_lo
	s_delay_alu instid0(VALU_DEP_1) | instskip(NEXT) | instid1(VALU_DEP_1)
	v_lshlrev_b64 v[2:3], 3, v[2:3]
	v_add_co_u32 v2, vcc_lo, s22, v2
	s_delay_alu instid0(VALU_DEP_2)
	v_add_co_ci_u32_e32 v3, vcc_lo, s23, v3, vcc_lo
	global_load_b64 v[2:3], v[2:3], off
	s_waitcnt vmcnt(0)
	v_mul_f64 v[2:3], v[4:5], v[2:3]
.LBB98_7:
	s_or_b32 exec_lo, exec_lo, s3
	s_waitcnt vmcnt(0)
	v_lshlrev_b64 v[4:5], 3, v[6:7]
	s_waitcnt lgkmcnt(0)
	v_cmp_ge_i64_e64 s3, s[12:13], s[14:15]
	v_mov_b32_e32 v8, 0
	v_mov_b32_e32 v9, 0x3ff00000
	s_delay_alu instid0(VALU_DEP_4)
	v_add_co_u32 v12, vcc_lo, s22, v4
	v_add_co_ci_u32_e32 v13, vcc_lo, s23, v5, vcc_lo
	s_and_b32 vcc_lo, exec_lo, s3
	v_cmp_eq_u32_e64 s3, 0, v0
	s_cbranch_vccnz .LBB98_49
; %bb.8:
	s_clause 0x1
	s_load_b128 s[24:27], s[0:1], 0x28
	s_load_b64 s[22:23], s[0:1], 0x58
	s_lshl_b64 s[0:1], s[16:17], 2
	v_lshlrev_b32_e32 v14, 3, v0
	s_add_u32 s7, s10, s0
	s_addc_u32 s33, s11, s1
	s_sub_u32 s12, s12, s4
	s_subb_u32 s13, s13, 0
	s_sub_u32 s14, s14, s4
	v_mov_b32_e32 v4, 0
	v_mov_b32_e32 v5, 0x3ff00000
	s_subb_u32 s15, s15, 0
	s_cmp_lg_u32 s6, 0
	v_or_b32_e32 v15, 0x800, v14
	s_cselect_b32 s34, -1, 0
	v_mov_b32_e32 v20, 0
	s_waitcnt lgkmcnt(0)
	v_add_co_u32 v16, s0, s24, v14
	s_delay_alu instid0(VALU_DEP_1)
	v_add_co_ci_u32_e64 v17, null, s25, 0, s0
	v_add_co_u32 v18, s0, s26, v14
	s_add_u32 s24, s20, s4
	v_add_co_ci_u32_e64 v19, null, s27, 0, s0
	v_cmp_ne_u32_e64 s0, 0, v0
	s_addc_u32 s25, s21, 0
	s_cmp_eq_u32 s6, 0
	s_mov_b64 s[26:27], s[12:13]
	s_cselect_b32 s1, -1, 0
	s_branch .LBB98_11
.LBB98_9:                               ;   in Loop: Header=BB98_11 Depth=1
	s_add_u32 s26, s26, 1
	s_addc_u32 s27, s27, 0
	s_delay_alu instid0(SALU_CYCLE_1)
	v_cmp_ge_i64_e64 s13, s[26:27], s[14:15]
.LBB98_10:                              ;   in Loop: Header=BB98_11 Depth=1
	s_delay_alu instid0(VALU_DEP_2) | instskip(SKIP_1) | instid1(VALU_DEP_3)
	v_dual_mov_b32 v2, v10 :: v_dual_mov_b32 v3, v11
	v_dual_mov_b32 v4, v8 :: v_dual_mov_b32 v5, v9
	s_and_not1_b32 vcc_lo, exec_lo, s13
	s_cbranch_vccz .LBB98_50
.LBB98_11:                              ; =>This Loop Header: Depth=1
                                        ;     Child Loop BB98_47 Depth 2
                                        ;       Child Loop BB98_48 Depth 3
	s_sub_i32 s13, s26, s12
	s_delay_alu instid0(SALU_CYCLE_1) | instskip(NEXT) | instid1(SALU_CYCLE_1)
	s_and_b32 s13, s13, 0xff
	s_cmp_lg_u32 s13, 0
	s_cbranch_scc1 .LBB98_15
; %bb.12:                               ;   in Loop: Header=BB98_11 Depth=1
	s_sub_u32 s28, s14, s26
	s_subb_u32 s29, s15, s27
	v_mov_b32_e32 v6, -1
	v_dual_mov_b32 v7, -1 :: v_dual_mov_b32 v8, 0
	v_cmp_gt_i64_e32 vcc_lo, s[28:29], v[0:1]
	v_mov_b32_e32 v9, 0xbff00000
	s_and_saveexec_b32 s28, vcc_lo
	s_cbranch_execz .LBB98_14
; %bb.13:                               ;   in Loop: Header=BB98_11 Depth=1
	s_lshl_b64 s[30:31], s[26:27], 3
	s_delay_alu instid0(SALU_CYCLE_1)
	v_add_co_u32 v6, vcc_lo, v16, s30
	v_add_co_ci_u32_e32 v7, vcc_lo, s31, v17, vcc_lo
	v_add_co_u32 v8, vcc_lo, v18, s30
	v_add_co_ci_u32_e32 v9, vcc_lo, s31, v19, vcc_lo
	global_load_b64 v[6:7], v[6:7], off
	global_load_b64 v[8:9], v[8:9], off
	s_waitcnt vmcnt(1)
	v_sub_co_u32 v6, vcc_lo, v6, s4
	v_subrev_co_ci_u32_e32 v7, vcc_lo, 0, v7, vcc_lo
.LBB98_14:                              ;   in Loop: Header=BB98_11 Depth=1
	s_or_b32 exec_lo, exec_lo, s28
	ds_store_b64 v14, v[6:7]
	s_waitcnt vmcnt(0)
	ds_store_b64 v15, v[8:9]
.LBB98_15:                              ;   in Loop: Header=BB98_11 Depth=1
	s_lshl_b32 s13, s13, 3
	s_waitcnt lgkmcnt(0)
	v_mov_b32_e32 v6, s13
	s_waitcnt_vscnt null, 0x0
	s_barrier
	buffer_gl0_inv
	ds_load_2addr_stride64_b64 v[6:9], v6 offset1:4
	s_waitcnt lgkmcnt(0)
	v_cmp_neq_f64_e32 vcc_lo, 0, v[8:9]
	v_readfirstlane_b32 s28, v6
	v_readfirstlane_b32 s29, v7
	s_delay_alu instid0(VALU_DEP_1) | instskip(SKIP_1) | instid1(SALU_CYCLE_1)
	s_cmp_lg_u64 s[28:29], s[20:21]
	s_cselect_b32 s13, -1, 0
	s_or_b32 s13, s34, s13
	s_delay_alu instid0(SALU_CYCLE_1) | instskip(SKIP_3) | instid1(SALU_CYCLE_1)
	s_or_b32 vcc_lo, vcc_lo, s13
	v_cndmask_b32_e32 v7, 0x3ff00000, v9, vcc_lo
	v_cndmask_b32_e32 v6, 0, v8, vcc_lo
	s_or_b32 s13, s0, vcc_lo
	s_xor_b32 s30, s13, -1
	s_delay_alu instid0(SALU_CYCLE_1)
	s_and_saveexec_b32 s13, s30
	s_cbranch_execz .LBB98_19
; %bb.16:                               ;   in Loop: Header=BB98_11 Depth=1
	v_mbcnt_lo_u32_b32 v6, exec_lo, 0
	s_mov_b32 s30, exec_lo
	s_delay_alu instid0(VALU_DEP_1)
	v_cmpx_eq_u32_e32 0, v6
	s_cbranch_execz .LBB98_18
; %bb.17:                               ;   in Loop: Header=BB98_11 Depth=1
	v_dual_mov_b32 v6, s24 :: v_dual_mov_b32 v7, s25
	global_atomic_min_u64 v20, v[6:7], s[22:23]
.LBB98_18:                              ;   in Loop: Header=BB98_11 Depth=1
	s_or_b32 exec_lo, exec_lo, s30
	v_mov_b32_e32 v6, 0
	v_mov_b32_e32 v7, 0x3ff00000
.LBB98_19:                              ;   in Loop: Header=BB98_11 Depth=1
	s_or_b32 exec_lo, exec_lo, s13
	s_cmp_lt_i32 s5, 1
	s_mov_b32 s13, 0
	s_cbranch_scc1 .LBB98_24
; %bb.20:                               ;   in Loop: Header=BB98_11 Depth=1
	s_cmp_eq_u32 s5, 1
	s_cbranch_scc0 .LBB98_25
; %bb.21:                               ;   in Loop: Header=BB98_11 Depth=1
	v_cmp_ge_i64_e64 s30, s[28:29], s[20:21]
	v_dual_mov_b32 v9, v5 :: v_dual_mov_b32 v8, v4
	s_delay_alu instid0(VALU_DEP_2)
	s_and_b32 vcc_lo, exec_lo, s30
	s_mov_b32 s30, 0
	s_cbranch_vccz .LBB98_27
; %bb.22:                               ;   in Loop: Header=BB98_11 Depth=1
	s_cmp_eq_u64 s[28:29], s[20:21]
	s_cbranch_scc0 .LBB98_26
; %bb.23:                               ;   in Loop: Header=BB98_11 Depth=1
	v_div_scale_f64 v[8:9], null, v[6:7], v[6:7], 1.0
	v_div_scale_f64 v[23:24], vcc_lo, 1.0, v[6:7], 1.0
	s_delay_alu instid0(VALU_DEP_2) | instskip(SKIP_2) | instid1(VALU_DEP_1)
	v_rcp_f64_e32 v[10:11], v[8:9]
	s_waitcnt_depctr 0xfff
	v_fma_f64 v[21:22], -v[8:9], v[10:11], 1.0
	v_fma_f64 v[10:11], v[10:11], v[21:22], v[10:11]
	s_delay_alu instid0(VALU_DEP_1) | instskip(NEXT) | instid1(VALU_DEP_1)
	v_fma_f64 v[21:22], -v[8:9], v[10:11], 1.0
	v_fma_f64 v[10:11], v[10:11], v[21:22], v[10:11]
	s_delay_alu instid0(VALU_DEP_1) | instskip(NEXT) | instid1(VALU_DEP_1)
	v_mul_f64 v[21:22], v[23:24], v[10:11]
	v_fma_f64 v[8:9], -v[8:9], v[21:22], v[23:24]
	s_delay_alu instid0(VALU_DEP_1) | instskip(NEXT) | instid1(VALU_DEP_1)
	v_div_fmas_f64 v[8:9], v[8:9], v[10:11], v[21:22]
	v_div_fixup_f64 v[8:9], v[8:9], v[6:7], 1.0
	s_delay_alu instid0(VALU_DEP_1) | instskip(NEXT) | instid1(VALU_DEP_2)
	v_cndmask_b32_e64 v9, v5, v9, s1
	v_cndmask_b32_e64 v8, v4, v8, s1
	s_branch .LBB98_27
.LBB98_24:                              ;   in Loop: Header=BB98_11 Depth=1
	s_mov_b32 s30, 0
                                        ; implicit-def: $vgpr10_vgpr11
                                        ; implicit-def: $vgpr8_vgpr9
                                        ; implicit-def: $sgpr31
	s_cbranch_execnz .LBB98_28
	s_branch .LBB98_30
.LBB98_25:                              ;   in Loop: Header=BB98_11 Depth=1
	s_mov_b32 s30, -1
                                        ; implicit-def: $vgpr10_vgpr11
                                        ; implicit-def: $vgpr8_vgpr9
                                        ; implicit-def: $sgpr31
	s_branch .LBB98_30
.LBB98_26:                              ;   in Loop: Header=BB98_11 Depth=1
	s_mov_b32 s30, -1
                                        ; implicit-def: $vgpr8_vgpr9
.LBB98_27:                              ;   in Loop: Header=BB98_11 Depth=1
	v_dual_mov_b32 v11, v3 :: v_dual_mov_b32 v10, v2
	s_mov_b32 s31, 4
	s_branch .LBB98_30
.LBB98_28:                              ;   in Loop: Header=BB98_11 Depth=1
	s_cmp_eq_u32 s5, 0
	s_cbranch_scc1 .LBB98_34
; %bb.29:                               ;   in Loop: Header=BB98_11 Depth=1
	s_mov_b32 s30, -1
                                        ; implicit-def: $vgpr10_vgpr11
                                        ; implicit-def: $vgpr8_vgpr9
                                        ; implicit-def: $sgpr31
.LBB98_30:                              ;   in Loop: Header=BB98_11 Depth=1
	s_delay_alu instid0(SALU_CYCLE_1)
	s_and_b32 vcc_lo, exec_lo, s30
	s_cbranch_vccnz .LBB98_37
.LBB98_31:                              ;   in Loop: Header=BB98_11 Depth=1
	s_and_b32 vcc_lo, exec_lo, s13
	s_cbranch_vccnz .LBB98_42
.LBB98_32:                              ;   in Loop: Header=BB98_11 Depth=1
	s_cmp_gt_i32 s31, 3
	s_mov_b32 s13, -1
	s_cbranch_scc1 .LBB98_43
.LBB98_33:                              ;   in Loop: Header=BB98_11 Depth=1
	s_cmp_eq_u32 s31, 0
	s_cselect_b32 s28, -1, 0
	s_delay_alu instid0(SALU_CYCLE_1)
	s_and_not1_b32 vcc_lo, exec_lo, s28
	s_cbranch_vccz .LBB98_9
	s_branch .LBB98_44
.LBB98_34:                              ;   in Loop: Header=BB98_11 Depth=1
	v_cmp_le_i64_e64 s30, s[28:29], s[20:21]
	s_delay_alu instid0(VALU_DEP_1)
	s_and_b32 vcc_lo, exec_lo, s30
	s_mov_b32 s30, 0
	s_cbranch_vccz .LBB98_36
; %bb.35:                               ;   in Loop: Header=BB98_11 Depth=1
	s_cmp_lg_u64 s[28:29], s[20:21]
	s_mov_b32 s13, -1
	s_cselect_b32 s30, -1, 0
.LBB98_36:                              ;   in Loop: Header=BB98_11 Depth=1
	v_dual_mov_b32 v11, v3 :: v_dual_mov_b32 v10, v2
	v_dual_mov_b32 v9, v5 :: v_dual_mov_b32 v8, v4
	s_mov_b32 s31, 2
	s_and_b32 vcc_lo, exec_lo, s30
	s_cbranch_vccz .LBB98_31
.LBB98_37:                              ;   in Loop: Header=BB98_11 Depth=1
	s_and_saveexec_b32 s13, s3
	s_cbranch_execz .LBB98_39
; %bb.38:                               ;   in Loop: Header=BB98_11 Depth=1
	s_lshl_b64 s[30:31], s[28:29], 2
	s_delay_alu instid0(SALU_CYCLE_1)
	s_add_u32 s30, s7, s30
	s_addc_u32 s31, s33, s31
	global_load_b32 v8, v20, s[30:31] glc
	s_waitcnt vmcnt(0)
	v_cmp_ne_u32_e32 vcc_lo, 0, v8
	s_cbranch_vccz .LBB98_45
.LBB98_39:                              ;   in Loop: Header=BB98_11 Depth=1
	s_or_b32 exec_lo, exec_lo, s13
	v_mov_b32_e32 v10, 0
	v_mov_b32_e32 v11, 0
	s_waitcnt_vscnt null, 0x0
	s_barrier
	buffer_gl0_inv
	buffer_gl1_inv
	buffer_gl0_inv
	s_and_saveexec_b32 s13, s2
	s_cbranch_execz .LBB98_41
; %bb.40:                               ;   in Loop: Header=BB98_11 Depth=1
	s_mul_i32 s30, s28, s9
	s_mul_hi_u32 s31, s28, s8
	s_mul_i32 s29, s29, s8
	s_add_i32 s30, s31, s30
	s_mul_i32 s28, s28, s8
	s_add_i32 s29, s30, s29
	s_delay_alu instid0(SALU_CYCLE_1) | instskip(NEXT) | instid1(SALU_CYCLE_1)
	s_lshl_b64 s[28:29], s[28:29], 3
	v_add_co_u32 v8, vcc_lo, v12, s28
	v_add_co_ci_u32_e32 v9, vcc_lo, s29, v13, vcc_lo
	global_load_b64 v[8:9], v[8:9], off
	s_waitcnt vmcnt(0)
	v_fma_f64 v[10:11], -v[6:7], v[8:9], v[2:3]
.LBB98_41:                              ;   in Loop: Header=BB98_11 Depth=1
	s_or_b32 exec_lo, exec_lo, s13
	v_dual_mov_b32 v9, v5 :: v_dual_mov_b32 v8, v4
	s_mov_b32 s31, 0
	s_branch .LBB98_32
.LBB98_42:                              ;   in Loop: Header=BB98_11 Depth=1
	v_div_scale_f64 v[8:9], null, v[6:7], v[6:7], 1.0
	v_div_scale_f64 v[23:24], vcc_lo, 1.0, v[6:7], 1.0
	s_mov_b32 s31, 2
	s_delay_alu instid0(VALU_DEP_2) | instskip(SKIP_2) | instid1(VALU_DEP_1)
	v_rcp_f64_e32 v[10:11], v[8:9]
	s_waitcnt_depctr 0xfff
	v_fma_f64 v[21:22], -v[8:9], v[10:11], 1.0
	v_fma_f64 v[10:11], v[10:11], v[21:22], v[10:11]
	s_delay_alu instid0(VALU_DEP_1) | instskip(NEXT) | instid1(VALU_DEP_1)
	v_fma_f64 v[21:22], -v[8:9], v[10:11], 1.0
	v_fma_f64 v[10:11], v[10:11], v[21:22], v[10:11]
	s_delay_alu instid0(VALU_DEP_1) | instskip(NEXT) | instid1(VALU_DEP_1)
	v_mul_f64 v[21:22], v[23:24], v[10:11]
	v_fma_f64 v[8:9], -v[8:9], v[21:22], v[23:24]
	s_delay_alu instid0(VALU_DEP_1) | instskip(SKIP_1) | instid1(VALU_DEP_2)
	v_div_fmas_f64 v[8:9], v[8:9], v[10:11], v[21:22]
	v_dual_mov_b32 v11, v3 :: v_dual_mov_b32 v10, v2
	v_div_fixup_f64 v[6:7], v[8:9], v[6:7], 1.0
	s_delay_alu instid0(VALU_DEP_1) | instskip(NEXT) | instid1(VALU_DEP_2)
	v_cndmask_b32_e64 v9, v5, v7, s1
	v_cndmask_b32_e64 v8, v4, v6, s1
	s_cmp_gt_i32 s31, 3
	s_mov_b32 s13, -1
	s_cbranch_scc0 .LBB98_33
.LBB98_43:                              ;   in Loop: Header=BB98_11 Depth=1
	s_branch .LBB98_9
.LBB98_44:                              ;   in Loop: Header=BB98_11 Depth=1
                                        ; implicit-def: $sgpr26_sgpr27
	s_branch .LBB98_10
.LBB98_45:                              ;   in Loop: Header=BB98_11 Depth=1
	s_mov_b32 s35, 0
	s_branch .LBB98_47
	.p2align	6
.LBB98_46:                              ;   in Loop: Header=BB98_47 Depth=2
	global_load_b32 v8, v20, s[30:31] glc
	s_cmpk_lt_u32 s35, 0xf43
	s_cselect_b32 s36, -1, 0
	s_delay_alu instid0(SALU_CYCLE_1)
	s_cmp_lg_u32 s36, 0
	s_addc_u32 s35, s35, 0
	s_waitcnt vmcnt(0)
	v_cmp_ne_u32_e32 vcc_lo, 0, v8
	s_cbranch_vccnz .LBB98_39
.LBB98_47:                              ;   Parent Loop BB98_11 Depth=1
                                        ; =>  This Loop Header: Depth=2
                                        ;       Child Loop BB98_48 Depth 3
	s_cmp_eq_u32 s35, 0
	s_mov_b32 s36, s35
	s_cbranch_scc1 .LBB98_46
.LBB98_48:                              ;   Parent Loop BB98_11 Depth=1
                                        ;     Parent Loop BB98_47 Depth=2
                                        ; =>    This Inner Loop Header: Depth=3
	s_add_i32 s36, s36, -1
	s_sleep 1
	s_cmp_eq_u32 s36, 0
	s_cbranch_scc0 .LBB98_48
	s_branch .LBB98_46
.LBB98_49:
	v_dual_mov_b32 v11, v3 :: v_dual_mov_b32 v10, v2
.LBB98_50:
	s_and_saveexec_b32 s0, s2
	s_cbranch_execz .LBB98_52
; %bb.51:
	s_delay_alu instid0(VALU_DEP_1) | instskip(SKIP_3) | instid1(VALU_DEP_1)
	v_mul_f64 v[1:2], v[8:9], v[10:11]
	s_cmp_eq_u32 s6, 0
	s_cselect_b32 vcc_lo, -1, 0
	s_lshl_b64 s[2:3], s[18:19], 3
	v_dual_cndmask_b32 v2, v11, v2 :: v_dual_cndmask_b32 v1, v10, v1
	v_add_co_u32 v3, vcc_lo, v12, s2
	v_add_co_ci_u32_e32 v4, vcc_lo, s3, v13, vcc_lo
	global_store_b64 v[3:4], v[1:2], off
.LBB98_52:
	s_or_b32 exec_lo, exec_lo, s0
	s_waitcnt_vscnt null, 0x0
	buffer_gl1_inv
	buffer_gl0_inv
	s_barrier
	buffer_gl0_inv
	s_mov_b32 s0, exec_lo
	v_cmpx_eq_u32_e32 0, v0
	s_cbranch_execz .LBB98_54
; %bb.53:
	s_lshl_b64 s[0:1], s[20:21], 2
	v_dual_mov_b32 v0, 0 :: v_dual_mov_b32 v1, 1
	s_add_u32 s2, s10, s0
	s_addc_u32 s3, s11, s1
	s_lshl_b64 s[0:1], s[16:17], 2
	s_delay_alu instid0(SALU_CYCLE_1)
	s_add_u32 s0, s2, s0
	s_addc_u32 s1, s3, s1
	global_store_b32 v0, v1, s[0:1]
.LBB98_54:
	s_nop 0
	s_sendmsg sendmsg(MSG_DEALLOC_VGPRS)
	s_endpgm
.LBB98_55:
                                        ; implicit-def: $sgpr24_sgpr25
	s_load_b64 s[22:23], s[0:1], 0x38
	s_branch .LBB98_4
	.section	.rodata,"a",@progbits
	.p2align	6, 0x0
	.amdhsa_kernel _ZN9rocsparseL5csrsmILj256ELj64ELb1ElldEEv20rocsparse_operation_T3_S2_NS_24const_host_device_scalarIT4_EEPKT2_PKS2_PKS4_PS4_lPiSA_PS2_21rocsparse_index_base_20rocsparse_fill_mode_20rocsparse_diag_type_b
		.amdhsa_group_segment_fixed_size 4096
		.amdhsa_private_segment_fixed_size 0
		.amdhsa_kernarg_size 112
		.amdhsa_user_sgpr_count 15
		.amdhsa_user_sgpr_dispatch_ptr 0
		.amdhsa_user_sgpr_queue_ptr 0
		.amdhsa_user_sgpr_kernarg_segment_ptr 1
		.amdhsa_user_sgpr_dispatch_id 0
		.amdhsa_user_sgpr_private_segment_size 0
		.amdhsa_wavefront_size32 1
		.amdhsa_uses_dynamic_stack 0
		.amdhsa_enable_private_segment 0
		.amdhsa_system_sgpr_workgroup_id_x 1
		.amdhsa_system_sgpr_workgroup_id_y 0
		.amdhsa_system_sgpr_workgroup_id_z 0
		.amdhsa_system_sgpr_workgroup_info 0
		.amdhsa_system_vgpr_workitem_id 0
		.amdhsa_next_free_vgpr 25
		.amdhsa_next_free_sgpr 37
		.amdhsa_reserve_vcc 1
		.amdhsa_float_round_mode_32 0
		.amdhsa_float_round_mode_16_64 0
		.amdhsa_float_denorm_mode_32 3
		.amdhsa_float_denorm_mode_16_64 3
		.amdhsa_dx10_clamp 1
		.amdhsa_ieee_mode 1
		.amdhsa_fp16_overflow 0
		.amdhsa_workgroup_processor_mode 1
		.amdhsa_memory_ordered 1
		.amdhsa_forward_progress 0
		.amdhsa_shared_vgpr_count 0
		.amdhsa_exception_fp_ieee_invalid_op 0
		.amdhsa_exception_fp_denorm_src 0
		.amdhsa_exception_fp_ieee_div_zero 0
		.amdhsa_exception_fp_ieee_overflow 0
		.amdhsa_exception_fp_ieee_underflow 0
		.amdhsa_exception_fp_ieee_inexact 0
		.amdhsa_exception_int_div_zero 0
	.end_amdhsa_kernel
	.section	.text._ZN9rocsparseL5csrsmILj256ELj64ELb1ElldEEv20rocsparse_operation_T3_S2_NS_24const_host_device_scalarIT4_EEPKT2_PKS2_PKS4_PS4_lPiSA_PS2_21rocsparse_index_base_20rocsparse_fill_mode_20rocsparse_diag_type_b,"axG",@progbits,_ZN9rocsparseL5csrsmILj256ELj64ELb1ElldEEv20rocsparse_operation_T3_S2_NS_24const_host_device_scalarIT4_EEPKT2_PKS2_PKS4_PS4_lPiSA_PS2_21rocsparse_index_base_20rocsparse_fill_mode_20rocsparse_diag_type_b,comdat
.Lfunc_end98:
	.size	_ZN9rocsparseL5csrsmILj256ELj64ELb1ElldEEv20rocsparse_operation_T3_S2_NS_24const_host_device_scalarIT4_EEPKT2_PKS2_PKS4_PS4_lPiSA_PS2_21rocsparse_index_base_20rocsparse_fill_mode_20rocsparse_diag_type_b, .Lfunc_end98-_ZN9rocsparseL5csrsmILj256ELj64ELb1ElldEEv20rocsparse_operation_T3_S2_NS_24const_host_device_scalarIT4_EEPKT2_PKS2_PKS4_PS4_lPiSA_PS2_21rocsparse_index_base_20rocsparse_fill_mode_20rocsparse_diag_type_b
                                        ; -- End function
	.section	.AMDGPU.csdata,"",@progbits
; Kernel info:
; codeLenInByte = 2600
; NumSgprs: 39
; NumVgprs: 25
; ScratchSize: 0
; MemoryBound: 0
; FloatMode: 240
; IeeeMode: 1
; LDSByteSize: 4096 bytes/workgroup (compile time only)
; SGPRBlocks: 4
; VGPRBlocks: 3
; NumSGPRsForWavesPerEU: 39
; NumVGPRsForWavesPerEU: 25
; Occupancy: 16
; WaveLimiterHint : 1
; COMPUTE_PGM_RSRC2:SCRATCH_EN: 0
; COMPUTE_PGM_RSRC2:USER_SGPR: 15
; COMPUTE_PGM_RSRC2:TRAP_HANDLER: 0
; COMPUTE_PGM_RSRC2:TGID_X_EN: 1
; COMPUTE_PGM_RSRC2:TGID_Y_EN: 0
; COMPUTE_PGM_RSRC2:TGID_Z_EN: 0
; COMPUTE_PGM_RSRC2:TIDIG_COMP_CNT: 0
	.section	.text._ZN9rocsparseL5csrsmILj256ELj64ELb0ElldEEv20rocsparse_operation_T3_S2_NS_24const_host_device_scalarIT4_EEPKT2_PKS2_PKS4_PS4_lPiSA_PS2_21rocsparse_index_base_20rocsparse_fill_mode_20rocsparse_diag_type_b,"axG",@progbits,_ZN9rocsparseL5csrsmILj256ELj64ELb0ElldEEv20rocsparse_operation_T3_S2_NS_24const_host_device_scalarIT4_EEPKT2_PKS2_PKS4_PS4_lPiSA_PS2_21rocsparse_index_base_20rocsparse_fill_mode_20rocsparse_diag_type_b,comdat
	.globl	_ZN9rocsparseL5csrsmILj256ELj64ELb0ElldEEv20rocsparse_operation_T3_S2_NS_24const_host_device_scalarIT4_EEPKT2_PKS2_PKS4_PS4_lPiSA_PS2_21rocsparse_index_base_20rocsparse_fill_mode_20rocsparse_diag_type_b ; -- Begin function _ZN9rocsparseL5csrsmILj256ELj64ELb0ElldEEv20rocsparse_operation_T3_S2_NS_24const_host_device_scalarIT4_EEPKT2_PKS2_PKS4_PS4_lPiSA_PS2_21rocsparse_index_base_20rocsparse_fill_mode_20rocsparse_diag_type_b
	.p2align	8
	.type	_ZN9rocsparseL5csrsmILj256ELj64ELb0ElldEEv20rocsparse_operation_T3_S2_NS_24const_host_device_scalarIT4_EEPKT2_PKS2_PKS4_PS4_lPiSA_PS2_21rocsparse_index_base_20rocsparse_fill_mode_20rocsparse_diag_type_b,@function
_ZN9rocsparseL5csrsmILj256ELj64ELb0ElldEEv20rocsparse_operation_T3_S2_NS_24const_host_device_scalarIT4_EEPKT2_PKS2_PKS4_PS4_lPiSA_PS2_21rocsparse_index_base_20rocsparse_fill_mode_20rocsparse_diag_type_b: ; @_ZN9rocsparseL5csrsmILj256ELj64ELb0ElldEEv20rocsparse_operation_T3_S2_NS_24const_host_device_scalarIT4_EEPKT2_PKS2_PKS4_PS4_lPiSA_PS2_21rocsparse_index_base_20rocsparse_fill_mode_20rocsparse_diag_type_b
; %bb.0:
	s_clause 0x2
	s_load_b128 s[4:7], s[0:1], 0x60
	s_load_b64 s[2:3], s[0:1], 0x18
	s_load_b128 s[16:19], s[0:1], 0x8
	s_waitcnt lgkmcnt(0)
	s_bitcmp1_b32 s7, 0
	v_dual_mov_b32 v5, s3 :: v_dual_mov_b32 v4, s2
	s_cselect_b32 s7, -1, 0
	s_delay_alu instid0(SALU_CYCLE_1)
	s_and_b32 vcc_lo, exec_lo, s7
	s_cbranch_vccnz .LBB99_2
; %bb.1:
	v_dual_mov_b32 v1, s2 :: v_dual_mov_b32 v2, s3
	flat_load_b64 v[4:5], v[1:2]
.LBB99_2:
	s_clause 0x1
	s_load_b64 s[8:9], s[0:1], 0x50
	s_load_b64 s[2:3], s[0:1], 0x20
	s_mov_b32 s10, 0
	s_mov_b32 s11, s17
	s_delay_alu instid0(SALU_CYCLE_1)
	s_cmp_lg_u64 s[10:11], 0
	s_cbranch_scc0 .LBB99_52
; %bb.3:
	s_ashr_i32 s12, s17, 31
	s_delay_alu instid0(SALU_CYCLE_1) | instskip(SKIP_2) | instid1(SALU_CYCLE_1)
	s_add_u32 s20, s16, s12
	s_mov_b32 s13, s12
	s_addc_u32 s21, s17, s12
	s_xor_b64 s[20:21], s[20:21], s[12:13]
	s_delay_alu instid0(SALU_CYCLE_1) | instskip(SKIP_3) | instid1(VALU_DEP_1)
	v_cvt_f32_u32_e32 v1, s20
	v_cvt_f32_u32_e32 v2, s21
	s_sub_u32 s14, 0, s20
	s_subb_u32 s22, 0, s21
	v_fmamk_f32 v1, v2, 0x4f800000, v1
	s_delay_alu instid0(VALU_DEP_1) | instskip(SKIP_2) | instid1(VALU_DEP_1)
	v_rcp_f32_e32 v1, v1
	s_waitcnt_depctr 0xfff
	v_mul_f32_e32 v1, 0x5f7ffffc, v1
	v_mul_f32_e32 v2, 0x2f800000, v1
	s_delay_alu instid0(VALU_DEP_1) | instskip(NEXT) | instid1(VALU_DEP_1)
	v_trunc_f32_e32 v2, v2
	v_fmamk_f32 v1, v2, 0xcf800000, v1
	v_cvt_u32_f32_e32 v2, v2
	s_delay_alu instid0(VALU_DEP_2) | instskip(NEXT) | instid1(VALU_DEP_2)
	v_cvt_u32_f32_e32 v1, v1
	v_readfirstlane_b32 s7, v2
	s_delay_alu instid0(VALU_DEP_2) | instskip(NEXT) | instid1(VALU_DEP_2)
	v_readfirstlane_b32 s11, v1
	s_mul_i32 s23, s14, s7
	s_delay_alu instid0(VALU_DEP_1)
	s_mul_hi_u32 s25, s14, s11
	s_mul_i32 s24, s22, s11
	s_add_i32 s23, s25, s23
	s_mul_i32 s26, s14, s11
	s_add_i32 s23, s23, s24
	s_mul_hi_u32 s25, s11, s26
	s_mul_hi_u32 s27, s7, s26
	s_mul_i32 s24, s7, s26
	s_mul_hi_u32 s26, s11, s23
	s_mul_i32 s11, s11, s23
	s_mul_hi_u32 s28, s7, s23
	s_add_u32 s11, s25, s11
	s_addc_u32 s25, 0, s26
	s_add_u32 s11, s11, s24
	s_mul_i32 s23, s7, s23
	s_addc_u32 s11, s25, s27
	s_addc_u32 s24, s28, 0
	s_add_u32 s11, s11, s23
	s_addc_u32 s23, 0, s24
	v_add_co_u32 v1, s11, v1, s11
	s_delay_alu instid0(VALU_DEP_1) | instskip(SKIP_1) | instid1(VALU_DEP_1)
	s_cmp_lg_u32 s11, 0
	s_addc_u32 s7, s7, s23
	v_readfirstlane_b32 s11, v1
	s_mul_i32 s23, s14, s7
	s_delay_alu instid0(VALU_DEP_1)
	s_mul_hi_u32 s24, s14, s11
	s_mul_i32 s22, s22, s11
	s_add_i32 s23, s24, s23
	s_mul_i32 s14, s14, s11
	s_add_i32 s23, s23, s22
	s_mul_hi_u32 s24, s7, s14
	s_mul_i32 s25, s7, s14
	s_mul_hi_u32 s14, s11, s14
	s_mul_hi_u32 s26, s11, s23
	s_mul_i32 s11, s11, s23
	s_mul_hi_u32 s22, s7, s23
	s_add_u32 s11, s14, s11
	s_addc_u32 s14, 0, s26
	s_add_u32 s11, s11, s25
	s_mul_i32 s23, s7, s23
	s_addc_u32 s11, s14, s24
	s_addc_u32 s14, s22, 0
	s_add_u32 s11, s11, s23
	s_addc_u32 s14, 0, s14
	v_add_co_u32 v1, s11, v1, s11
	s_delay_alu instid0(VALU_DEP_1) | instskip(SKIP_1) | instid1(VALU_DEP_1)
	s_cmp_lg_u32 s11, 0
	s_addc_u32 s7, s7, s14
	v_readfirstlane_b32 s11, v1
	s_mul_i32 s14, s15, s7
	s_mul_hi_u32 s7, s15, s7
	s_delay_alu instid0(VALU_DEP_1) | instskip(NEXT) | instid1(SALU_CYCLE_1)
	s_mul_hi_u32 s11, s15, s11
	s_add_u32 s11, s11, s14
	s_addc_u32 s7, 0, s7
	s_add_u32 s11, s11, 0
	s_addc_u32 s7, s7, 0
	s_addc_u32 s11, 0, 0
	s_add_u32 s7, s7, 0
	s_addc_u32 s11, 0, s11
	s_mul_hi_u32 s14, s20, s7
	s_mul_i32 s23, s20, s11
	s_mul_i32 s24, s20, s7
	s_add_i32 s14, s14, s23
	v_sub_co_u32 v1, s23, s15, s24
	s_mul_i32 s22, s21, s7
	s_delay_alu instid0(SALU_CYCLE_1) | instskip(NEXT) | instid1(VALU_DEP_1)
	s_add_i32 s14, s14, s22
	v_sub_co_u32 v2, s24, v1, s20
	s_sub_i32 s22, 0, s14
	s_cmp_lg_u32 s23, 0
	s_subb_u32 s22, s22, s21
	s_cmp_lg_u32 s24, 0
	v_readfirstlane_b32 s24, v2
	s_subb_u32 s22, s22, 0
	s_delay_alu instid0(SALU_CYCLE_1) | instskip(SKIP_1) | instid1(VALU_DEP_1)
	s_cmp_ge_u32 s22, s21
	s_cselect_b32 s25, -1, 0
	s_cmp_ge_u32 s24, s20
	s_cselect_b32 s24, -1, 0
	s_cmp_eq_u32 s22, s21
	s_cselect_b32 s22, s24, s25
	s_add_u32 s24, s7, 1
	s_addc_u32 s25, s11, 0
	s_add_u32 s26, s7, 2
	s_addc_u32 s27, s11, 0
	s_cmp_lg_u32 s22, 0
	s_cselect_b32 s22, s26, s24
	s_cselect_b32 s24, s27, s25
	s_cmp_lg_u32 s23, 0
	v_readfirstlane_b32 s23, v1
	s_subb_u32 s14, 0, s14
	s_delay_alu instid0(SALU_CYCLE_1) | instskip(SKIP_1) | instid1(VALU_DEP_1)
	s_cmp_ge_u32 s14, s21
	s_cselect_b32 s25, -1, 0
	s_cmp_ge_u32 s23, s20
	s_cselect_b32 s20, -1, 0
	s_cmp_eq_u32 s14, s21
	s_cselect_b32 s14, s20, s25
	s_delay_alu instid0(SALU_CYCLE_1) | instskip(SKIP_2) | instid1(SALU_CYCLE_1)
	s_cmp_lg_u32 s14, 0
	s_cselect_b32 s21, s24, s11
	s_cselect_b32 s20, s22, s7
	s_xor_b64 s[20:21], s[20:21], s[12:13]
	s_delay_alu instid0(SALU_CYCLE_1)
	s_sub_u32 s24, s20, s12
	s_subb_u32 s25, s21, s12
	s_load_b64 s[22:23], s[0:1], 0x38
	s_and_not1_b32 vcc_lo, exec_lo, s10
	s_cbranch_vccnz .LBB99_5
.LBB99_4:
	v_cvt_f32_u32_e32 v1, s16
	s_sub_i32 s10, 0, s16
	s_mov_b32 s25, 0
	s_delay_alu instid0(VALU_DEP_1) | instskip(SKIP_2) | instid1(VALU_DEP_1)
	v_rcp_iflag_f32_e32 v1, v1
	s_waitcnt_depctr 0xfff
	v_mul_f32_e32 v1, 0x4f7ffffe, v1
	v_cvt_u32_f32_e32 v1, v1
	s_delay_alu instid0(VALU_DEP_1) | instskip(NEXT) | instid1(VALU_DEP_1)
	v_readfirstlane_b32 s7, v1
	s_mul_i32 s10, s10, s7
	s_delay_alu instid0(SALU_CYCLE_1) | instskip(NEXT) | instid1(SALU_CYCLE_1)
	s_mul_hi_u32 s10, s7, s10
	s_add_i32 s7, s7, s10
	s_delay_alu instid0(SALU_CYCLE_1) | instskip(NEXT) | instid1(SALU_CYCLE_1)
	s_mul_hi_u32 s7, s15, s7
	s_mul_i32 s10, s7, s16
	s_add_i32 s11, s7, 1
	s_sub_i32 s10, s15, s10
	s_delay_alu instid0(SALU_CYCLE_1)
	s_sub_i32 s12, s10, s16
	s_cmp_ge_u32 s10, s16
	s_cselect_b32 s7, s11, s7
	s_cselect_b32 s10, s12, s10
	s_add_i32 s11, s7, 1
	s_cmp_ge_u32 s10, s16
	s_cselect_b32 s24, s11, s7
.LBB99_5:
	s_delay_alu instid0(SALU_CYCLE_1)
	s_mul_i32 s7, s24, s17
	s_mul_hi_u32 s10, s24, s16
	v_mov_b32_e32 v1, 0
	s_add_i32 s7, s10, s7
	s_mul_i32 s10, s25, s16
	s_mul_i32 s16, s24, s16
	s_add_i32 s17, s7, s10
	s_sub_u32 s10, s15, s16
	s_subb_u32 s11, 0, s17
	v_mov_b32_e32 v2, 0
	s_lshl_b64 s[10:11], s[10:11], 3
	v_mov_b32_e32 v3, 0
	s_waitcnt lgkmcnt(0)
	s_add_u32 s8, s8, s10
	s_addc_u32 s9, s9, s11
	s_load_b64 s[20:21], s[8:9], 0x0
	s_load_b128 s[8:11], s[0:1], 0x40
	s_waitcnt lgkmcnt(0)
	s_lshl_b64 s[12:13], s[20:21], 3
	s_mul_i32 s7, s21, s8
	s_add_u32 s2, s2, s12
	s_addc_u32 s3, s3, s13
	s_load_b128 s[12:15], s[2:3], 0x0
	s_lshl_b64 s[2:3], s[24:25], 8
	s_delay_alu instid0(SALU_CYCLE_1) | instskip(SKIP_3) | instid1(SALU_CYCLE_1)
	v_or_b32_e32 v6, s2, v0
	v_mov_b32_e32 v7, s3
	s_mul_i32 s2, s20, s9
	s_mul_hi_u32 s3, s20, s8
	s_add_i32 s3, s3, s2
	s_delay_alu instid0(VALU_DEP_1) | instskip(SKIP_2) | instid1(VALU_DEP_1)
	v_cmp_gt_i64_e64 s2, s[18:19], v[6:7]
	s_add_i32 s19, s3, s7
	s_mul_i32 s18, s20, s8
	s_and_saveexec_b32 s3, s2
	s_cbranch_execz .LBB99_7
; %bb.6:
	v_add_co_u32 v2, vcc_lo, v6, s18
	v_add_co_ci_u32_e32 v3, vcc_lo, s19, v7, vcc_lo
	s_delay_alu instid0(VALU_DEP_1) | instskip(NEXT) | instid1(VALU_DEP_1)
	v_lshlrev_b64 v[2:3], 3, v[2:3]
	v_add_co_u32 v2, vcc_lo, s22, v2
	s_delay_alu instid0(VALU_DEP_2)
	v_add_co_ci_u32_e32 v3, vcc_lo, s23, v3, vcc_lo
	global_load_b64 v[2:3], v[2:3], off
	s_waitcnt vmcnt(0)
	v_mul_f64 v[2:3], v[4:5], v[2:3]
.LBB99_7:
	s_or_b32 exec_lo, exec_lo, s3
	s_waitcnt vmcnt(0)
	v_lshlrev_b64 v[4:5], 3, v[6:7]
	s_waitcnt lgkmcnt(0)
	v_cmp_ge_i64_e64 s3, s[12:13], s[14:15]
	v_mov_b32_e32 v8, 0
	v_mov_b32_e32 v9, 0x3ff00000
	s_delay_alu instid0(VALU_DEP_4)
	v_add_co_u32 v12, vcc_lo, s22, v4
	v_add_co_ci_u32_e32 v13, vcc_lo, s23, v5, vcc_lo
	s_and_b32 vcc_lo, exec_lo, s3
	v_cmp_eq_u32_e64 s3, 0, v0
	s_cbranch_vccnz .LBB99_46
; %bb.8:
	s_clause 0x1
	s_load_b128 s[24:27], s[0:1], 0x28
	s_load_b64 s[22:23], s[0:1], 0x58
	s_lshl_b64 s[0:1], s[16:17], 2
	v_lshlrev_b32_e32 v14, 3, v0
	s_add_u32 s7, s10, s0
	s_addc_u32 s33, s11, s1
	s_sub_u32 s12, s12, s4
	s_subb_u32 s13, s13, 0
	s_sub_u32 s14, s14, s4
	v_mov_b32_e32 v4, 0
	v_mov_b32_e32 v5, 0x3ff00000
	s_subb_u32 s15, s15, 0
	s_cmp_lg_u32 s6, 0
	v_or_b32_e32 v15, 0x800, v14
	s_cselect_b32 s34, -1, 0
	v_mov_b32_e32 v20, 0
	s_waitcnt lgkmcnt(0)
	v_add_co_u32 v16, s0, s24, v14
	s_delay_alu instid0(VALU_DEP_1)
	v_add_co_ci_u32_e64 v17, null, s25, 0, s0
	v_add_co_u32 v18, s0, s26, v14
	s_add_u32 s24, s20, s4
	v_add_co_ci_u32_e64 v19, null, s27, 0, s0
	v_cmp_ne_u32_e64 s0, 0, v0
	s_addc_u32 s25, s21, 0
	s_cmp_eq_u32 s6, 0
	s_mov_b64 s[26:27], s[12:13]
	s_cselect_b32 s1, -1, 0
	s_branch .LBB99_11
.LBB99_9:                               ;   in Loop: Header=BB99_11 Depth=1
	s_add_u32 s26, s26, 1
	s_addc_u32 s27, s27, 0
	s_delay_alu instid0(SALU_CYCLE_1)
	v_cmp_ge_i64_e64 s13, s[26:27], s[14:15]
.LBB99_10:                              ;   in Loop: Header=BB99_11 Depth=1
	s_delay_alu instid0(VALU_DEP_2) | instskip(SKIP_1) | instid1(VALU_DEP_3)
	v_dual_mov_b32 v2, v10 :: v_dual_mov_b32 v3, v11
	v_dual_mov_b32 v4, v8 :: v_dual_mov_b32 v5, v9
	s_and_not1_b32 vcc_lo, exec_lo, s13
	s_cbranch_vccz .LBB99_47
.LBB99_11:                              ; =>This Loop Header: Depth=1
                                        ;     Child Loop BB99_39 Depth 2
	s_sub_i32 s13, s26, s12
	s_delay_alu instid0(SALU_CYCLE_1) | instskip(NEXT) | instid1(SALU_CYCLE_1)
	s_and_b32 s13, s13, 0xff
	s_cmp_lg_u32 s13, 0
	s_cbranch_scc1 .LBB99_15
; %bb.12:                               ;   in Loop: Header=BB99_11 Depth=1
	s_sub_u32 s28, s14, s26
	s_subb_u32 s29, s15, s27
	v_mov_b32_e32 v6, -1
	v_dual_mov_b32 v7, -1 :: v_dual_mov_b32 v8, 0
	v_cmp_gt_i64_e32 vcc_lo, s[28:29], v[0:1]
	v_mov_b32_e32 v9, 0xbff00000
	s_and_saveexec_b32 s28, vcc_lo
	s_cbranch_execz .LBB99_14
; %bb.13:                               ;   in Loop: Header=BB99_11 Depth=1
	s_lshl_b64 s[30:31], s[26:27], 3
	s_delay_alu instid0(SALU_CYCLE_1)
	v_add_co_u32 v6, vcc_lo, v16, s30
	v_add_co_ci_u32_e32 v7, vcc_lo, s31, v17, vcc_lo
	v_add_co_u32 v8, vcc_lo, v18, s30
	v_add_co_ci_u32_e32 v9, vcc_lo, s31, v19, vcc_lo
	global_load_b64 v[6:7], v[6:7], off
	global_load_b64 v[8:9], v[8:9], off
	s_waitcnt vmcnt(1)
	v_sub_co_u32 v6, vcc_lo, v6, s4
	v_subrev_co_ci_u32_e32 v7, vcc_lo, 0, v7, vcc_lo
.LBB99_14:                              ;   in Loop: Header=BB99_11 Depth=1
	s_or_b32 exec_lo, exec_lo, s28
	ds_store_b64 v14, v[6:7]
	s_waitcnt vmcnt(0)
	ds_store_b64 v15, v[8:9]
.LBB99_15:                              ;   in Loop: Header=BB99_11 Depth=1
	s_lshl_b32 s13, s13, 3
	s_waitcnt lgkmcnt(0)
	v_mov_b32_e32 v6, s13
	s_waitcnt_vscnt null, 0x0
	s_barrier
	buffer_gl0_inv
	ds_load_2addr_stride64_b64 v[6:9], v6 offset1:4
	s_waitcnt lgkmcnt(0)
	v_cmp_neq_f64_e32 vcc_lo, 0, v[8:9]
	v_readfirstlane_b32 s28, v6
	v_readfirstlane_b32 s29, v7
	s_delay_alu instid0(VALU_DEP_1) | instskip(SKIP_1) | instid1(SALU_CYCLE_1)
	s_cmp_lg_u64 s[28:29], s[20:21]
	s_cselect_b32 s13, -1, 0
	s_or_b32 s13, s34, s13
	s_delay_alu instid0(SALU_CYCLE_1) | instskip(SKIP_3) | instid1(SALU_CYCLE_1)
	s_or_b32 vcc_lo, vcc_lo, s13
	v_cndmask_b32_e32 v7, 0x3ff00000, v9, vcc_lo
	v_cndmask_b32_e32 v6, 0, v8, vcc_lo
	s_or_b32 s13, s0, vcc_lo
	s_xor_b32 s30, s13, -1
	s_delay_alu instid0(SALU_CYCLE_1)
	s_and_saveexec_b32 s13, s30
	s_cbranch_execz .LBB99_19
; %bb.16:                               ;   in Loop: Header=BB99_11 Depth=1
	v_mbcnt_lo_u32_b32 v6, exec_lo, 0
	s_mov_b32 s30, exec_lo
	s_delay_alu instid0(VALU_DEP_1)
	v_cmpx_eq_u32_e32 0, v6
	s_cbranch_execz .LBB99_18
; %bb.17:                               ;   in Loop: Header=BB99_11 Depth=1
	v_dual_mov_b32 v6, s24 :: v_dual_mov_b32 v7, s25
	global_atomic_min_u64 v20, v[6:7], s[22:23]
.LBB99_18:                              ;   in Loop: Header=BB99_11 Depth=1
	s_or_b32 exec_lo, exec_lo, s30
	v_mov_b32_e32 v6, 0
	v_mov_b32_e32 v7, 0x3ff00000
.LBB99_19:                              ;   in Loop: Header=BB99_11 Depth=1
	s_or_b32 exec_lo, exec_lo, s13
	s_cmp_lt_i32 s5, 1
	s_mov_b32 s13, 0
	s_cbranch_scc1 .LBB99_24
; %bb.20:                               ;   in Loop: Header=BB99_11 Depth=1
	s_cmp_eq_u32 s5, 1
	s_cbranch_scc0 .LBB99_25
; %bb.21:                               ;   in Loop: Header=BB99_11 Depth=1
	v_cmp_ge_i64_e64 s30, s[28:29], s[20:21]
	v_dual_mov_b32 v9, v5 :: v_dual_mov_b32 v8, v4
	s_delay_alu instid0(VALU_DEP_2)
	s_and_b32 vcc_lo, exec_lo, s30
	s_mov_b32 s30, 0
	s_cbranch_vccz .LBB99_27
; %bb.22:                               ;   in Loop: Header=BB99_11 Depth=1
	s_cmp_eq_u64 s[28:29], s[20:21]
	s_cbranch_scc0 .LBB99_26
; %bb.23:                               ;   in Loop: Header=BB99_11 Depth=1
	v_div_scale_f64 v[8:9], null, v[6:7], v[6:7], 1.0
	v_div_scale_f64 v[23:24], vcc_lo, 1.0, v[6:7], 1.0
	s_delay_alu instid0(VALU_DEP_2) | instskip(SKIP_2) | instid1(VALU_DEP_1)
	v_rcp_f64_e32 v[10:11], v[8:9]
	s_waitcnt_depctr 0xfff
	v_fma_f64 v[21:22], -v[8:9], v[10:11], 1.0
	v_fma_f64 v[10:11], v[10:11], v[21:22], v[10:11]
	s_delay_alu instid0(VALU_DEP_1) | instskip(NEXT) | instid1(VALU_DEP_1)
	v_fma_f64 v[21:22], -v[8:9], v[10:11], 1.0
	v_fma_f64 v[10:11], v[10:11], v[21:22], v[10:11]
	s_delay_alu instid0(VALU_DEP_1) | instskip(NEXT) | instid1(VALU_DEP_1)
	v_mul_f64 v[21:22], v[23:24], v[10:11]
	v_fma_f64 v[8:9], -v[8:9], v[21:22], v[23:24]
	s_delay_alu instid0(VALU_DEP_1) | instskip(NEXT) | instid1(VALU_DEP_1)
	v_div_fmas_f64 v[8:9], v[8:9], v[10:11], v[21:22]
	v_div_fixup_f64 v[8:9], v[8:9], v[6:7], 1.0
	s_delay_alu instid0(VALU_DEP_1) | instskip(NEXT) | instid1(VALU_DEP_2)
	v_cndmask_b32_e64 v9, v5, v9, s1
	v_cndmask_b32_e64 v8, v4, v8, s1
	s_branch .LBB99_27
.LBB99_24:                              ;   in Loop: Header=BB99_11 Depth=1
	s_mov_b32 s30, 0
                                        ; implicit-def: $vgpr10_vgpr11
                                        ; implicit-def: $vgpr8_vgpr9
                                        ; implicit-def: $sgpr31
	s_cbranch_execnz .LBB99_28
	s_branch .LBB99_30
.LBB99_25:                              ;   in Loop: Header=BB99_11 Depth=1
	s_mov_b32 s30, -1
                                        ; implicit-def: $vgpr10_vgpr11
                                        ; implicit-def: $vgpr8_vgpr9
                                        ; implicit-def: $sgpr31
	s_branch .LBB99_30
.LBB99_26:                              ;   in Loop: Header=BB99_11 Depth=1
	s_mov_b32 s30, -1
                                        ; implicit-def: $vgpr8_vgpr9
.LBB99_27:                              ;   in Loop: Header=BB99_11 Depth=1
	v_dual_mov_b32 v11, v3 :: v_dual_mov_b32 v10, v2
	s_mov_b32 s31, 4
	s_branch .LBB99_30
.LBB99_28:                              ;   in Loop: Header=BB99_11 Depth=1
	s_cmp_eq_u32 s5, 0
	s_cbranch_scc1 .LBB99_34
; %bb.29:                               ;   in Loop: Header=BB99_11 Depth=1
	s_mov_b32 s30, -1
                                        ; implicit-def: $vgpr10_vgpr11
                                        ; implicit-def: $vgpr8_vgpr9
                                        ; implicit-def: $sgpr31
.LBB99_30:                              ;   in Loop: Header=BB99_11 Depth=1
	s_delay_alu instid0(SALU_CYCLE_1)
	s_and_b32 vcc_lo, exec_lo, s30
	s_cbranch_vccnz .LBB99_37
.LBB99_31:                              ;   in Loop: Header=BB99_11 Depth=1
	s_and_b32 vcc_lo, exec_lo, s13
	s_cbranch_vccnz .LBB99_43
.LBB99_32:                              ;   in Loop: Header=BB99_11 Depth=1
	s_cmp_gt_i32 s31, 3
	s_mov_b32 s13, -1
	s_cbranch_scc1 .LBB99_44
.LBB99_33:                              ;   in Loop: Header=BB99_11 Depth=1
	s_cmp_eq_u32 s31, 0
	s_cselect_b32 s28, -1, 0
	s_delay_alu instid0(SALU_CYCLE_1)
	s_and_not1_b32 vcc_lo, exec_lo, s28
	s_cbranch_vccz .LBB99_9
	s_branch .LBB99_45
.LBB99_34:                              ;   in Loop: Header=BB99_11 Depth=1
	v_cmp_le_i64_e64 s30, s[28:29], s[20:21]
	s_delay_alu instid0(VALU_DEP_1)
	s_and_b32 vcc_lo, exec_lo, s30
	s_mov_b32 s30, 0
	s_cbranch_vccz .LBB99_36
; %bb.35:                               ;   in Loop: Header=BB99_11 Depth=1
	s_cmp_lg_u64 s[28:29], s[20:21]
	s_mov_b32 s13, -1
	s_cselect_b32 s30, -1, 0
.LBB99_36:                              ;   in Loop: Header=BB99_11 Depth=1
	v_dual_mov_b32 v11, v3 :: v_dual_mov_b32 v10, v2
	v_dual_mov_b32 v9, v5 :: v_dual_mov_b32 v8, v4
	s_mov_b32 s31, 2
	s_and_b32 vcc_lo, exec_lo, s30
	s_cbranch_vccz .LBB99_31
.LBB99_37:                              ;   in Loop: Header=BB99_11 Depth=1
	s_and_saveexec_b32 s13, s3
	s_cbranch_execz .LBB99_40
; %bb.38:                               ;   in Loop: Header=BB99_11 Depth=1
	s_lshl_b64 s[30:31], s[28:29], 2
	s_delay_alu instid0(SALU_CYCLE_1)
	s_add_u32 s30, s7, s30
	s_addc_u32 s31, s33, s31
	global_load_b32 v8, v20, s[30:31] glc
	s_waitcnt vmcnt(0)
	v_cmp_ne_u32_e32 vcc_lo, 0, v8
	s_cbranch_vccnz .LBB99_40
.LBB99_39:                              ;   Parent Loop BB99_11 Depth=1
                                        ; =>  This Inner Loop Header: Depth=2
	global_load_b32 v8, v20, s[30:31] glc
	s_waitcnt vmcnt(0)
	v_cmp_eq_u32_e32 vcc_lo, 0, v8
	s_cbranch_vccnz .LBB99_39
.LBB99_40:                              ;   in Loop: Header=BB99_11 Depth=1
	s_or_b32 exec_lo, exec_lo, s13
	v_mov_b32_e32 v10, 0
	v_mov_b32_e32 v11, 0
	s_waitcnt_vscnt null, 0x0
	s_barrier
	buffer_gl0_inv
	buffer_gl1_inv
	buffer_gl0_inv
	s_and_saveexec_b32 s13, s2
	s_cbranch_execz .LBB99_42
; %bb.41:                               ;   in Loop: Header=BB99_11 Depth=1
	s_mul_i32 s30, s28, s9
	s_mul_hi_u32 s31, s28, s8
	s_mul_i32 s29, s29, s8
	s_add_i32 s30, s31, s30
	s_mul_i32 s28, s28, s8
	s_add_i32 s29, s30, s29
	s_delay_alu instid0(SALU_CYCLE_1) | instskip(NEXT) | instid1(SALU_CYCLE_1)
	s_lshl_b64 s[28:29], s[28:29], 3
	v_add_co_u32 v8, vcc_lo, v12, s28
	v_add_co_ci_u32_e32 v9, vcc_lo, s29, v13, vcc_lo
	global_load_b64 v[8:9], v[8:9], off
	s_waitcnt vmcnt(0)
	v_fma_f64 v[10:11], -v[6:7], v[8:9], v[2:3]
.LBB99_42:                              ;   in Loop: Header=BB99_11 Depth=1
	s_or_b32 exec_lo, exec_lo, s13
	v_dual_mov_b32 v9, v5 :: v_dual_mov_b32 v8, v4
	s_mov_b32 s31, 0
	s_branch .LBB99_32
.LBB99_43:                              ;   in Loop: Header=BB99_11 Depth=1
	v_div_scale_f64 v[8:9], null, v[6:7], v[6:7], 1.0
	v_div_scale_f64 v[23:24], vcc_lo, 1.0, v[6:7], 1.0
	s_mov_b32 s31, 2
	s_delay_alu instid0(VALU_DEP_2) | instskip(SKIP_2) | instid1(VALU_DEP_1)
	v_rcp_f64_e32 v[10:11], v[8:9]
	s_waitcnt_depctr 0xfff
	v_fma_f64 v[21:22], -v[8:9], v[10:11], 1.0
	v_fma_f64 v[10:11], v[10:11], v[21:22], v[10:11]
	s_delay_alu instid0(VALU_DEP_1) | instskip(NEXT) | instid1(VALU_DEP_1)
	v_fma_f64 v[21:22], -v[8:9], v[10:11], 1.0
	v_fma_f64 v[10:11], v[10:11], v[21:22], v[10:11]
	s_delay_alu instid0(VALU_DEP_1) | instskip(NEXT) | instid1(VALU_DEP_1)
	v_mul_f64 v[21:22], v[23:24], v[10:11]
	v_fma_f64 v[8:9], -v[8:9], v[21:22], v[23:24]
	s_delay_alu instid0(VALU_DEP_1) | instskip(SKIP_1) | instid1(VALU_DEP_2)
	v_div_fmas_f64 v[8:9], v[8:9], v[10:11], v[21:22]
	v_dual_mov_b32 v11, v3 :: v_dual_mov_b32 v10, v2
	v_div_fixup_f64 v[6:7], v[8:9], v[6:7], 1.0
	s_delay_alu instid0(VALU_DEP_1) | instskip(NEXT) | instid1(VALU_DEP_2)
	v_cndmask_b32_e64 v9, v5, v7, s1
	v_cndmask_b32_e64 v8, v4, v6, s1
	s_cmp_gt_i32 s31, 3
	s_mov_b32 s13, -1
	s_cbranch_scc0 .LBB99_33
.LBB99_44:                              ;   in Loop: Header=BB99_11 Depth=1
	s_branch .LBB99_9
.LBB99_45:                              ;   in Loop: Header=BB99_11 Depth=1
                                        ; implicit-def: $sgpr26_sgpr27
	s_branch .LBB99_10
.LBB99_46:
	v_dual_mov_b32 v11, v3 :: v_dual_mov_b32 v10, v2
.LBB99_47:
	s_and_saveexec_b32 s0, s2
	s_cbranch_execz .LBB99_49
; %bb.48:
	s_delay_alu instid0(VALU_DEP_1) | instskip(SKIP_3) | instid1(VALU_DEP_1)
	v_mul_f64 v[1:2], v[8:9], v[10:11]
	s_cmp_eq_u32 s6, 0
	s_cselect_b32 vcc_lo, -1, 0
	s_lshl_b64 s[2:3], s[18:19], 3
	v_dual_cndmask_b32 v2, v11, v2 :: v_dual_cndmask_b32 v1, v10, v1
	v_add_co_u32 v3, vcc_lo, v12, s2
	v_add_co_ci_u32_e32 v4, vcc_lo, s3, v13, vcc_lo
	global_store_b64 v[3:4], v[1:2], off
.LBB99_49:
	s_or_b32 exec_lo, exec_lo, s0
	s_waitcnt_vscnt null, 0x0
	buffer_gl1_inv
	buffer_gl0_inv
	s_barrier
	buffer_gl0_inv
	s_mov_b32 s0, exec_lo
	v_cmpx_eq_u32_e32 0, v0
	s_cbranch_execz .LBB99_51
; %bb.50:
	s_lshl_b64 s[0:1], s[20:21], 2
	v_dual_mov_b32 v0, 0 :: v_dual_mov_b32 v1, 1
	s_add_u32 s2, s10, s0
	s_addc_u32 s3, s11, s1
	s_lshl_b64 s[0:1], s[16:17], 2
	s_delay_alu instid0(SALU_CYCLE_1)
	s_add_u32 s0, s2, s0
	s_addc_u32 s1, s3, s1
	global_store_b32 v0, v1, s[0:1]
.LBB99_51:
	s_nop 0
	s_sendmsg sendmsg(MSG_DEALLOC_VGPRS)
	s_endpgm
.LBB99_52:
                                        ; implicit-def: $sgpr24_sgpr25
	s_load_b64 s[22:23], s[0:1], 0x38
	s_branch .LBB99_4
	.section	.rodata,"a",@progbits
	.p2align	6, 0x0
	.amdhsa_kernel _ZN9rocsparseL5csrsmILj256ELj64ELb0ElldEEv20rocsparse_operation_T3_S2_NS_24const_host_device_scalarIT4_EEPKT2_PKS2_PKS4_PS4_lPiSA_PS2_21rocsparse_index_base_20rocsparse_fill_mode_20rocsparse_diag_type_b
		.amdhsa_group_segment_fixed_size 4096
		.amdhsa_private_segment_fixed_size 0
		.amdhsa_kernarg_size 112
		.amdhsa_user_sgpr_count 15
		.amdhsa_user_sgpr_dispatch_ptr 0
		.amdhsa_user_sgpr_queue_ptr 0
		.amdhsa_user_sgpr_kernarg_segment_ptr 1
		.amdhsa_user_sgpr_dispatch_id 0
		.amdhsa_user_sgpr_private_segment_size 0
		.amdhsa_wavefront_size32 1
		.amdhsa_uses_dynamic_stack 0
		.amdhsa_enable_private_segment 0
		.amdhsa_system_sgpr_workgroup_id_x 1
		.amdhsa_system_sgpr_workgroup_id_y 0
		.amdhsa_system_sgpr_workgroup_id_z 0
		.amdhsa_system_sgpr_workgroup_info 0
		.amdhsa_system_vgpr_workitem_id 0
		.amdhsa_next_free_vgpr 25
		.amdhsa_next_free_sgpr 35
		.amdhsa_reserve_vcc 1
		.amdhsa_float_round_mode_32 0
		.amdhsa_float_round_mode_16_64 0
		.amdhsa_float_denorm_mode_32 3
		.amdhsa_float_denorm_mode_16_64 3
		.amdhsa_dx10_clamp 1
		.amdhsa_ieee_mode 1
		.amdhsa_fp16_overflow 0
		.amdhsa_workgroup_processor_mode 1
		.amdhsa_memory_ordered 1
		.amdhsa_forward_progress 0
		.amdhsa_shared_vgpr_count 0
		.amdhsa_exception_fp_ieee_invalid_op 0
		.amdhsa_exception_fp_denorm_src 0
		.amdhsa_exception_fp_ieee_div_zero 0
		.amdhsa_exception_fp_ieee_overflow 0
		.amdhsa_exception_fp_ieee_underflow 0
		.amdhsa_exception_fp_ieee_inexact 0
		.amdhsa_exception_int_div_zero 0
	.end_amdhsa_kernel
	.section	.text._ZN9rocsparseL5csrsmILj256ELj64ELb0ElldEEv20rocsparse_operation_T3_S2_NS_24const_host_device_scalarIT4_EEPKT2_PKS2_PKS4_PS4_lPiSA_PS2_21rocsparse_index_base_20rocsparse_fill_mode_20rocsparse_diag_type_b,"axG",@progbits,_ZN9rocsparseL5csrsmILj256ELj64ELb0ElldEEv20rocsparse_operation_T3_S2_NS_24const_host_device_scalarIT4_EEPKT2_PKS2_PKS4_PS4_lPiSA_PS2_21rocsparse_index_base_20rocsparse_fill_mode_20rocsparse_diag_type_b,comdat
.Lfunc_end99:
	.size	_ZN9rocsparseL5csrsmILj256ELj64ELb0ElldEEv20rocsparse_operation_T3_S2_NS_24const_host_device_scalarIT4_EEPKT2_PKS2_PKS4_PS4_lPiSA_PS2_21rocsparse_index_base_20rocsparse_fill_mode_20rocsparse_diag_type_b, .Lfunc_end99-_ZN9rocsparseL5csrsmILj256ELj64ELb0ElldEEv20rocsparse_operation_T3_S2_NS_24const_host_device_scalarIT4_EEPKT2_PKS2_PKS4_PS4_lPiSA_PS2_21rocsparse_index_base_20rocsparse_fill_mode_20rocsparse_diag_type_b
                                        ; -- End function
	.section	.AMDGPU.csdata,"",@progbits
; Kernel info:
; codeLenInByte = 2540
; NumSgprs: 37
; NumVgprs: 25
; ScratchSize: 0
; MemoryBound: 0
; FloatMode: 240
; IeeeMode: 1
; LDSByteSize: 4096 bytes/workgroup (compile time only)
; SGPRBlocks: 4
; VGPRBlocks: 3
; NumSGPRsForWavesPerEU: 37
; NumVGPRsForWavesPerEU: 25
; Occupancy: 16
; WaveLimiterHint : 1
; COMPUTE_PGM_RSRC2:SCRATCH_EN: 0
; COMPUTE_PGM_RSRC2:USER_SGPR: 15
; COMPUTE_PGM_RSRC2:TRAP_HANDLER: 0
; COMPUTE_PGM_RSRC2:TGID_X_EN: 1
; COMPUTE_PGM_RSRC2:TGID_Y_EN: 0
; COMPUTE_PGM_RSRC2:TGID_Z_EN: 0
; COMPUTE_PGM_RSRC2:TIDIG_COMP_CNT: 0
	.section	.text._ZN9rocsparseL5csrsmILj512ELj64ELb1ElldEEv20rocsparse_operation_T3_S2_NS_24const_host_device_scalarIT4_EEPKT2_PKS2_PKS4_PS4_lPiSA_PS2_21rocsparse_index_base_20rocsparse_fill_mode_20rocsparse_diag_type_b,"axG",@progbits,_ZN9rocsparseL5csrsmILj512ELj64ELb1ElldEEv20rocsparse_operation_T3_S2_NS_24const_host_device_scalarIT4_EEPKT2_PKS2_PKS4_PS4_lPiSA_PS2_21rocsparse_index_base_20rocsparse_fill_mode_20rocsparse_diag_type_b,comdat
	.globl	_ZN9rocsparseL5csrsmILj512ELj64ELb1ElldEEv20rocsparse_operation_T3_S2_NS_24const_host_device_scalarIT4_EEPKT2_PKS2_PKS4_PS4_lPiSA_PS2_21rocsparse_index_base_20rocsparse_fill_mode_20rocsparse_diag_type_b ; -- Begin function _ZN9rocsparseL5csrsmILj512ELj64ELb1ElldEEv20rocsparse_operation_T3_S2_NS_24const_host_device_scalarIT4_EEPKT2_PKS2_PKS4_PS4_lPiSA_PS2_21rocsparse_index_base_20rocsparse_fill_mode_20rocsparse_diag_type_b
	.p2align	8
	.type	_ZN9rocsparseL5csrsmILj512ELj64ELb1ElldEEv20rocsparse_operation_T3_S2_NS_24const_host_device_scalarIT4_EEPKT2_PKS2_PKS4_PS4_lPiSA_PS2_21rocsparse_index_base_20rocsparse_fill_mode_20rocsparse_diag_type_b,@function
_ZN9rocsparseL5csrsmILj512ELj64ELb1ElldEEv20rocsparse_operation_T3_S2_NS_24const_host_device_scalarIT4_EEPKT2_PKS2_PKS4_PS4_lPiSA_PS2_21rocsparse_index_base_20rocsparse_fill_mode_20rocsparse_diag_type_b: ; @_ZN9rocsparseL5csrsmILj512ELj64ELb1ElldEEv20rocsparse_operation_T3_S2_NS_24const_host_device_scalarIT4_EEPKT2_PKS2_PKS4_PS4_lPiSA_PS2_21rocsparse_index_base_20rocsparse_fill_mode_20rocsparse_diag_type_b
; %bb.0:
	s_clause 0x2
	s_load_b128 s[4:7], s[0:1], 0x60
	s_load_b64 s[2:3], s[0:1], 0x18
	s_load_b128 s[16:19], s[0:1], 0x8
	s_waitcnt lgkmcnt(0)
	s_bitcmp1_b32 s7, 0
	v_dual_mov_b32 v5, s3 :: v_dual_mov_b32 v4, s2
	s_cselect_b32 s7, -1, 0
	s_delay_alu instid0(SALU_CYCLE_1)
	s_and_b32 vcc_lo, exec_lo, s7
	s_cbranch_vccnz .LBB100_2
; %bb.1:
	v_dual_mov_b32 v1, s2 :: v_dual_mov_b32 v2, s3
	flat_load_b64 v[4:5], v[1:2]
.LBB100_2:
	s_clause 0x1
	s_load_b64 s[8:9], s[0:1], 0x50
	s_load_b64 s[2:3], s[0:1], 0x20
	s_mov_b32 s10, 0
	s_mov_b32 s11, s17
	s_delay_alu instid0(SALU_CYCLE_1)
	s_cmp_lg_u64 s[10:11], 0
	s_cbranch_scc0 .LBB100_55
; %bb.3:
	s_ashr_i32 s12, s17, 31
	s_delay_alu instid0(SALU_CYCLE_1) | instskip(SKIP_2) | instid1(SALU_CYCLE_1)
	s_add_u32 s20, s16, s12
	s_mov_b32 s13, s12
	s_addc_u32 s21, s17, s12
	s_xor_b64 s[20:21], s[20:21], s[12:13]
	s_delay_alu instid0(SALU_CYCLE_1) | instskip(SKIP_3) | instid1(VALU_DEP_1)
	v_cvt_f32_u32_e32 v1, s20
	v_cvt_f32_u32_e32 v2, s21
	s_sub_u32 s14, 0, s20
	s_subb_u32 s22, 0, s21
	v_fmamk_f32 v1, v2, 0x4f800000, v1
	s_delay_alu instid0(VALU_DEP_1) | instskip(SKIP_2) | instid1(VALU_DEP_1)
	v_rcp_f32_e32 v1, v1
	s_waitcnt_depctr 0xfff
	v_mul_f32_e32 v1, 0x5f7ffffc, v1
	v_mul_f32_e32 v2, 0x2f800000, v1
	s_delay_alu instid0(VALU_DEP_1) | instskip(NEXT) | instid1(VALU_DEP_1)
	v_trunc_f32_e32 v2, v2
	v_fmamk_f32 v1, v2, 0xcf800000, v1
	v_cvt_u32_f32_e32 v2, v2
	s_delay_alu instid0(VALU_DEP_2) | instskip(NEXT) | instid1(VALU_DEP_2)
	v_cvt_u32_f32_e32 v1, v1
	v_readfirstlane_b32 s7, v2
	s_delay_alu instid0(VALU_DEP_2) | instskip(NEXT) | instid1(VALU_DEP_2)
	v_readfirstlane_b32 s11, v1
	s_mul_i32 s23, s14, s7
	s_delay_alu instid0(VALU_DEP_1)
	s_mul_hi_u32 s25, s14, s11
	s_mul_i32 s24, s22, s11
	s_add_i32 s23, s25, s23
	s_mul_i32 s26, s14, s11
	s_add_i32 s23, s23, s24
	s_mul_hi_u32 s25, s11, s26
	s_mul_hi_u32 s27, s7, s26
	s_mul_i32 s24, s7, s26
	s_mul_hi_u32 s26, s11, s23
	s_mul_i32 s11, s11, s23
	s_mul_hi_u32 s28, s7, s23
	s_add_u32 s11, s25, s11
	s_addc_u32 s25, 0, s26
	s_add_u32 s11, s11, s24
	s_mul_i32 s23, s7, s23
	s_addc_u32 s11, s25, s27
	s_addc_u32 s24, s28, 0
	s_add_u32 s11, s11, s23
	s_addc_u32 s23, 0, s24
	v_add_co_u32 v1, s11, v1, s11
	s_delay_alu instid0(VALU_DEP_1) | instskip(SKIP_1) | instid1(VALU_DEP_1)
	s_cmp_lg_u32 s11, 0
	s_addc_u32 s7, s7, s23
	v_readfirstlane_b32 s11, v1
	s_mul_i32 s23, s14, s7
	s_delay_alu instid0(VALU_DEP_1)
	s_mul_hi_u32 s24, s14, s11
	s_mul_i32 s22, s22, s11
	s_add_i32 s23, s24, s23
	s_mul_i32 s14, s14, s11
	s_add_i32 s23, s23, s22
	s_mul_hi_u32 s24, s7, s14
	s_mul_i32 s25, s7, s14
	s_mul_hi_u32 s14, s11, s14
	s_mul_hi_u32 s26, s11, s23
	s_mul_i32 s11, s11, s23
	s_mul_hi_u32 s22, s7, s23
	s_add_u32 s11, s14, s11
	s_addc_u32 s14, 0, s26
	s_add_u32 s11, s11, s25
	s_mul_i32 s23, s7, s23
	s_addc_u32 s11, s14, s24
	s_addc_u32 s14, s22, 0
	s_add_u32 s11, s11, s23
	s_addc_u32 s14, 0, s14
	v_add_co_u32 v1, s11, v1, s11
	s_delay_alu instid0(VALU_DEP_1) | instskip(SKIP_1) | instid1(VALU_DEP_1)
	s_cmp_lg_u32 s11, 0
	s_addc_u32 s7, s7, s14
	v_readfirstlane_b32 s11, v1
	s_mul_i32 s14, s15, s7
	s_mul_hi_u32 s7, s15, s7
	s_delay_alu instid0(VALU_DEP_1) | instskip(NEXT) | instid1(SALU_CYCLE_1)
	s_mul_hi_u32 s11, s15, s11
	s_add_u32 s11, s11, s14
	s_addc_u32 s7, 0, s7
	s_add_u32 s11, s11, 0
	s_addc_u32 s7, s7, 0
	s_addc_u32 s11, 0, 0
	s_add_u32 s7, s7, 0
	s_addc_u32 s11, 0, s11
	s_mul_hi_u32 s14, s20, s7
	s_mul_i32 s23, s20, s11
	s_mul_i32 s24, s20, s7
	s_add_i32 s14, s14, s23
	v_sub_co_u32 v1, s23, s15, s24
	s_mul_i32 s22, s21, s7
	s_delay_alu instid0(SALU_CYCLE_1) | instskip(NEXT) | instid1(VALU_DEP_1)
	s_add_i32 s14, s14, s22
	v_sub_co_u32 v2, s24, v1, s20
	s_sub_i32 s22, 0, s14
	s_cmp_lg_u32 s23, 0
	s_subb_u32 s22, s22, s21
	s_cmp_lg_u32 s24, 0
	v_readfirstlane_b32 s24, v2
	s_subb_u32 s22, s22, 0
	s_delay_alu instid0(SALU_CYCLE_1) | instskip(SKIP_1) | instid1(VALU_DEP_1)
	s_cmp_ge_u32 s22, s21
	s_cselect_b32 s25, -1, 0
	s_cmp_ge_u32 s24, s20
	s_cselect_b32 s24, -1, 0
	s_cmp_eq_u32 s22, s21
	s_cselect_b32 s22, s24, s25
	s_add_u32 s24, s7, 1
	s_addc_u32 s25, s11, 0
	s_add_u32 s26, s7, 2
	s_addc_u32 s27, s11, 0
	s_cmp_lg_u32 s22, 0
	s_cselect_b32 s22, s26, s24
	s_cselect_b32 s24, s27, s25
	s_cmp_lg_u32 s23, 0
	v_readfirstlane_b32 s23, v1
	s_subb_u32 s14, 0, s14
	s_delay_alu instid0(SALU_CYCLE_1) | instskip(SKIP_1) | instid1(VALU_DEP_1)
	s_cmp_ge_u32 s14, s21
	s_cselect_b32 s25, -1, 0
	s_cmp_ge_u32 s23, s20
	s_cselect_b32 s20, -1, 0
	s_cmp_eq_u32 s14, s21
	s_cselect_b32 s14, s20, s25
	s_delay_alu instid0(SALU_CYCLE_1) | instskip(SKIP_2) | instid1(SALU_CYCLE_1)
	s_cmp_lg_u32 s14, 0
	s_cselect_b32 s21, s24, s11
	s_cselect_b32 s20, s22, s7
	s_xor_b64 s[20:21], s[20:21], s[12:13]
	s_delay_alu instid0(SALU_CYCLE_1)
	s_sub_u32 s24, s20, s12
	s_subb_u32 s25, s21, s12
	s_load_b64 s[22:23], s[0:1], 0x38
	s_and_not1_b32 vcc_lo, exec_lo, s10
	s_cbranch_vccnz .LBB100_5
.LBB100_4:
	v_cvt_f32_u32_e32 v1, s16
	s_sub_i32 s10, 0, s16
	s_mov_b32 s25, 0
	s_delay_alu instid0(VALU_DEP_1) | instskip(SKIP_2) | instid1(VALU_DEP_1)
	v_rcp_iflag_f32_e32 v1, v1
	s_waitcnt_depctr 0xfff
	v_mul_f32_e32 v1, 0x4f7ffffe, v1
	v_cvt_u32_f32_e32 v1, v1
	s_delay_alu instid0(VALU_DEP_1) | instskip(NEXT) | instid1(VALU_DEP_1)
	v_readfirstlane_b32 s7, v1
	s_mul_i32 s10, s10, s7
	s_delay_alu instid0(SALU_CYCLE_1) | instskip(NEXT) | instid1(SALU_CYCLE_1)
	s_mul_hi_u32 s10, s7, s10
	s_add_i32 s7, s7, s10
	s_delay_alu instid0(SALU_CYCLE_1) | instskip(NEXT) | instid1(SALU_CYCLE_1)
	s_mul_hi_u32 s7, s15, s7
	s_mul_i32 s10, s7, s16
	s_add_i32 s11, s7, 1
	s_sub_i32 s10, s15, s10
	s_delay_alu instid0(SALU_CYCLE_1)
	s_sub_i32 s12, s10, s16
	s_cmp_ge_u32 s10, s16
	s_cselect_b32 s7, s11, s7
	s_cselect_b32 s10, s12, s10
	s_add_i32 s11, s7, 1
	s_cmp_ge_u32 s10, s16
	s_cselect_b32 s24, s11, s7
.LBB100_5:
	s_delay_alu instid0(SALU_CYCLE_1)
	s_mul_i32 s7, s24, s17
	s_mul_hi_u32 s10, s24, s16
	v_mov_b32_e32 v1, 0
	s_add_i32 s7, s10, s7
	s_mul_i32 s10, s25, s16
	s_mul_i32 s16, s24, s16
	s_add_i32 s17, s7, s10
	s_sub_u32 s10, s15, s16
	s_subb_u32 s11, 0, s17
	v_mov_b32_e32 v2, 0
	s_lshl_b64 s[10:11], s[10:11], 3
	v_mov_b32_e32 v3, 0
	s_waitcnt lgkmcnt(0)
	s_add_u32 s8, s8, s10
	s_addc_u32 s9, s9, s11
	s_load_b64 s[20:21], s[8:9], 0x0
	s_load_b128 s[8:11], s[0:1], 0x40
	s_waitcnt lgkmcnt(0)
	s_lshl_b64 s[12:13], s[20:21], 3
	s_mul_i32 s7, s21, s8
	s_add_u32 s2, s2, s12
	s_addc_u32 s3, s3, s13
	s_load_b128 s[12:15], s[2:3], 0x0
	s_lshl_b64 s[2:3], s[24:25], 9
	s_delay_alu instid0(SALU_CYCLE_1) | instskip(SKIP_3) | instid1(SALU_CYCLE_1)
	v_or_b32_e32 v6, s2, v0
	v_mov_b32_e32 v7, s3
	s_mul_i32 s2, s20, s9
	s_mul_hi_u32 s3, s20, s8
	s_add_i32 s3, s3, s2
	s_delay_alu instid0(VALU_DEP_1) | instskip(SKIP_2) | instid1(VALU_DEP_1)
	v_cmp_gt_i64_e64 s2, s[18:19], v[6:7]
	s_add_i32 s19, s3, s7
	s_mul_i32 s18, s20, s8
	s_and_saveexec_b32 s3, s2
	s_cbranch_execz .LBB100_7
; %bb.6:
	v_add_co_u32 v2, vcc_lo, v6, s18
	v_add_co_ci_u32_e32 v3, vcc_lo, s19, v7, vcc_lo
	s_delay_alu instid0(VALU_DEP_1) | instskip(NEXT) | instid1(VALU_DEP_1)
	v_lshlrev_b64 v[2:3], 3, v[2:3]
	v_add_co_u32 v2, vcc_lo, s22, v2
	s_delay_alu instid0(VALU_DEP_2)
	v_add_co_ci_u32_e32 v3, vcc_lo, s23, v3, vcc_lo
	global_load_b64 v[2:3], v[2:3], off
	s_waitcnt vmcnt(0)
	v_mul_f64 v[2:3], v[4:5], v[2:3]
.LBB100_7:
	s_or_b32 exec_lo, exec_lo, s3
	s_waitcnt vmcnt(0)
	v_lshlrev_b64 v[4:5], 3, v[6:7]
	s_waitcnt lgkmcnt(0)
	v_cmp_ge_i64_e64 s3, s[12:13], s[14:15]
	v_mov_b32_e32 v8, 0
	v_mov_b32_e32 v9, 0x3ff00000
	s_delay_alu instid0(VALU_DEP_4)
	v_add_co_u32 v12, vcc_lo, s22, v4
	v_add_co_ci_u32_e32 v13, vcc_lo, s23, v5, vcc_lo
	s_and_b32 vcc_lo, exec_lo, s3
	v_cmp_eq_u32_e64 s3, 0, v0
	s_cbranch_vccnz .LBB100_49
; %bb.8:
	s_clause 0x1
	s_load_b128 s[24:27], s[0:1], 0x28
	s_load_b64 s[22:23], s[0:1], 0x58
	s_lshl_b64 s[0:1], s[16:17], 2
	v_lshlrev_b32_e32 v14, 3, v0
	s_add_u32 s7, s10, s0
	s_addc_u32 s33, s11, s1
	s_sub_u32 s12, s12, s4
	s_subb_u32 s13, s13, 0
	s_sub_u32 s14, s14, s4
	v_mov_b32_e32 v4, 0
	v_mov_b32_e32 v5, 0x3ff00000
	s_subb_u32 s15, s15, 0
	s_cmp_lg_u32 s6, 0
	v_or_b32_e32 v15, 0x1000, v14
	s_cselect_b32 s34, -1, 0
	v_mov_b32_e32 v20, 0
	s_waitcnt lgkmcnt(0)
	v_add_co_u32 v16, s0, s24, v14
	s_delay_alu instid0(VALU_DEP_1)
	v_add_co_ci_u32_e64 v17, null, s25, 0, s0
	v_add_co_u32 v18, s0, s26, v14
	s_add_u32 s24, s20, s4
	v_add_co_ci_u32_e64 v19, null, s27, 0, s0
	v_cmp_ne_u32_e64 s0, 0, v0
	s_addc_u32 s25, s21, 0
	s_cmp_eq_u32 s6, 0
	s_mov_b64 s[26:27], s[12:13]
	s_cselect_b32 s1, -1, 0
	s_branch .LBB100_11
.LBB100_9:                              ;   in Loop: Header=BB100_11 Depth=1
	s_add_u32 s26, s26, 1
	s_addc_u32 s27, s27, 0
	s_delay_alu instid0(SALU_CYCLE_1)
	v_cmp_ge_i64_e64 s13, s[26:27], s[14:15]
.LBB100_10:                             ;   in Loop: Header=BB100_11 Depth=1
	s_delay_alu instid0(VALU_DEP_2) | instskip(SKIP_1) | instid1(VALU_DEP_3)
	v_dual_mov_b32 v2, v10 :: v_dual_mov_b32 v3, v11
	v_dual_mov_b32 v4, v8 :: v_dual_mov_b32 v5, v9
	s_and_not1_b32 vcc_lo, exec_lo, s13
	s_cbranch_vccz .LBB100_50
.LBB100_11:                             ; =>This Loop Header: Depth=1
                                        ;     Child Loop BB100_47 Depth 2
                                        ;       Child Loop BB100_48 Depth 3
	s_sub_i32 s13, s26, s12
	s_delay_alu instid0(SALU_CYCLE_1) | instskip(NEXT) | instid1(SALU_CYCLE_1)
	s_and_b32 s13, s13, 0x1ff
	s_cmp_lg_u32 s13, 0
	s_cbranch_scc1 .LBB100_15
; %bb.12:                               ;   in Loop: Header=BB100_11 Depth=1
	s_sub_u32 s28, s14, s26
	s_subb_u32 s29, s15, s27
	v_mov_b32_e32 v6, -1
	v_dual_mov_b32 v7, -1 :: v_dual_mov_b32 v8, 0
	v_cmp_gt_i64_e32 vcc_lo, s[28:29], v[0:1]
	v_mov_b32_e32 v9, 0xbff00000
	s_and_saveexec_b32 s28, vcc_lo
	s_cbranch_execz .LBB100_14
; %bb.13:                               ;   in Loop: Header=BB100_11 Depth=1
	s_lshl_b64 s[30:31], s[26:27], 3
	s_delay_alu instid0(SALU_CYCLE_1)
	v_add_co_u32 v6, vcc_lo, v16, s30
	v_add_co_ci_u32_e32 v7, vcc_lo, s31, v17, vcc_lo
	v_add_co_u32 v8, vcc_lo, v18, s30
	v_add_co_ci_u32_e32 v9, vcc_lo, s31, v19, vcc_lo
	global_load_b64 v[6:7], v[6:7], off
	global_load_b64 v[8:9], v[8:9], off
	s_waitcnt vmcnt(1)
	v_sub_co_u32 v6, vcc_lo, v6, s4
	v_subrev_co_ci_u32_e32 v7, vcc_lo, 0, v7, vcc_lo
.LBB100_14:                             ;   in Loop: Header=BB100_11 Depth=1
	s_or_b32 exec_lo, exec_lo, s28
	ds_store_b64 v14, v[6:7]
	s_waitcnt vmcnt(0)
	ds_store_b64 v15, v[8:9]
.LBB100_15:                             ;   in Loop: Header=BB100_11 Depth=1
	s_lshl_b32 s13, s13, 3
	s_waitcnt lgkmcnt(0)
	v_mov_b32_e32 v6, s13
	s_waitcnt_vscnt null, 0x0
	s_barrier
	buffer_gl0_inv
	ds_load_2addr_stride64_b64 v[6:9], v6 offset1:8
	s_waitcnt lgkmcnt(0)
	v_cmp_neq_f64_e32 vcc_lo, 0, v[8:9]
	v_readfirstlane_b32 s28, v6
	v_readfirstlane_b32 s29, v7
	s_delay_alu instid0(VALU_DEP_1) | instskip(SKIP_1) | instid1(SALU_CYCLE_1)
	s_cmp_lg_u64 s[28:29], s[20:21]
	s_cselect_b32 s13, -1, 0
	s_or_b32 s13, s34, s13
	s_delay_alu instid0(SALU_CYCLE_1) | instskip(SKIP_3) | instid1(SALU_CYCLE_1)
	s_or_b32 vcc_lo, vcc_lo, s13
	v_cndmask_b32_e32 v7, 0x3ff00000, v9, vcc_lo
	v_cndmask_b32_e32 v6, 0, v8, vcc_lo
	s_or_b32 s13, s0, vcc_lo
	s_xor_b32 s30, s13, -1
	s_delay_alu instid0(SALU_CYCLE_1)
	s_and_saveexec_b32 s13, s30
	s_cbranch_execz .LBB100_19
; %bb.16:                               ;   in Loop: Header=BB100_11 Depth=1
	v_mbcnt_lo_u32_b32 v6, exec_lo, 0
	s_mov_b32 s30, exec_lo
	s_delay_alu instid0(VALU_DEP_1)
	v_cmpx_eq_u32_e32 0, v6
	s_cbranch_execz .LBB100_18
; %bb.17:                               ;   in Loop: Header=BB100_11 Depth=1
	v_dual_mov_b32 v6, s24 :: v_dual_mov_b32 v7, s25
	global_atomic_min_u64 v20, v[6:7], s[22:23]
.LBB100_18:                             ;   in Loop: Header=BB100_11 Depth=1
	s_or_b32 exec_lo, exec_lo, s30
	v_mov_b32_e32 v6, 0
	v_mov_b32_e32 v7, 0x3ff00000
.LBB100_19:                             ;   in Loop: Header=BB100_11 Depth=1
	s_or_b32 exec_lo, exec_lo, s13
	s_cmp_lt_i32 s5, 1
	s_mov_b32 s13, 0
	s_cbranch_scc1 .LBB100_24
; %bb.20:                               ;   in Loop: Header=BB100_11 Depth=1
	s_cmp_eq_u32 s5, 1
	s_cbranch_scc0 .LBB100_25
; %bb.21:                               ;   in Loop: Header=BB100_11 Depth=1
	v_cmp_ge_i64_e64 s30, s[28:29], s[20:21]
	v_dual_mov_b32 v9, v5 :: v_dual_mov_b32 v8, v4
	s_delay_alu instid0(VALU_DEP_2)
	s_and_b32 vcc_lo, exec_lo, s30
	s_mov_b32 s30, 0
	s_cbranch_vccz .LBB100_27
; %bb.22:                               ;   in Loop: Header=BB100_11 Depth=1
	s_cmp_eq_u64 s[28:29], s[20:21]
	s_cbranch_scc0 .LBB100_26
; %bb.23:                               ;   in Loop: Header=BB100_11 Depth=1
	v_div_scale_f64 v[8:9], null, v[6:7], v[6:7], 1.0
	v_div_scale_f64 v[23:24], vcc_lo, 1.0, v[6:7], 1.0
	s_delay_alu instid0(VALU_DEP_2) | instskip(SKIP_2) | instid1(VALU_DEP_1)
	v_rcp_f64_e32 v[10:11], v[8:9]
	s_waitcnt_depctr 0xfff
	v_fma_f64 v[21:22], -v[8:9], v[10:11], 1.0
	v_fma_f64 v[10:11], v[10:11], v[21:22], v[10:11]
	s_delay_alu instid0(VALU_DEP_1) | instskip(NEXT) | instid1(VALU_DEP_1)
	v_fma_f64 v[21:22], -v[8:9], v[10:11], 1.0
	v_fma_f64 v[10:11], v[10:11], v[21:22], v[10:11]
	s_delay_alu instid0(VALU_DEP_1) | instskip(NEXT) | instid1(VALU_DEP_1)
	v_mul_f64 v[21:22], v[23:24], v[10:11]
	v_fma_f64 v[8:9], -v[8:9], v[21:22], v[23:24]
	s_delay_alu instid0(VALU_DEP_1) | instskip(NEXT) | instid1(VALU_DEP_1)
	v_div_fmas_f64 v[8:9], v[8:9], v[10:11], v[21:22]
	v_div_fixup_f64 v[8:9], v[8:9], v[6:7], 1.0
	s_delay_alu instid0(VALU_DEP_1) | instskip(NEXT) | instid1(VALU_DEP_2)
	v_cndmask_b32_e64 v9, v5, v9, s1
	v_cndmask_b32_e64 v8, v4, v8, s1
	s_branch .LBB100_27
.LBB100_24:                             ;   in Loop: Header=BB100_11 Depth=1
	s_mov_b32 s30, 0
                                        ; implicit-def: $vgpr10_vgpr11
                                        ; implicit-def: $vgpr8_vgpr9
                                        ; implicit-def: $sgpr31
	s_cbranch_execnz .LBB100_28
	s_branch .LBB100_30
.LBB100_25:                             ;   in Loop: Header=BB100_11 Depth=1
	s_mov_b32 s30, -1
                                        ; implicit-def: $vgpr10_vgpr11
                                        ; implicit-def: $vgpr8_vgpr9
                                        ; implicit-def: $sgpr31
	s_branch .LBB100_30
.LBB100_26:                             ;   in Loop: Header=BB100_11 Depth=1
	s_mov_b32 s30, -1
                                        ; implicit-def: $vgpr8_vgpr9
.LBB100_27:                             ;   in Loop: Header=BB100_11 Depth=1
	v_dual_mov_b32 v11, v3 :: v_dual_mov_b32 v10, v2
	s_mov_b32 s31, 4
	s_branch .LBB100_30
.LBB100_28:                             ;   in Loop: Header=BB100_11 Depth=1
	s_cmp_eq_u32 s5, 0
	s_cbranch_scc1 .LBB100_34
; %bb.29:                               ;   in Loop: Header=BB100_11 Depth=1
	s_mov_b32 s30, -1
                                        ; implicit-def: $vgpr10_vgpr11
                                        ; implicit-def: $vgpr8_vgpr9
                                        ; implicit-def: $sgpr31
.LBB100_30:                             ;   in Loop: Header=BB100_11 Depth=1
	s_delay_alu instid0(SALU_CYCLE_1)
	s_and_b32 vcc_lo, exec_lo, s30
	s_cbranch_vccnz .LBB100_37
.LBB100_31:                             ;   in Loop: Header=BB100_11 Depth=1
	s_and_b32 vcc_lo, exec_lo, s13
	s_cbranch_vccnz .LBB100_42
.LBB100_32:                             ;   in Loop: Header=BB100_11 Depth=1
	s_cmp_gt_i32 s31, 3
	s_mov_b32 s13, -1
	s_cbranch_scc1 .LBB100_43
.LBB100_33:                             ;   in Loop: Header=BB100_11 Depth=1
	s_cmp_eq_u32 s31, 0
	s_cselect_b32 s28, -1, 0
	s_delay_alu instid0(SALU_CYCLE_1)
	s_and_not1_b32 vcc_lo, exec_lo, s28
	s_cbranch_vccz .LBB100_9
	s_branch .LBB100_44
.LBB100_34:                             ;   in Loop: Header=BB100_11 Depth=1
	v_cmp_le_i64_e64 s30, s[28:29], s[20:21]
	s_delay_alu instid0(VALU_DEP_1)
	s_and_b32 vcc_lo, exec_lo, s30
	s_mov_b32 s30, 0
	s_cbranch_vccz .LBB100_36
; %bb.35:                               ;   in Loop: Header=BB100_11 Depth=1
	s_cmp_lg_u64 s[28:29], s[20:21]
	s_mov_b32 s13, -1
	s_cselect_b32 s30, -1, 0
.LBB100_36:                             ;   in Loop: Header=BB100_11 Depth=1
	v_dual_mov_b32 v11, v3 :: v_dual_mov_b32 v10, v2
	v_dual_mov_b32 v9, v5 :: v_dual_mov_b32 v8, v4
	s_mov_b32 s31, 2
	s_and_b32 vcc_lo, exec_lo, s30
	s_cbranch_vccz .LBB100_31
.LBB100_37:                             ;   in Loop: Header=BB100_11 Depth=1
	s_and_saveexec_b32 s13, s3
	s_cbranch_execz .LBB100_39
; %bb.38:                               ;   in Loop: Header=BB100_11 Depth=1
	s_lshl_b64 s[30:31], s[28:29], 2
	s_delay_alu instid0(SALU_CYCLE_1)
	s_add_u32 s30, s7, s30
	s_addc_u32 s31, s33, s31
	global_load_b32 v8, v20, s[30:31] glc
	s_waitcnt vmcnt(0)
	v_cmp_ne_u32_e32 vcc_lo, 0, v8
	s_cbranch_vccz .LBB100_45
.LBB100_39:                             ;   in Loop: Header=BB100_11 Depth=1
	s_or_b32 exec_lo, exec_lo, s13
	v_mov_b32_e32 v10, 0
	v_mov_b32_e32 v11, 0
	s_waitcnt_vscnt null, 0x0
	s_barrier
	buffer_gl0_inv
	buffer_gl1_inv
	buffer_gl0_inv
	s_and_saveexec_b32 s13, s2
	s_cbranch_execz .LBB100_41
; %bb.40:                               ;   in Loop: Header=BB100_11 Depth=1
	s_mul_i32 s30, s28, s9
	s_mul_hi_u32 s31, s28, s8
	s_mul_i32 s29, s29, s8
	s_add_i32 s30, s31, s30
	s_mul_i32 s28, s28, s8
	s_add_i32 s29, s30, s29
	s_delay_alu instid0(SALU_CYCLE_1) | instskip(NEXT) | instid1(SALU_CYCLE_1)
	s_lshl_b64 s[28:29], s[28:29], 3
	v_add_co_u32 v8, vcc_lo, v12, s28
	v_add_co_ci_u32_e32 v9, vcc_lo, s29, v13, vcc_lo
	global_load_b64 v[8:9], v[8:9], off
	s_waitcnt vmcnt(0)
	v_fma_f64 v[10:11], -v[6:7], v[8:9], v[2:3]
.LBB100_41:                             ;   in Loop: Header=BB100_11 Depth=1
	s_or_b32 exec_lo, exec_lo, s13
	v_dual_mov_b32 v9, v5 :: v_dual_mov_b32 v8, v4
	s_mov_b32 s31, 0
	s_branch .LBB100_32
.LBB100_42:                             ;   in Loop: Header=BB100_11 Depth=1
	v_div_scale_f64 v[8:9], null, v[6:7], v[6:7], 1.0
	v_div_scale_f64 v[23:24], vcc_lo, 1.0, v[6:7], 1.0
	s_mov_b32 s31, 2
	s_delay_alu instid0(VALU_DEP_2) | instskip(SKIP_2) | instid1(VALU_DEP_1)
	v_rcp_f64_e32 v[10:11], v[8:9]
	s_waitcnt_depctr 0xfff
	v_fma_f64 v[21:22], -v[8:9], v[10:11], 1.0
	v_fma_f64 v[10:11], v[10:11], v[21:22], v[10:11]
	s_delay_alu instid0(VALU_DEP_1) | instskip(NEXT) | instid1(VALU_DEP_1)
	v_fma_f64 v[21:22], -v[8:9], v[10:11], 1.0
	v_fma_f64 v[10:11], v[10:11], v[21:22], v[10:11]
	s_delay_alu instid0(VALU_DEP_1) | instskip(NEXT) | instid1(VALU_DEP_1)
	v_mul_f64 v[21:22], v[23:24], v[10:11]
	v_fma_f64 v[8:9], -v[8:9], v[21:22], v[23:24]
	s_delay_alu instid0(VALU_DEP_1) | instskip(SKIP_1) | instid1(VALU_DEP_2)
	v_div_fmas_f64 v[8:9], v[8:9], v[10:11], v[21:22]
	v_dual_mov_b32 v11, v3 :: v_dual_mov_b32 v10, v2
	v_div_fixup_f64 v[6:7], v[8:9], v[6:7], 1.0
	s_delay_alu instid0(VALU_DEP_1) | instskip(NEXT) | instid1(VALU_DEP_2)
	v_cndmask_b32_e64 v9, v5, v7, s1
	v_cndmask_b32_e64 v8, v4, v6, s1
	s_cmp_gt_i32 s31, 3
	s_mov_b32 s13, -1
	s_cbranch_scc0 .LBB100_33
.LBB100_43:                             ;   in Loop: Header=BB100_11 Depth=1
	s_branch .LBB100_9
.LBB100_44:                             ;   in Loop: Header=BB100_11 Depth=1
                                        ; implicit-def: $sgpr26_sgpr27
	s_branch .LBB100_10
.LBB100_45:                             ;   in Loop: Header=BB100_11 Depth=1
	s_mov_b32 s35, 0
	s_branch .LBB100_47
	.p2align	6
.LBB100_46:                             ;   in Loop: Header=BB100_47 Depth=2
	global_load_b32 v8, v20, s[30:31] glc
	s_cmpk_lt_u32 s35, 0xf43
	s_cselect_b32 s36, -1, 0
	s_delay_alu instid0(SALU_CYCLE_1)
	s_cmp_lg_u32 s36, 0
	s_addc_u32 s35, s35, 0
	s_waitcnt vmcnt(0)
	v_cmp_ne_u32_e32 vcc_lo, 0, v8
	s_cbranch_vccnz .LBB100_39
.LBB100_47:                             ;   Parent Loop BB100_11 Depth=1
                                        ; =>  This Loop Header: Depth=2
                                        ;       Child Loop BB100_48 Depth 3
	s_cmp_eq_u32 s35, 0
	s_mov_b32 s36, s35
	s_cbranch_scc1 .LBB100_46
.LBB100_48:                             ;   Parent Loop BB100_11 Depth=1
                                        ;     Parent Loop BB100_47 Depth=2
                                        ; =>    This Inner Loop Header: Depth=3
	s_add_i32 s36, s36, -1
	s_sleep 1
	s_cmp_eq_u32 s36, 0
	s_cbranch_scc0 .LBB100_48
	s_branch .LBB100_46
.LBB100_49:
	v_dual_mov_b32 v11, v3 :: v_dual_mov_b32 v10, v2
.LBB100_50:
	s_and_saveexec_b32 s0, s2
	s_cbranch_execz .LBB100_52
; %bb.51:
	s_delay_alu instid0(VALU_DEP_1) | instskip(SKIP_3) | instid1(VALU_DEP_1)
	v_mul_f64 v[1:2], v[8:9], v[10:11]
	s_cmp_eq_u32 s6, 0
	s_cselect_b32 vcc_lo, -1, 0
	s_lshl_b64 s[2:3], s[18:19], 3
	v_dual_cndmask_b32 v2, v11, v2 :: v_dual_cndmask_b32 v1, v10, v1
	v_add_co_u32 v3, vcc_lo, v12, s2
	v_add_co_ci_u32_e32 v4, vcc_lo, s3, v13, vcc_lo
	global_store_b64 v[3:4], v[1:2], off
.LBB100_52:
	s_or_b32 exec_lo, exec_lo, s0
	s_waitcnt_vscnt null, 0x0
	buffer_gl1_inv
	buffer_gl0_inv
	s_barrier
	buffer_gl0_inv
	s_mov_b32 s0, exec_lo
	v_cmpx_eq_u32_e32 0, v0
	s_cbranch_execz .LBB100_54
; %bb.53:
	s_lshl_b64 s[0:1], s[20:21], 2
	v_dual_mov_b32 v0, 0 :: v_dual_mov_b32 v1, 1
	s_add_u32 s2, s10, s0
	s_addc_u32 s3, s11, s1
	s_lshl_b64 s[0:1], s[16:17], 2
	s_delay_alu instid0(SALU_CYCLE_1)
	s_add_u32 s0, s2, s0
	s_addc_u32 s1, s3, s1
	global_store_b32 v0, v1, s[0:1]
.LBB100_54:
	s_nop 0
	s_sendmsg sendmsg(MSG_DEALLOC_VGPRS)
	s_endpgm
.LBB100_55:
                                        ; implicit-def: $sgpr24_sgpr25
	s_load_b64 s[22:23], s[0:1], 0x38
	s_branch .LBB100_4
	.section	.rodata,"a",@progbits
	.p2align	6, 0x0
	.amdhsa_kernel _ZN9rocsparseL5csrsmILj512ELj64ELb1ElldEEv20rocsparse_operation_T3_S2_NS_24const_host_device_scalarIT4_EEPKT2_PKS2_PKS4_PS4_lPiSA_PS2_21rocsparse_index_base_20rocsparse_fill_mode_20rocsparse_diag_type_b
		.amdhsa_group_segment_fixed_size 8192
		.amdhsa_private_segment_fixed_size 0
		.amdhsa_kernarg_size 112
		.amdhsa_user_sgpr_count 15
		.amdhsa_user_sgpr_dispatch_ptr 0
		.amdhsa_user_sgpr_queue_ptr 0
		.amdhsa_user_sgpr_kernarg_segment_ptr 1
		.amdhsa_user_sgpr_dispatch_id 0
		.amdhsa_user_sgpr_private_segment_size 0
		.amdhsa_wavefront_size32 1
		.amdhsa_uses_dynamic_stack 0
		.amdhsa_enable_private_segment 0
		.amdhsa_system_sgpr_workgroup_id_x 1
		.amdhsa_system_sgpr_workgroup_id_y 0
		.amdhsa_system_sgpr_workgroup_id_z 0
		.amdhsa_system_sgpr_workgroup_info 0
		.amdhsa_system_vgpr_workitem_id 0
		.amdhsa_next_free_vgpr 25
		.amdhsa_next_free_sgpr 37
		.amdhsa_reserve_vcc 1
		.amdhsa_float_round_mode_32 0
		.amdhsa_float_round_mode_16_64 0
		.amdhsa_float_denorm_mode_32 3
		.amdhsa_float_denorm_mode_16_64 3
		.amdhsa_dx10_clamp 1
		.amdhsa_ieee_mode 1
		.amdhsa_fp16_overflow 0
		.amdhsa_workgroup_processor_mode 1
		.amdhsa_memory_ordered 1
		.amdhsa_forward_progress 0
		.amdhsa_shared_vgpr_count 0
		.amdhsa_exception_fp_ieee_invalid_op 0
		.amdhsa_exception_fp_denorm_src 0
		.amdhsa_exception_fp_ieee_div_zero 0
		.amdhsa_exception_fp_ieee_overflow 0
		.amdhsa_exception_fp_ieee_underflow 0
		.amdhsa_exception_fp_ieee_inexact 0
		.amdhsa_exception_int_div_zero 0
	.end_amdhsa_kernel
	.section	.text._ZN9rocsparseL5csrsmILj512ELj64ELb1ElldEEv20rocsparse_operation_T3_S2_NS_24const_host_device_scalarIT4_EEPKT2_PKS2_PKS4_PS4_lPiSA_PS2_21rocsparse_index_base_20rocsparse_fill_mode_20rocsparse_diag_type_b,"axG",@progbits,_ZN9rocsparseL5csrsmILj512ELj64ELb1ElldEEv20rocsparse_operation_T3_S2_NS_24const_host_device_scalarIT4_EEPKT2_PKS2_PKS4_PS4_lPiSA_PS2_21rocsparse_index_base_20rocsparse_fill_mode_20rocsparse_diag_type_b,comdat
.Lfunc_end100:
	.size	_ZN9rocsparseL5csrsmILj512ELj64ELb1ElldEEv20rocsparse_operation_T3_S2_NS_24const_host_device_scalarIT4_EEPKT2_PKS2_PKS4_PS4_lPiSA_PS2_21rocsparse_index_base_20rocsparse_fill_mode_20rocsparse_diag_type_b, .Lfunc_end100-_ZN9rocsparseL5csrsmILj512ELj64ELb1ElldEEv20rocsparse_operation_T3_S2_NS_24const_host_device_scalarIT4_EEPKT2_PKS2_PKS4_PS4_lPiSA_PS2_21rocsparse_index_base_20rocsparse_fill_mode_20rocsparse_diag_type_b
                                        ; -- End function
	.section	.AMDGPU.csdata,"",@progbits
; Kernel info:
; codeLenInByte = 2600
; NumSgprs: 39
; NumVgprs: 25
; ScratchSize: 0
; MemoryBound: 0
; FloatMode: 240
; IeeeMode: 1
; LDSByteSize: 8192 bytes/workgroup (compile time only)
; SGPRBlocks: 4
; VGPRBlocks: 3
; NumSGPRsForWavesPerEU: 39
; NumVGPRsForWavesPerEU: 25
; Occupancy: 16
; WaveLimiterHint : 1
; COMPUTE_PGM_RSRC2:SCRATCH_EN: 0
; COMPUTE_PGM_RSRC2:USER_SGPR: 15
; COMPUTE_PGM_RSRC2:TRAP_HANDLER: 0
; COMPUTE_PGM_RSRC2:TGID_X_EN: 1
; COMPUTE_PGM_RSRC2:TGID_Y_EN: 0
; COMPUTE_PGM_RSRC2:TGID_Z_EN: 0
; COMPUTE_PGM_RSRC2:TIDIG_COMP_CNT: 0
	.section	.text._ZN9rocsparseL5csrsmILj512ELj64ELb0ElldEEv20rocsparse_operation_T3_S2_NS_24const_host_device_scalarIT4_EEPKT2_PKS2_PKS4_PS4_lPiSA_PS2_21rocsparse_index_base_20rocsparse_fill_mode_20rocsparse_diag_type_b,"axG",@progbits,_ZN9rocsparseL5csrsmILj512ELj64ELb0ElldEEv20rocsparse_operation_T3_S2_NS_24const_host_device_scalarIT4_EEPKT2_PKS2_PKS4_PS4_lPiSA_PS2_21rocsparse_index_base_20rocsparse_fill_mode_20rocsparse_diag_type_b,comdat
	.globl	_ZN9rocsparseL5csrsmILj512ELj64ELb0ElldEEv20rocsparse_operation_T3_S2_NS_24const_host_device_scalarIT4_EEPKT2_PKS2_PKS4_PS4_lPiSA_PS2_21rocsparse_index_base_20rocsparse_fill_mode_20rocsparse_diag_type_b ; -- Begin function _ZN9rocsparseL5csrsmILj512ELj64ELb0ElldEEv20rocsparse_operation_T3_S2_NS_24const_host_device_scalarIT4_EEPKT2_PKS2_PKS4_PS4_lPiSA_PS2_21rocsparse_index_base_20rocsparse_fill_mode_20rocsparse_diag_type_b
	.p2align	8
	.type	_ZN9rocsparseL5csrsmILj512ELj64ELb0ElldEEv20rocsparse_operation_T3_S2_NS_24const_host_device_scalarIT4_EEPKT2_PKS2_PKS4_PS4_lPiSA_PS2_21rocsparse_index_base_20rocsparse_fill_mode_20rocsparse_diag_type_b,@function
_ZN9rocsparseL5csrsmILj512ELj64ELb0ElldEEv20rocsparse_operation_T3_S2_NS_24const_host_device_scalarIT4_EEPKT2_PKS2_PKS4_PS4_lPiSA_PS2_21rocsparse_index_base_20rocsparse_fill_mode_20rocsparse_diag_type_b: ; @_ZN9rocsparseL5csrsmILj512ELj64ELb0ElldEEv20rocsparse_operation_T3_S2_NS_24const_host_device_scalarIT4_EEPKT2_PKS2_PKS4_PS4_lPiSA_PS2_21rocsparse_index_base_20rocsparse_fill_mode_20rocsparse_diag_type_b
; %bb.0:
	s_clause 0x2
	s_load_b128 s[4:7], s[0:1], 0x60
	s_load_b64 s[2:3], s[0:1], 0x18
	s_load_b128 s[16:19], s[0:1], 0x8
	s_waitcnt lgkmcnt(0)
	s_bitcmp1_b32 s7, 0
	v_dual_mov_b32 v5, s3 :: v_dual_mov_b32 v4, s2
	s_cselect_b32 s7, -1, 0
	s_delay_alu instid0(SALU_CYCLE_1)
	s_and_b32 vcc_lo, exec_lo, s7
	s_cbranch_vccnz .LBB101_2
; %bb.1:
	v_dual_mov_b32 v1, s2 :: v_dual_mov_b32 v2, s3
	flat_load_b64 v[4:5], v[1:2]
.LBB101_2:
	s_clause 0x1
	s_load_b64 s[8:9], s[0:1], 0x50
	s_load_b64 s[2:3], s[0:1], 0x20
	s_mov_b32 s10, 0
	s_mov_b32 s11, s17
	s_delay_alu instid0(SALU_CYCLE_1)
	s_cmp_lg_u64 s[10:11], 0
	s_cbranch_scc0 .LBB101_52
; %bb.3:
	s_ashr_i32 s12, s17, 31
	s_delay_alu instid0(SALU_CYCLE_1) | instskip(SKIP_2) | instid1(SALU_CYCLE_1)
	s_add_u32 s20, s16, s12
	s_mov_b32 s13, s12
	s_addc_u32 s21, s17, s12
	s_xor_b64 s[20:21], s[20:21], s[12:13]
	s_delay_alu instid0(SALU_CYCLE_1) | instskip(SKIP_3) | instid1(VALU_DEP_1)
	v_cvt_f32_u32_e32 v1, s20
	v_cvt_f32_u32_e32 v2, s21
	s_sub_u32 s14, 0, s20
	s_subb_u32 s22, 0, s21
	v_fmamk_f32 v1, v2, 0x4f800000, v1
	s_delay_alu instid0(VALU_DEP_1) | instskip(SKIP_2) | instid1(VALU_DEP_1)
	v_rcp_f32_e32 v1, v1
	s_waitcnt_depctr 0xfff
	v_mul_f32_e32 v1, 0x5f7ffffc, v1
	v_mul_f32_e32 v2, 0x2f800000, v1
	s_delay_alu instid0(VALU_DEP_1) | instskip(NEXT) | instid1(VALU_DEP_1)
	v_trunc_f32_e32 v2, v2
	v_fmamk_f32 v1, v2, 0xcf800000, v1
	v_cvt_u32_f32_e32 v2, v2
	s_delay_alu instid0(VALU_DEP_2) | instskip(NEXT) | instid1(VALU_DEP_2)
	v_cvt_u32_f32_e32 v1, v1
	v_readfirstlane_b32 s7, v2
	s_delay_alu instid0(VALU_DEP_2) | instskip(NEXT) | instid1(VALU_DEP_2)
	v_readfirstlane_b32 s11, v1
	s_mul_i32 s23, s14, s7
	s_delay_alu instid0(VALU_DEP_1)
	s_mul_hi_u32 s25, s14, s11
	s_mul_i32 s24, s22, s11
	s_add_i32 s23, s25, s23
	s_mul_i32 s26, s14, s11
	s_add_i32 s23, s23, s24
	s_mul_hi_u32 s25, s11, s26
	s_mul_hi_u32 s27, s7, s26
	s_mul_i32 s24, s7, s26
	s_mul_hi_u32 s26, s11, s23
	s_mul_i32 s11, s11, s23
	s_mul_hi_u32 s28, s7, s23
	s_add_u32 s11, s25, s11
	s_addc_u32 s25, 0, s26
	s_add_u32 s11, s11, s24
	s_mul_i32 s23, s7, s23
	s_addc_u32 s11, s25, s27
	s_addc_u32 s24, s28, 0
	s_add_u32 s11, s11, s23
	s_addc_u32 s23, 0, s24
	v_add_co_u32 v1, s11, v1, s11
	s_delay_alu instid0(VALU_DEP_1) | instskip(SKIP_1) | instid1(VALU_DEP_1)
	s_cmp_lg_u32 s11, 0
	s_addc_u32 s7, s7, s23
	v_readfirstlane_b32 s11, v1
	s_mul_i32 s23, s14, s7
	s_delay_alu instid0(VALU_DEP_1)
	s_mul_hi_u32 s24, s14, s11
	s_mul_i32 s22, s22, s11
	s_add_i32 s23, s24, s23
	s_mul_i32 s14, s14, s11
	s_add_i32 s23, s23, s22
	s_mul_hi_u32 s24, s7, s14
	s_mul_i32 s25, s7, s14
	s_mul_hi_u32 s14, s11, s14
	s_mul_hi_u32 s26, s11, s23
	s_mul_i32 s11, s11, s23
	s_mul_hi_u32 s22, s7, s23
	s_add_u32 s11, s14, s11
	s_addc_u32 s14, 0, s26
	s_add_u32 s11, s11, s25
	s_mul_i32 s23, s7, s23
	s_addc_u32 s11, s14, s24
	s_addc_u32 s14, s22, 0
	s_add_u32 s11, s11, s23
	s_addc_u32 s14, 0, s14
	v_add_co_u32 v1, s11, v1, s11
	s_delay_alu instid0(VALU_DEP_1) | instskip(SKIP_1) | instid1(VALU_DEP_1)
	s_cmp_lg_u32 s11, 0
	s_addc_u32 s7, s7, s14
	v_readfirstlane_b32 s11, v1
	s_mul_i32 s14, s15, s7
	s_mul_hi_u32 s7, s15, s7
	s_delay_alu instid0(VALU_DEP_1) | instskip(NEXT) | instid1(SALU_CYCLE_1)
	s_mul_hi_u32 s11, s15, s11
	s_add_u32 s11, s11, s14
	s_addc_u32 s7, 0, s7
	s_add_u32 s11, s11, 0
	s_addc_u32 s7, s7, 0
	s_addc_u32 s11, 0, 0
	s_add_u32 s7, s7, 0
	s_addc_u32 s11, 0, s11
	s_mul_hi_u32 s14, s20, s7
	s_mul_i32 s23, s20, s11
	s_mul_i32 s24, s20, s7
	s_add_i32 s14, s14, s23
	v_sub_co_u32 v1, s23, s15, s24
	s_mul_i32 s22, s21, s7
	s_delay_alu instid0(SALU_CYCLE_1) | instskip(NEXT) | instid1(VALU_DEP_1)
	s_add_i32 s14, s14, s22
	v_sub_co_u32 v2, s24, v1, s20
	s_sub_i32 s22, 0, s14
	s_cmp_lg_u32 s23, 0
	s_subb_u32 s22, s22, s21
	s_cmp_lg_u32 s24, 0
	v_readfirstlane_b32 s24, v2
	s_subb_u32 s22, s22, 0
	s_delay_alu instid0(SALU_CYCLE_1) | instskip(SKIP_1) | instid1(VALU_DEP_1)
	s_cmp_ge_u32 s22, s21
	s_cselect_b32 s25, -1, 0
	s_cmp_ge_u32 s24, s20
	s_cselect_b32 s24, -1, 0
	s_cmp_eq_u32 s22, s21
	s_cselect_b32 s22, s24, s25
	s_add_u32 s24, s7, 1
	s_addc_u32 s25, s11, 0
	s_add_u32 s26, s7, 2
	s_addc_u32 s27, s11, 0
	s_cmp_lg_u32 s22, 0
	s_cselect_b32 s22, s26, s24
	s_cselect_b32 s24, s27, s25
	s_cmp_lg_u32 s23, 0
	v_readfirstlane_b32 s23, v1
	s_subb_u32 s14, 0, s14
	s_delay_alu instid0(SALU_CYCLE_1) | instskip(SKIP_1) | instid1(VALU_DEP_1)
	s_cmp_ge_u32 s14, s21
	s_cselect_b32 s25, -1, 0
	s_cmp_ge_u32 s23, s20
	s_cselect_b32 s20, -1, 0
	s_cmp_eq_u32 s14, s21
	s_cselect_b32 s14, s20, s25
	s_delay_alu instid0(SALU_CYCLE_1) | instskip(SKIP_2) | instid1(SALU_CYCLE_1)
	s_cmp_lg_u32 s14, 0
	s_cselect_b32 s21, s24, s11
	s_cselect_b32 s20, s22, s7
	s_xor_b64 s[20:21], s[20:21], s[12:13]
	s_delay_alu instid0(SALU_CYCLE_1)
	s_sub_u32 s24, s20, s12
	s_subb_u32 s25, s21, s12
	s_load_b64 s[22:23], s[0:1], 0x38
	s_and_not1_b32 vcc_lo, exec_lo, s10
	s_cbranch_vccnz .LBB101_5
.LBB101_4:
	v_cvt_f32_u32_e32 v1, s16
	s_sub_i32 s10, 0, s16
	s_mov_b32 s25, 0
	s_delay_alu instid0(VALU_DEP_1) | instskip(SKIP_2) | instid1(VALU_DEP_1)
	v_rcp_iflag_f32_e32 v1, v1
	s_waitcnt_depctr 0xfff
	v_mul_f32_e32 v1, 0x4f7ffffe, v1
	v_cvt_u32_f32_e32 v1, v1
	s_delay_alu instid0(VALU_DEP_1) | instskip(NEXT) | instid1(VALU_DEP_1)
	v_readfirstlane_b32 s7, v1
	s_mul_i32 s10, s10, s7
	s_delay_alu instid0(SALU_CYCLE_1) | instskip(NEXT) | instid1(SALU_CYCLE_1)
	s_mul_hi_u32 s10, s7, s10
	s_add_i32 s7, s7, s10
	s_delay_alu instid0(SALU_CYCLE_1) | instskip(NEXT) | instid1(SALU_CYCLE_1)
	s_mul_hi_u32 s7, s15, s7
	s_mul_i32 s10, s7, s16
	s_add_i32 s11, s7, 1
	s_sub_i32 s10, s15, s10
	s_delay_alu instid0(SALU_CYCLE_1)
	s_sub_i32 s12, s10, s16
	s_cmp_ge_u32 s10, s16
	s_cselect_b32 s7, s11, s7
	s_cselect_b32 s10, s12, s10
	s_add_i32 s11, s7, 1
	s_cmp_ge_u32 s10, s16
	s_cselect_b32 s24, s11, s7
.LBB101_5:
	s_delay_alu instid0(SALU_CYCLE_1)
	s_mul_i32 s7, s24, s17
	s_mul_hi_u32 s10, s24, s16
	v_mov_b32_e32 v1, 0
	s_add_i32 s7, s10, s7
	s_mul_i32 s10, s25, s16
	s_mul_i32 s16, s24, s16
	s_add_i32 s17, s7, s10
	s_sub_u32 s10, s15, s16
	s_subb_u32 s11, 0, s17
	v_mov_b32_e32 v2, 0
	s_lshl_b64 s[10:11], s[10:11], 3
	v_mov_b32_e32 v3, 0
	s_waitcnt lgkmcnt(0)
	s_add_u32 s8, s8, s10
	s_addc_u32 s9, s9, s11
	s_load_b64 s[20:21], s[8:9], 0x0
	s_load_b128 s[8:11], s[0:1], 0x40
	s_waitcnt lgkmcnt(0)
	s_lshl_b64 s[12:13], s[20:21], 3
	s_mul_i32 s7, s21, s8
	s_add_u32 s2, s2, s12
	s_addc_u32 s3, s3, s13
	s_load_b128 s[12:15], s[2:3], 0x0
	s_lshl_b64 s[2:3], s[24:25], 9
	s_delay_alu instid0(SALU_CYCLE_1) | instskip(SKIP_3) | instid1(SALU_CYCLE_1)
	v_or_b32_e32 v6, s2, v0
	v_mov_b32_e32 v7, s3
	s_mul_i32 s2, s20, s9
	s_mul_hi_u32 s3, s20, s8
	s_add_i32 s3, s3, s2
	s_delay_alu instid0(VALU_DEP_1) | instskip(SKIP_2) | instid1(VALU_DEP_1)
	v_cmp_gt_i64_e64 s2, s[18:19], v[6:7]
	s_add_i32 s19, s3, s7
	s_mul_i32 s18, s20, s8
	s_and_saveexec_b32 s3, s2
	s_cbranch_execz .LBB101_7
; %bb.6:
	v_add_co_u32 v2, vcc_lo, v6, s18
	v_add_co_ci_u32_e32 v3, vcc_lo, s19, v7, vcc_lo
	s_delay_alu instid0(VALU_DEP_1) | instskip(NEXT) | instid1(VALU_DEP_1)
	v_lshlrev_b64 v[2:3], 3, v[2:3]
	v_add_co_u32 v2, vcc_lo, s22, v2
	s_delay_alu instid0(VALU_DEP_2)
	v_add_co_ci_u32_e32 v3, vcc_lo, s23, v3, vcc_lo
	global_load_b64 v[2:3], v[2:3], off
	s_waitcnt vmcnt(0)
	v_mul_f64 v[2:3], v[4:5], v[2:3]
.LBB101_7:
	s_or_b32 exec_lo, exec_lo, s3
	s_waitcnt vmcnt(0)
	v_lshlrev_b64 v[4:5], 3, v[6:7]
	s_waitcnt lgkmcnt(0)
	v_cmp_ge_i64_e64 s3, s[12:13], s[14:15]
	v_mov_b32_e32 v8, 0
	v_mov_b32_e32 v9, 0x3ff00000
	s_delay_alu instid0(VALU_DEP_4)
	v_add_co_u32 v12, vcc_lo, s22, v4
	v_add_co_ci_u32_e32 v13, vcc_lo, s23, v5, vcc_lo
	s_and_b32 vcc_lo, exec_lo, s3
	v_cmp_eq_u32_e64 s3, 0, v0
	s_cbranch_vccnz .LBB101_46
; %bb.8:
	s_clause 0x1
	s_load_b128 s[24:27], s[0:1], 0x28
	s_load_b64 s[22:23], s[0:1], 0x58
	s_lshl_b64 s[0:1], s[16:17], 2
	v_lshlrev_b32_e32 v14, 3, v0
	s_add_u32 s7, s10, s0
	s_addc_u32 s33, s11, s1
	s_sub_u32 s12, s12, s4
	s_subb_u32 s13, s13, 0
	s_sub_u32 s14, s14, s4
	v_mov_b32_e32 v4, 0
	v_mov_b32_e32 v5, 0x3ff00000
	s_subb_u32 s15, s15, 0
	s_cmp_lg_u32 s6, 0
	v_or_b32_e32 v15, 0x1000, v14
	s_cselect_b32 s34, -1, 0
	v_mov_b32_e32 v20, 0
	s_waitcnt lgkmcnt(0)
	v_add_co_u32 v16, s0, s24, v14
	s_delay_alu instid0(VALU_DEP_1)
	v_add_co_ci_u32_e64 v17, null, s25, 0, s0
	v_add_co_u32 v18, s0, s26, v14
	s_add_u32 s24, s20, s4
	v_add_co_ci_u32_e64 v19, null, s27, 0, s0
	v_cmp_ne_u32_e64 s0, 0, v0
	s_addc_u32 s25, s21, 0
	s_cmp_eq_u32 s6, 0
	s_mov_b64 s[26:27], s[12:13]
	s_cselect_b32 s1, -1, 0
	s_branch .LBB101_11
.LBB101_9:                              ;   in Loop: Header=BB101_11 Depth=1
	s_add_u32 s26, s26, 1
	s_addc_u32 s27, s27, 0
	s_delay_alu instid0(SALU_CYCLE_1)
	v_cmp_ge_i64_e64 s13, s[26:27], s[14:15]
.LBB101_10:                             ;   in Loop: Header=BB101_11 Depth=1
	s_delay_alu instid0(VALU_DEP_2) | instskip(SKIP_1) | instid1(VALU_DEP_3)
	v_dual_mov_b32 v2, v10 :: v_dual_mov_b32 v3, v11
	v_dual_mov_b32 v4, v8 :: v_dual_mov_b32 v5, v9
	s_and_not1_b32 vcc_lo, exec_lo, s13
	s_cbranch_vccz .LBB101_47
.LBB101_11:                             ; =>This Loop Header: Depth=1
                                        ;     Child Loop BB101_39 Depth 2
	s_sub_i32 s13, s26, s12
	s_delay_alu instid0(SALU_CYCLE_1) | instskip(NEXT) | instid1(SALU_CYCLE_1)
	s_and_b32 s13, s13, 0x1ff
	s_cmp_lg_u32 s13, 0
	s_cbranch_scc1 .LBB101_15
; %bb.12:                               ;   in Loop: Header=BB101_11 Depth=1
	s_sub_u32 s28, s14, s26
	s_subb_u32 s29, s15, s27
	v_mov_b32_e32 v6, -1
	v_dual_mov_b32 v7, -1 :: v_dual_mov_b32 v8, 0
	v_cmp_gt_i64_e32 vcc_lo, s[28:29], v[0:1]
	v_mov_b32_e32 v9, 0xbff00000
	s_and_saveexec_b32 s28, vcc_lo
	s_cbranch_execz .LBB101_14
; %bb.13:                               ;   in Loop: Header=BB101_11 Depth=1
	s_lshl_b64 s[30:31], s[26:27], 3
	s_delay_alu instid0(SALU_CYCLE_1)
	v_add_co_u32 v6, vcc_lo, v16, s30
	v_add_co_ci_u32_e32 v7, vcc_lo, s31, v17, vcc_lo
	v_add_co_u32 v8, vcc_lo, v18, s30
	v_add_co_ci_u32_e32 v9, vcc_lo, s31, v19, vcc_lo
	global_load_b64 v[6:7], v[6:7], off
	global_load_b64 v[8:9], v[8:9], off
	s_waitcnt vmcnt(1)
	v_sub_co_u32 v6, vcc_lo, v6, s4
	v_subrev_co_ci_u32_e32 v7, vcc_lo, 0, v7, vcc_lo
.LBB101_14:                             ;   in Loop: Header=BB101_11 Depth=1
	s_or_b32 exec_lo, exec_lo, s28
	ds_store_b64 v14, v[6:7]
	s_waitcnt vmcnt(0)
	ds_store_b64 v15, v[8:9]
.LBB101_15:                             ;   in Loop: Header=BB101_11 Depth=1
	s_lshl_b32 s13, s13, 3
	s_waitcnt lgkmcnt(0)
	v_mov_b32_e32 v6, s13
	s_waitcnt_vscnt null, 0x0
	s_barrier
	buffer_gl0_inv
	ds_load_2addr_stride64_b64 v[6:9], v6 offset1:8
	s_waitcnt lgkmcnt(0)
	v_cmp_neq_f64_e32 vcc_lo, 0, v[8:9]
	v_readfirstlane_b32 s28, v6
	v_readfirstlane_b32 s29, v7
	s_delay_alu instid0(VALU_DEP_1) | instskip(SKIP_1) | instid1(SALU_CYCLE_1)
	s_cmp_lg_u64 s[28:29], s[20:21]
	s_cselect_b32 s13, -1, 0
	s_or_b32 s13, s34, s13
	s_delay_alu instid0(SALU_CYCLE_1) | instskip(SKIP_3) | instid1(SALU_CYCLE_1)
	s_or_b32 vcc_lo, vcc_lo, s13
	v_cndmask_b32_e32 v7, 0x3ff00000, v9, vcc_lo
	v_cndmask_b32_e32 v6, 0, v8, vcc_lo
	s_or_b32 s13, s0, vcc_lo
	s_xor_b32 s30, s13, -1
	s_delay_alu instid0(SALU_CYCLE_1)
	s_and_saveexec_b32 s13, s30
	s_cbranch_execz .LBB101_19
; %bb.16:                               ;   in Loop: Header=BB101_11 Depth=1
	v_mbcnt_lo_u32_b32 v6, exec_lo, 0
	s_mov_b32 s30, exec_lo
	s_delay_alu instid0(VALU_DEP_1)
	v_cmpx_eq_u32_e32 0, v6
	s_cbranch_execz .LBB101_18
; %bb.17:                               ;   in Loop: Header=BB101_11 Depth=1
	v_dual_mov_b32 v6, s24 :: v_dual_mov_b32 v7, s25
	global_atomic_min_u64 v20, v[6:7], s[22:23]
.LBB101_18:                             ;   in Loop: Header=BB101_11 Depth=1
	s_or_b32 exec_lo, exec_lo, s30
	v_mov_b32_e32 v6, 0
	v_mov_b32_e32 v7, 0x3ff00000
.LBB101_19:                             ;   in Loop: Header=BB101_11 Depth=1
	s_or_b32 exec_lo, exec_lo, s13
	s_cmp_lt_i32 s5, 1
	s_mov_b32 s13, 0
	s_cbranch_scc1 .LBB101_24
; %bb.20:                               ;   in Loop: Header=BB101_11 Depth=1
	s_cmp_eq_u32 s5, 1
	s_cbranch_scc0 .LBB101_25
; %bb.21:                               ;   in Loop: Header=BB101_11 Depth=1
	v_cmp_ge_i64_e64 s30, s[28:29], s[20:21]
	v_dual_mov_b32 v9, v5 :: v_dual_mov_b32 v8, v4
	s_delay_alu instid0(VALU_DEP_2)
	s_and_b32 vcc_lo, exec_lo, s30
	s_mov_b32 s30, 0
	s_cbranch_vccz .LBB101_27
; %bb.22:                               ;   in Loop: Header=BB101_11 Depth=1
	s_cmp_eq_u64 s[28:29], s[20:21]
	s_cbranch_scc0 .LBB101_26
; %bb.23:                               ;   in Loop: Header=BB101_11 Depth=1
	v_div_scale_f64 v[8:9], null, v[6:7], v[6:7], 1.0
	v_div_scale_f64 v[23:24], vcc_lo, 1.0, v[6:7], 1.0
	s_delay_alu instid0(VALU_DEP_2) | instskip(SKIP_2) | instid1(VALU_DEP_1)
	v_rcp_f64_e32 v[10:11], v[8:9]
	s_waitcnt_depctr 0xfff
	v_fma_f64 v[21:22], -v[8:9], v[10:11], 1.0
	v_fma_f64 v[10:11], v[10:11], v[21:22], v[10:11]
	s_delay_alu instid0(VALU_DEP_1) | instskip(NEXT) | instid1(VALU_DEP_1)
	v_fma_f64 v[21:22], -v[8:9], v[10:11], 1.0
	v_fma_f64 v[10:11], v[10:11], v[21:22], v[10:11]
	s_delay_alu instid0(VALU_DEP_1) | instskip(NEXT) | instid1(VALU_DEP_1)
	v_mul_f64 v[21:22], v[23:24], v[10:11]
	v_fma_f64 v[8:9], -v[8:9], v[21:22], v[23:24]
	s_delay_alu instid0(VALU_DEP_1) | instskip(NEXT) | instid1(VALU_DEP_1)
	v_div_fmas_f64 v[8:9], v[8:9], v[10:11], v[21:22]
	v_div_fixup_f64 v[8:9], v[8:9], v[6:7], 1.0
	s_delay_alu instid0(VALU_DEP_1) | instskip(NEXT) | instid1(VALU_DEP_2)
	v_cndmask_b32_e64 v9, v5, v9, s1
	v_cndmask_b32_e64 v8, v4, v8, s1
	s_branch .LBB101_27
.LBB101_24:                             ;   in Loop: Header=BB101_11 Depth=1
	s_mov_b32 s30, 0
                                        ; implicit-def: $vgpr10_vgpr11
                                        ; implicit-def: $vgpr8_vgpr9
                                        ; implicit-def: $sgpr31
	s_cbranch_execnz .LBB101_28
	s_branch .LBB101_30
.LBB101_25:                             ;   in Loop: Header=BB101_11 Depth=1
	s_mov_b32 s30, -1
                                        ; implicit-def: $vgpr10_vgpr11
                                        ; implicit-def: $vgpr8_vgpr9
                                        ; implicit-def: $sgpr31
	s_branch .LBB101_30
.LBB101_26:                             ;   in Loop: Header=BB101_11 Depth=1
	s_mov_b32 s30, -1
                                        ; implicit-def: $vgpr8_vgpr9
.LBB101_27:                             ;   in Loop: Header=BB101_11 Depth=1
	v_dual_mov_b32 v11, v3 :: v_dual_mov_b32 v10, v2
	s_mov_b32 s31, 4
	s_branch .LBB101_30
.LBB101_28:                             ;   in Loop: Header=BB101_11 Depth=1
	s_cmp_eq_u32 s5, 0
	s_cbranch_scc1 .LBB101_34
; %bb.29:                               ;   in Loop: Header=BB101_11 Depth=1
	s_mov_b32 s30, -1
                                        ; implicit-def: $vgpr10_vgpr11
                                        ; implicit-def: $vgpr8_vgpr9
                                        ; implicit-def: $sgpr31
.LBB101_30:                             ;   in Loop: Header=BB101_11 Depth=1
	s_delay_alu instid0(SALU_CYCLE_1)
	s_and_b32 vcc_lo, exec_lo, s30
	s_cbranch_vccnz .LBB101_37
.LBB101_31:                             ;   in Loop: Header=BB101_11 Depth=1
	s_and_b32 vcc_lo, exec_lo, s13
	s_cbranch_vccnz .LBB101_43
.LBB101_32:                             ;   in Loop: Header=BB101_11 Depth=1
	s_cmp_gt_i32 s31, 3
	s_mov_b32 s13, -1
	s_cbranch_scc1 .LBB101_44
.LBB101_33:                             ;   in Loop: Header=BB101_11 Depth=1
	s_cmp_eq_u32 s31, 0
	s_cselect_b32 s28, -1, 0
	s_delay_alu instid0(SALU_CYCLE_1)
	s_and_not1_b32 vcc_lo, exec_lo, s28
	s_cbranch_vccz .LBB101_9
	s_branch .LBB101_45
.LBB101_34:                             ;   in Loop: Header=BB101_11 Depth=1
	v_cmp_le_i64_e64 s30, s[28:29], s[20:21]
	s_delay_alu instid0(VALU_DEP_1)
	s_and_b32 vcc_lo, exec_lo, s30
	s_mov_b32 s30, 0
	s_cbranch_vccz .LBB101_36
; %bb.35:                               ;   in Loop: Header=BB101_11 Depth=1
	s_cmp_lg_u64 s[28:29], s[20:21]
	s_mov_b32 s13, -1
	s_cselect_b32 s30, -1, 0
.LBB101_36:                             ;   in Loop: Header=BB101_11 Depth=1
	v_dual_mov_b32 v11, v3 :: v_dual_mov_b32 v10, v2
	v_dual_mov_b32 v9, v5 :: v_dual_mov_b32 v8, v4
	s_mov_b32 s31, 2
	s_and_b32 vcc_lo, exec_lo, s30
	s_cbranch_vccz .LBB101_31
.LBB101_37:                             ;   in Loop: Header=BB101_11 Depth=1
	s_and_saveexec_b32 s13, s3
	s_cbranch_execz .LBB101_40
; %bb.38:                               ;   in Loop: Header=BB101_11 Depth=1
	s_lshl_b64 s[30:31], s[28:29], 2
	s_delay_alu instid0(SALU_CYCLE_1)
	s_add_u32 s30, s7, s30
	s_addc_u32 s31, s33, s31
	global_load_b32 v8, v20, s[30:31] glc
	s_waitcnt vmcnt(0)
	v_cmp_ne_u32_e32 vcc_lo, 0, v8
	s_cbranch_vccnz .LBB101_40
.LBB101_39:                             ;   Parent Loop BB101_11 Depth=1
                                        ; =>  This Inner Loop Header: Depth=2
	global_load_b32 v8, v20, s[30:31] glc
	s_waitcnt vmcnt(0)
	v_cmp_eq_u32_e32 vcc_lo, 0, v8
	s_cbranch_vccnz .LBB101_39
.LBB101_40:                             ;   in Loop: Header=BB101_11 Depth=1
	s_or_b32 exec_lo, exec_lo, s13
	v_mov_b32_e32 v10, 0
	v_mov_b32_e32 v11, 0
	s_waitcnt_vscnt null, 0x0
	s_barrier
	buffer_gl0_inv
	buffer_gl1_inv
	buffer_gl0_inv
	s_and_saveexec_b32 s13, s2
	s_cbranch_execz .LBB101_42
; %bb.41:                               ;   in Loop: Header=BB101_11 Depth=1
	s_mul_i32 s30, s28, s9
	s_mul_hi_u32 s31, s28, s8
	s_mul_i32 s29, s29, s8
	s_add_i32 s30, s31, s30
	s_mul_i32 s28, s28, s8
	s_add_i32 s29, s30, s29
	s_delay_alu instid0(SALU_CYCLE_1) | instskip(NEXT) | instid1(SALU_CYCLE_1)
	s_lshl_b64 s[28:29], s[28:29], 3
	v_add_co_u32 v8, vcc_lo, v12, s28
	v_add_co_ci_u32_e32 v9, vcc_lo, s29, v13, vcc_lo
	global_load_b64 v[8:9], v[8:9], off
	s_waitcnt vmcnt(0)
	v_fma_f64 v[10:11], -v[6:7], v[8:9], v[2:3]
.LBB101_42:                             ;   in Loop: Header=BB101_11 Depth=1
	s_or_b32 exec_lo, exec_lo, s13
	v_dual_mov_b32 v9, v5 :: v_dual_mov_b32 v8, v4
	s_mov_b32 s31, 0
	s_branch .LBB101_32
.LBB101_43:                             ;   in Loop: Header=BB101_11 Depth=1
	v_div_scale_f64 v[8:9], null, v[6:7], v[6:7], 1.0
	v_div_scale_f64 v[23:24], vcc_lo, 1.0, v[6:7], 1.0
	s_mov_b32 s31, 2
	s_delay_alu instid0(VALU_DEP_2) | instskip(SKIP_2) | instid1(VALU_DEP_1)
	v_rcp_f64_e32 v[10:11], v[8:9]
	s_waitcnt_depctr 0xfff
	v_fma_f64 v[21:22], -v[8:9], v[10:11], 1.0
	v_fma_f64 v[10:11], v[10:11], v[21:22], v[10:11]
	s_delay_alu instid0(VALU_DEP_1) | instskip(NEXT) | instid1(VALU_DEP_1)
	v_fma_f64 v[21:22], -v[8:9], v[10:11], 1.0
	v_fma_f64 v[10:11], v[10:11], v[21:22], v[10:11]
	s_delay_alu instid0(VALU_DEP_1) | instskip(NEXT) | instid1(VALU_DEP_1)
	v_mul_f64 v[21:22], v[23:24], v[10:11]
	v_fma_f64 v[8:9], -v[8:9], v[21:22], v[23:24]
	s_delay_alu instid0(VALU_DEP_1) | instskip(SKIP_1) | instid1(VALU_DEP_2)
	v_div_fmas_f64 v[8:9], v[8:9], v[10:11], v[21:22]
	v_dual_mov_b32 v11, v3 :: v_dual_mov_b32 v10, v2
	v_div_fixup_f64 v[6:7], v[8:9], v[6:7], 1.0
	s_delay_alu instid0(VALU_DEP_1) | instskip(NEXT) | instid1(VALU_DEP_2)
	v_cndmask_b32_e64 v9, v5, v7, s1
	v_cndmask_b32_e64 v8, v4, v6, s1
	s_cmp_gt_i32 s31, 3
	s_mov_b32 s13, -1
	s_cbranch_scc0 .LBB101_33
.LBB101_44:                             ;   in Loop: Header=BB101_11 Depth=1
	s_branch .LBB101_9
.LBB101_45:                             ;   in Loop: Header=BB101_11 Depth=1
                                        ; implicit-def: $sgpr26_sgpr27
	s_branch .LBB101_10
.LBB101_46:
	v_dual_mov_b32 v11, v3 :: v_dual_mov_b32 v10, v2
.LBB101_47:
	s_and_saveexec_b32 s0, s2
	s_cbranch_execz .LBB101_49
; %bb.48:
	s_delay_alu instid0(VALU_DEP_1) | instskip(SKIP_3) | instid1(VALU_DEP_1)
	v_mul_f64 v[1:2], v[8:9], v[10:11]
	s_cmp_eq_u32 s6, 0
	s_cselect_b32 vcc_lo, -1, 0
	s_lshl_b64 s[2:3], s[18:19], 3
	v_dual_cndmask_b32 v2, v11, v2 :: v_dual_cndmask_b32 v1, v10, v1
	v_add_co_u32 v3, vcc_lo, v12, s2
	v_add_co_ci_u32_e32 v4, vcc_lo, s3, v13, vcc_lo
	global_store_b64 v[3:4], v[1:2], off
.LBB101_49:
	s_or_b32 exec_lo, exec_lo, s0
	s_waitcnt_vscnt null, 0x0
	buffer_gl1_inv
	buffer_gl0_inv
	s_barrier
	buffer_gl0_inv
	s_mov_b32 s0, exec_lo
	v_cmpx_eq_u32_e32 0, v0
	s_cbranch_execz .LBB101_51
; %bb.50:
	s_lshl_b64 s[0:1], s[20:21], 2
	v_dual_mov_b32 v0, 0 :: v_dual_mov_b32 v1, 1
	s_add_u32 s2, s10, s0
	s_addc_u32 s3, s11, s1
	s_lshl_b64 s[0:1], s[16:17], 2
	s_delay_alu instid0(SALU_CYCLE_1)
	s_add_u32 s0, s2, s0
	s_addc_u32 s1, s3, s1
	global_store_b32 v0, v1, s[0:1]
.LBB101_51:
	s_nop 0
	s_sendmsg sendmsg(MSG_DEALLOC_VGPRS)
	s_endpgm
.LBB101_52:
                                        ; implicit-def: $sgpr24_sgpr25
	s_load_b64 s[22:23], s[0:1], 0x38
	s_branch .LBB101_4
	.section	.rodata,"a",@progbits
	.p2align	6, 0x0
	.amdhsa_kernel _ZN9rocsparseL5csrsmILj512ELj64ELb0ElldEEv20rocsparse_operation_T3_S2_NS_24const_host_device_scalarIT4_EEPKT2_PKS2_PKS4_PS4_lPiSA_PS2_21rocsparse_index_base_20rocsparse_fill_mode_20rocsparse_diag_type_b
		.amdhsa_group_segment_fixed_size 8192
		.amdhsa_private_segment_fixed_size 0
		.amdhsa_kernarg_size 112
		.amdhsa_user_sgpr_count 15
		.amdhsa_user_sgpr_dispatch_ptr 0
		.amdhsa_user_sgpr_queue_ptr 0
		.amdhsa_user_sgpr_kernarg_segment_ptr 1
		.amdhsa_user_sgpr_dispatch_id 0
		.amdhsa_user_sgpr_private_segment_size 0
		.amdhsa_wavefront_size32 1
		.amdhsa_uses_dynamic_stack 0
		.amdhsa_enable_private_segment 0
		.amdhsa_system_sgpr_workgroup_id_x 1
		.amdhsa_system_sgpr_workgroup_id_y 0
		.amdhsa_system_sgpr_workgroup_id_z 0
		.amdhsa_system_sgpr_workgroup_info 0
		.amdhsa_system_vgpr_workitem_id 0
		.amdhsa_next_free_vgpr 25
		.amdhsa_next_free_sgpr 35
		.amdhsa_reserve_vcc 1
		.amdhsa_float_round_mode_32 0
		.amdhsa_float_round_mode_16_64 0
		.amdhsa_float_denorm_mode_32 3
		.amdhsa_float_denorm_mode_16_64 3
		.amdhsa_dx10_clamp 1
		.amdhsa_ieee_mode 1
		.amdhsa_fp16_overflow 0
		.amdhsa_workgroup_processor_mode 1
		.amdhsa_memory_ordered 1
		.amdhsa_forward_progress 0
		.amdhsa_shared_vgpr_count 0
		.amdhsa_exception_fp_ieee_invalid_op 0
		.amdhsa_exception_fp_denorm_src 0
		.amdhsa_exception_fp_ieee_div_zero 0
		.amdhsa_exception_fp_ieee_overflow 0
		.amdhsa_exception_fp_ieee_underflow 0
		.amdhsa_exception_fp_ieee_inexact 0
		.amdhsa_exception_int_div_zero 0
	.end_amdhsa_kernel
	.section	.text._ZN9rocsparseL5csrsmILj512ELj64ELb0ElldEEv20rocsparse_operation_T3_S2_NS_24const_host_device_scalarIT4_EEPKT2_PKS2_PKS4_PS4_lPiSA_PS2_21rocsparse_index_base_20rocsparse_fill_mode_20rocsparse_diag_type_b,"axG",@progbits,_ZN9rocsparseL5csrsmILj512ELj64ELb0ElldEEv20rocsparse_operation_T3_S2_NS_24const_host_device_scalarIT4_EEPKT2_PKS2_PKS4_PS4_lPiSA_PS2_21rocsparse_index_base_20rocsparse_fill_mode_20rocsparse_diag_type_b,comdat
.Lfunc_end101:
	.size	_ZN9rocsparseL5csrsmILj512ELj64ELb0ElldEEv20rocsparse_operation_T3_S2_NS_24const_host_device_scalarIT4_EEPKT2_PKS2_PKS4_PS4_lPiSA_PS2_21rocsparse_index_base_20rocsparse_fill_mode_20rocsparse_diag_type_b, .Lfunc_end101-_ZN9rocsparseL5csrsmILj512ELj64ELb0ElldEEv20rocsparse_operation_T3_S2_NS_24const_host_device_scalarIT4_EEPKT2_PKS2_PKS4_PS4_lPiSA_PS2_21rocsparse_index_base_20rocsparse_fill_mode_20rocsparse_diag_type_b
                                        ; -- End function
	.section	.AMDGPU.csdata,"",@progbits
; Kernel info:
; codeLenInByte = 2540
; NumSgprs: 37
; NumVgprs: 25
; ScratchSize: 0
; MemoryBound: 0
; FloatMode: 240
; IeeeMode: 1
; LDSByteSize: 8192 bytes/workgroup (compile time only)
; SGPRBlocks: 4
; VGPRBlocks: 3
; NumSGPRsForWavesPerEU: 37
; NumVGPRsForWavesPerEU: 25
; Occupancy: 16
; WaveLimiterHint : 1
; COMPUTE_PGM_RSRC2:SCRATCH_EN: 0
; COMPUTE_PGM_RSRC2:USER_SGPR: 15
; COMPUTE_PGM_RSRC2:TRAP_HANDLER: 0
; COMPUTE_PGM_RSRC2:TGID_X_EN: 1
; COMPUTE_PGM_RSRC2:TGID_Y_EN: 0
; COMPUTE_PGM_RSRC2:TGID_Z_EN: 0
; COMPUTE_PGM_RSRC2:TIDIG_COMP_CNT: 0
	.section	.text._ZN9rocsparseL5csrsmILj1024ELj64ELb1ElldEEv20rocsparse_operation_T3_S2_NS_24const_host_device_scalarIT4_EEPKT2_PKS2_PKS4_PS4_lPiSA_PS2_21rocsparse_index_base_20rocsparse_fill_mode_20rocsparse_diag_type_b,"axG",@progbits,_ZN9rocsparseL5csrsmILj1024ELj64ELb1ElldEEv20rocsparse_operation_T3_S2_NS_24const_host_device_scalarIT4_EEPKT2_PKS2_PKS4_PS4_lPiSA_PS2_21rocsparse_index_base_20rocsparse_fill_mode_20rocsparse_diag_type_b,comdat
	.globl	_ZN9rocsparseL5csrsmILj1024ELj64ELb1ElldEEv20rocsparse_operation_T3_S2_NS_24const_host_device_scalarIT4_EEPKT2_PKS2_PKS4_PS4_lPiSA_PS2_21rocsparse_index_base_20rocsparse_fill_mode_20rocsparse_diag_type_b ; -- Begin function _ZN9rocsparseL5csrsmILj1024ELj64ELb1ElldEEv20rocsparse_operation_T3_S2_NS_24const_host_device_scalarIT4_EEPKT2_PKS2_PKS4_PS4_lPiSA_PS2_21rocsparse_index_base_20rocsparse_fill_mode_20rocsparse_diag_type_b
	.p2align	8
	.type	_ZN9rocsparseL5csrsmILj1024ELj64ELb1ElldEEv20rocsparse_operation_T3_S2_NS_24const_host_device_scalarIT4_EEPKT2_PKS2_PKS4_PS4_lPiSA_PS2_21rocsparse_index_base_20rocsparse_fill_mode_20rocsparse_diag_type_b,@function
_ZN9rocsparseL5csrsmILj1024ELj64ELb1ElldEEv20rocsparse_operation_T3_S2_NS_24const_host_device_scalarIT4_EEPKT2_PKS2_PKS4_PS4_lPiSA_PS2_21rocsparse_index_base_20rocsparse_fill_mode_20rocsparse_diag_type_b: ; @_ZN9rocsparseL5csrsmILj1024ELj64ELb1ElldEEv20rocsparse_operation_T3_S2_NS_24const_host_device_scalarIT4_EEPKT2_PKS2_PKS4_PS4_lPiSA_PS2_21rocsparse_index_base_20rocsparse_fill_mode_20rocsparse_diag_type_b
; %bb.0:
	s_clause 0x2
	s_load_b128 s[4:7], s[0:1], 0x60
	s_load_b64 s[2:3], s[0:1], 0x18
	s_load_b128 s[16:19], s[0:1], 0x8
	s_waitcnt lgkmcnt(0)
	s_bitcmp1_b32 s7, 0
	v_dual_mov_b32 v5, s3 :: v_dual_mov_b32 v4, s2
	s_cselect_b32 s7, -1, 0
	s_delay_alu instid0(SALU_CYCLE_1)
	s_and_b32 vcc_lo, exec_lo, s7
	s_cbranch_vccnz .LBB102_2
; %bb.1:
	v_dual_mov_b32 v1, s2 :: v_dual_mov_b32 v2, s3
	flat_load_b64 v[4:5], v[1:2]
.LBB102_2:
	s_clause 0x1
	s_load_b64 s[8:9], s[0:1], 0x50
	s_load_b64 s[2:3], s[0:1], 0x20
	s_mov_b32 s10, 0
	s_mov_b32 s11, s17
	s_delay_alu instid0(SALU_CYCLE_1)
	s_cmp_lg_u64 s[10:11], 0
	s_cbranch_scc0 .LBB102_55
; %bb.3:
	s_ashr_i32 s12, s17, 31
	s_delay_alu instid0(SALU_CYCLE_1) | instskip(SKIP_2) | instid1(SALU_CYCLE_1)
	s_add_u32 s20, s16, s12
	s_mov_b32 s13, s12
	s_addc_u32 s21, s17, s12
	s_xor_b64 s[20:21], s[20:21], s[12:13]
	s_delay_alu instid0(SALU_CYCLE_1) | instskip(SKIP_3) | instid1(VALU_DEP_1)
	v_cvt_f32_u32_e32 v1, s20
	v_cvt_f32_u32_e32 v2, s21
	s_sub_u32 s14, 0, s20
	s_subb_u32 s22, 0, s21
	v_fmamk_f32 v1, v2, 0x4f800000, v1
	s_delay_alu instid0(VALU_DEP_1) | instskip(SKIP_2) | instid1(VALU_DEP_1)
	v_rcp_f32_e32 v1, v1
	s_waitcnt_depctr 0xfff
	v_mul_f32_e32 v1, 0x5f7ffffc, v1
	v_mul_f32_e32 v2, 0x2f800000, v1
	s_delay_alu instid0(VALU_DEP_1) | instskip(NEXT) | instid1(VALU_DEP_1)
	v_trunc_f32_e32 v2, v2
	v_fmamk_f32 v1, v2, 0xcf800000, v1
	v_cvt_u32_f32_e32 v2, v2
	s_delay_alu instid0(VALU_DEP_2) | instskip(NEXT) | instid1(VALU_DEP_2)
	v_cvt_u32_f32_e32 v1, v1
	v_readfirstlane_b32 s7, v2
	s_delay_alu instid0(VALU_DEP_2) | instskip(NEXT) | instid1(VALU_DEP_2)
	v_readfirstlane_b32 s11, v1
	s_mul_i32 s23, s14, s7
	s_delay_alu instid0(VALU_DEP_1)
	s_mul_hi_u32 s25, s14, s11
	s_mul_i32 s24, s22, s11
	s_add_i32 s23, s25, s23
	s_mul_i32 s26, s14, s11
	s_add_i32 s23, s23, s24
	s_mul_hi_u32 s25, s11, s26
	s_mul_hi_u32 s27, s7, s26
	s_mul_i32 s24, s7, s26
	s_mul_hi_u32 s26, s11, s23
	s_mul_i32 s11, s11, s23
	s_mul_hi_u32 s28, s7, s23
	s_add_u32 s11, s25, s11
	s_addc_u32 s25, 0, s26
	s_add_u32 s11, s11, s24
	s_mul_i32 s23, s7, s23
	s_addc_u32 s11, s25, s27
	s_addc_u32 s24, s28, 0
	s_add_u32 s11, s11, s23
	s_addc_u32 s23, 0, s24
	v_add_co_u32 v1, s11, v1, s11
	s_delay_alu instid0(VALU_DEP_1) | instskip(SKIP_1) | instid1(VALU_DEP_1)
	s_cmp_lg_u32 s11, 0
	s_addc_u32 s7, s7, s23
	v_readfirstlane_b32 s11, v1
	s_mul_i32 s23, s14, s7
	s_delay_alu instid0(VALU_DEP_1)
	s_mul_hi_u32 s24, s14, s11
	s_mul_i32 s22, s22, s11
	s_add_i32 s23, s24, s23
	s_mul_i32 s14, s14, s11
	s_add_i32 s23, s23, s22
	s_mul_hi_u32 s24, s7, s14
	s_mul_i32 s25, s7, s14
	s_mul_hi_u32 s14, s11, s14
	s_mul_hi_u32 s26, s11, s23
	s_mul_i32 s11, s11, s23
	s_mul_hi_u32 s22, s7, s23
	s_add_u32 s11, s14, s11
	s_addc_u32 s14, 0, s26
	s_add_u32 s11, s11, s25
	s_mul_i32 s23, s7, s23
	s_addc_u32 s11, s14, s24
	s_addc_u32 s14, s22, 0
	s_add_u32 s11, s11, s23
	s_addc_u32 s14, 0, s14
	v_add_co_u32 v1, s11, v1, s11
	s_delay_alu instid0(VALU_DEP_1) | instskip(SKIP_1) | instid1(VALU_DEP_1)
	s_cmp_lg_u32 s11, 0
	s_addc_u32 s7, s7, s14
	v_readfirstlane_b32 s11, v1
	s_mul_i32 s14, s15, s7
	s_mul_hi_u32 s7, s15, s7
	s_delay_alu instid0(VALU_DEP_1) | instskip(NEXT) | instid1(SALU_CYCLE_1)
	s_mul_hi_u32 s11, s15, s11
	s_add_u32 s11, s11, s14
	s_addc_u32 s7, 0, s7
	s_add_u32 s11, s11, 0
	s_addc_u32 s7, s7, 0
	s_addc_u32 s11, 0, 0
	s_add_u32 s7, s7, 0
	s_addc_u32 s11, 0, s11
	s_mul_hi_u32 s14, s20, s7
	s_mul_i32 s23, s20, s11
	s_mul_i32 s24, s20, s7
	s_add_i32 s14, s14, s23
	v_sub_co_u32 v1, s23, s15, s24
	s_mul_i32 s22, s21, s7
	s_delay_alu instid0(SALU_CYCLE_1) | instskip(NEXT) | instid1(VALU_DEP_1)
	s_add_i32 s14, s14, s22
	v_sub_co_u32 v2, s24, v1, s20
	s_sub_i32 s22, 0, s14
	s_cmp_lg_u32 s23, 0
	s_subb_u32 s22, s22, s21
	s_cmp_lg_u32 s24, 0
	v_readfirstlane_b32 s24, v2
	s_subb_u32 s22, s22, 0
	s_delay_alu instid0(SALU_CYCLE_1) | instskip(SKIP_1) | instid1(VALU_DEP_1)
	s_cmp_ge_u32 s22, s21
	s_cselect_b32 s25, -1, 0
	s_cmp_ge_u32 s24, s20
	s_cselect_b32 s24, -1, 0
	s_cmp_eq_u32 s22, s21
	s_cselect_b32 s22, s24, s25
	s_add_u32 s24, s7, 1
	s_addc_u32 s25, s11, 0
	s_add_u32 s26, s7, 2
	s_addc_u32 s27, s11, 0
	s_cmp_lg_u32 s22, 0
	s_cselect_b32 s22, s26, s24
	s_cselect_b32 s24, s27, s25
	s_cmp_lg_u32 s23, 0
	v_readfirstlane_b32 s23, v1
	s_subb_u32 s14, 0, s14
	s_delay_alu instid0(SALU_CYCLE_1) | instskip(SKIP_1) | instid1(VALU_DEP_1)
	s_cmp_ge_u32 s14, s21
	s_cselect_b32 s25, -1, 0
	s_cmp_ge_u32 s23, s20
	s_cselect_b32 s20, -1, 0
	s_cmp_eq_u32 s14, s21
	s_cselect_b32 s14, s20, s25
	s_delay_alu instid0(SALU_CYCLE_1) | instskip(SKIP_2) | instid1(SALU_CYCLE_1)
	s_cmp_lg_u32 s14, 0
	s_cselect_b32 s21, s24, s11
	s_cselect_b32 s20, s22, s7
	s_xor_b64 s[20:21], s[20:21], s[12:13]
	s_delay_alu instid0(SALU_CYCLE_1)
	s_sub_u32 s24, s20, s12
	s_subb_u32 s25, s21, s12
	s_load_b64 s[22:23], s[0:1], 0x38
	s_and_not1_b32 vcc_lo, exec_lo, s10
	s_cbranch_vccnz .LBB102_5
.LBB102_4:
	v_cvt_f32_u32_e32 v1, s16
	s_sub_i32 s10, 0, s16
	s_mov_b32 s25, 0
	s_delay_alu instid0(VALU_DEP_1) | instskip(SKIP_2) | instid1(VALU_DEP_1)
	v_rcp_iflag_f32_e32 v1, v1
	s_waitcnt_depctr 0xfff
	v_mul_f32_e32 v1, 0x4f7ffffe, v1
	v_cvt_u32_f32_e32 v1, v1
	s_delay_alu instid0(VALU_DEP_1) | instskip(NEXT) | instid1(VALU_DEP_1)
	v_readfirstlane_b32 s7, v1
	s_mul_i32 s10, s10, s7
	s_delay_alu instid0(SALU_CYCLE_1) | instskip(NEXT) | instid1(SALU_CYCLE_1)
	s_mul_hi_u32 s10, s7, s10
	s_add_i32 s7, s7, s10
	s_delay_alu instid0(SALU_CYCLE_1) | instskip(NEXT) | instid1(SALU_CYCLE_1)
	s_mul_hi_u32 s7, s15, s7
	s_mul_i32 s10, s7, s16
	s_add_i32 s11, s7, 1
	s_sub_i32 s10, s15, s10
	s_delay_alu instid0(SALU_CYCLE_1)
	s_sub_i32 s12, s10, s16
	s_cmp_ge_u32 s10, s16
	s_cselect_b32 s7, s11, s7
	s_cselect_b32 s10, s12, s10
	s_add_i32 s11, s7, 1
	s_cmp_ge_u32 s10, s16
	s_cselect_b32 s24, s11, s7
.LBB102_5:
	s_delay_alu instid0(SALU_CYCLE_1)
	s_mul_i32 s7, s24, s17
	s_mul_hi_u32 s10, s24, s16
	v_mov_b32_e32 v1, 0
	s_add_i32 s7, s10, s7
	s_mul_i32 s10, s25, s16
	s_mul_i32 s16, s24, s16
	s_add_i32 s17, s7, s10
	s_sub_u32 s10, s15, s16
	s_subb_u32 s11, 0, s17
	v_mov_b32_e32 v2, 0
	s_lshl_b64 s[10:11], s[10:11], 3
	v_mov_b32_e32 v3, 0
	s_waitcnt lgkmcnt(0)
	s_add_u32 s8, s8, s10
	s_addc_u32 s9, s9, s11
	s_load_b64 s[20:21], s[8:9], 0x0
	s_load_b128 s[8:11], s[0:1], 0x40
	s_waitcnt lgkmcnt(0)
	s_lshl_b64 s[12:13], s[20:21], 3
	s_mul_i32 s7, s21, s8
	s_add_u32 s2, s2, s12
	s_addc_u32 s3, s3, s13
	s_load_b128 s[12:15], s[2:3], 0x0
	s_lshl_b64 s[2:3], s[24:25], 10
	s_delay_alu instid0(SALU_CYCLE_1) | instskip(SKIP_3) | instid1(SALU_CYCLE_1)
	v_or_b32_e32 v6, s2, v0
	v_mov_b32_e32 v7, s3
	s_mul_i32 s2, s20, s9
	s_mul_hi_u32 s3, s20, s8
	s_add_i32 s3, s3, s2
	s_delay_alu instid0(VALU_DEP_1) | instskip(SKIP_2) | instid1(VALU_DEP_1)
	v_cmp_gt_i64_e64 s2, s[18:19], v[6:7]
	s_add_i32 s19, s3, s7
	s_mul_i32 s18, s20, s8
	s_and_saveexec_b32 s3, s2
	s_cbranch_execz .LBB102_7
; %bb.6:
	v_add_co_u32 v2, vcc_lo, v6, s18
	v_add_co_ci_u32_e32 v3, vcc_lo, s19, v7, vcc_lo
	s_delay_alu instid0(VALU_DEP_1) | instskip(NEXT) | instid1(VALU_DEP_1)
	v_lshlrev_b64 v[2:3], 3, v[2:3]
	v_add_co_u32 v2, vcc_lo, s22, v2
	s_delay_alu instid0(VALU_DEP_2)
	v_add_co_ci_u32_e32 v3, vcc_lo, s23, v3, vcc_lo
	global_load_b64 v[2:3], v[2:3], off
	s_waitcnt vmcnt(0)
	v_mul_f64 v[2:3], v[4:5], v[2:3]
.LBB102_7:
	s_or_b32 exec_lo, exec_lo, s3
	s_waitcnt vmcnt(0)
	v_lshlrev_b64 v[4:5], 3, v[6:7]
	s_waitcnt lgkmcnt(0)
	v_cmp_ge_i64_e64 s3, s[12:13], s[14:15]
	v_mov_b32_e32 v8, 0
	v_mov_b32_e32 v9, 0x3ff00000
	s_delay_alu instid0(VALU_DEP_4)
	v_add_co_u32 v12, vcc_lo, s22, v4
	v_add_co_ci_u32_e32 v13, vcc_lo, s23, v5, vcc_lo
	s_and_b32 vcc_lo, exec_lo, s3
	v_cmp_eq_u32_e64 s3, 0, v0
	s_cbranch_vccnz .LBB102_49
; %bb.8:
	s_clause 0x1
	s_load_b128 s[24:27], s[0:1], 0x28
	s_load_b64 s[22:23], s[0:1], 0x58
	s_lshl_b64 s[0:1], s[16:17], 2
	v_lshlrev_b32_e32 v14, 3, v0
	s_add_u32 s7, s10, s0
	s_addc_u32 s33, s11, s1
	s_sub_u32 s12, s12, s4
	s_subb_u32 s13, s13, 0
	s_sub_u32 s14, s14, s4
	v_mov_b32_e32 v4, 0
	v_mov_b32_e32 v5, 0x3ff00000
	s_subb_u32 s15, s15, 0
	s_cmp_lg_u32 s6, 0
	v_or_b32_e32 v15, 0x2000, v14
	s_cselect_b32 s34, -1, 0
	v_mov_b32_e32 v20, 0
	s_waitcnt lgkmcnt(0)
	v_add_co_u32 v16, s0, s24, v14
	s_delay_alu instid0(VALU_DEP_1)
	v_add_co_ci_u32_e64 v17, null, s25, 0, s0
	v_add_co_u32 v18, s0, s26, v14
	s_add_u32 s24, s20, s4
	v_add_co_ci_u32_e64 v19, null, s27, 0, s0
	v_cmp_ne_u32_e64 s0, 0, v0
	s_addc_u32 s25, s21, 0
	s_cmp_eq_u32 s6, 0
	s_mov_b64 s[26:27], s[12:13]
	s_cselect_b32 s1, -1, 0
	s_branch .LBB102_11
.LBB102_9:                              ;   in Loop: Header=BB102_11 Depth=1
	s_add_u32 s26, s26, 1
	s_addc_u32 s27, s27, 0
	s_delay_alu instid0(SALU_CYCLE_1)
	v_cmp_ge_i64_e64 s13, s[26:27], s[14:15]
.LBB102_10:                             ;   in Loop: Header=BB102_11 Depth=1
	s_delay_alu instid0(VALU_DEP_2) | instskip(SKIP_1) | instid1(VALU_DEP_3)
	v_dual_mov_b32 v2, v10 :: v_dual_mov_b32 v3, v11
	v_dual_mov_b32 v4, v8 :: v_dual_mov_b32 v5, v9
	s_and_not1_b32 vcc_lo, exec_lo, s13
	s_cbranch_vccz .LBB102_50
.LBB102_11:                             ; =>This Loop Header: Depth=1
                                        ;     Child Loop BB102_47 Depth 2
                                        ;       Child Loop BB102_48 Depth 3
	s_sub_i32 s13, s26, s12
	s_delay_alu instid0(SALU_CYCLE_1) | instskip(NEXT) | instid1(SALU_CYCLE_1)
	s_and_b32 s13, s13, 0x3ff
	s_cmp_lg_u32 s13, 0
	s_cbranch_scc1 .LBB102_15
; %bb.12:                               ;   in Loop: Header=BB102_11 Depth=1
	s_sub_u32 s28, s14, s26
	s_subb_u32 s29, s15, s27
	v_mov_b32_e32 v6, -1
	v_dual_mov_b32 v7, -1 :: v_dual_mov_b32 v8, 0
	v_cmp_gt_i64_e32 vcc_lo, s[28:29], v[0:1]
	v_mov_b32_e32 v9, 0xbff00000
	s_and_saveexec_b32 s28, vcc_lo
	s_cbranch_execz .LBB102_14
; %bb.13:                               ;   in Loop: Header=BB102_11 Depth=1
	s_lshl_b64 s[30:31], s[26:27], 3
	s_delay_alu instid0(SALU_CYCLE_1)
	v_add_co_u32 v6, vcc_lo, v16, s30
	v_add_co_ci_u32_e32 v7, vcc_lo, s31, v17, vcc_lo
	v_add_co_u32 v8, vcc_lo, v18, s30
	v_add_co_ci_u32_e32 v9, vcc_lo, s31, v19, vcc_lo
	global_load_b64 v[6:7], v[6:7], off
	global_load_b64 v[8:9], v[8:9], off
	s_waitcnt vmcnt(1)
	v_sub_co_u32 v6, vcc_lo, v6, s4
	v_subrev_co_ci_u32_e32 v7, vcc_lo, 0, v7, vcc_lo
.LBB102_14:                             ;   in Loop: Header=BB102_11 Depth=1
	s_or_b32 exec_lo, exec_lo, s28
	ds_store_b64 v14, v[6:7]
	s_waitcnt vmcnt(0)
	ds_store_b64 v15, v[8:9]
.LBB102_15:                             ;   in Loop: Header=BB102_11 Depth=1
	s_lshl_b32 s13, s13, 3
	s_waitcnt lgkmcnt(0)
	v_mov_b32_e32 v6, s13
	s_waitcnt_vscnt null, 0x0
	s_barrier
	buffer_gl0_inv
	ds_load_2addr_stride64_b64 v[6:9], v6 offset1:16
	s_waitcnt lgkmcnt(0)
	v_cmp_neq_f64_e32 vcc_lo, 0, v[8:9]
	v_readfirstlane_b32 s28, v6
	v_readfirstlane_b32 s29, v7
	s_delay_alu instid0(VALU_DEP_1) | instskip(SKIP_1) | instid1(SALU_CYCLE_1)
	s_cmp_lg_u64 s[28:29], s[20:21]
	s_cselect_b32 s13, -1, 0
	s_or_b32 s13, s34, s13
	s_delay_alu instid0(SALU_CYCLE_1) | instskip(SKIP_3) | instid1(SALU_CYCLE_1)
	s_or_b32 vcc_lo, vcc_lo, s13
	v_cndmask_b32_e32 v7, 0x3ff00000, v9, vcc_lo
	v_cndmask_b32_e32 v6, 0, v8, vcc_lo
	s_or_b32 s13, s0, vcc_lo
	s_xor_b32 s30, s13, -1
	s_delay_alu instid0(SALU_CYCLE_1)
	s_and_saveexec_b32 s13, s30
	s_cbranch_execz .LBB102_19
; %bb.16:                               ;   in Loop: Header=BB102_11 Depth=1
	v_mbcnt_lo_u32_b32 v6, exec_lo, 0
	s_mov_b32 s30, exec_lo
	s_delay_alu instid0(VALU_DEP_1)
	v_cmpx_eq_u32_e32 0, v6
	s_cbranch_execz .LBB102_18
; %bb.17:                               ;   in Loop: Header=BB102_11 Depth=1
	v_dual_mov_b32 v6, s24 :: v_dual_mov_b32 v7, s25
	global_atomic_min_u64 v20, v[6:7], s[22:23]
.LBB102_18:                             ;   in Loop: Header=BB102_11 Depth=1
	s_or_b32 exec_lo, exec_lo, s30
	v_mov_b32_e32 v6, 0
	v_mov_b32_e32 v7, 0x3ff00000
.LBB102_19:                             ;   in Loop: Header=BB102_11 Depth=1
	s_or_b32 exec_lo, exec_lo, s13
	s_cmp_lt_i32 s5, 1
	s_mov_b32 s13, 0
	s_cbranch_scc1 .LBB102_24
; %bb.20:                               ;   in Loop: Header=BB102_11 Depth=1
	s_cmp_eq_u32 s5, 1
	s_cbranch_scc0 .LBB102_25
; %bb.21:                               ;   in Loop: Header=BB102_11 Depth=1
	v_cmp_ge_i64_e64 s30, s[28:29], s[20:21]
	v_dual_mov_b32 v9, v5 :: v_dual_mov_b32 v8, v4
	s_delay_alu instid0(VALU_DEP_2)
	s_and_b32 vcc_lo, exec_lo, s30
	s_mov_b32 s30, 0
	s_cbranch_vccz .LBB102_27
; %bb.22:                               ;   in Loop: Header=BB102_11 Depth=1
	s_cmp_eq_u64 s[28:29], s[20:21]
	s_cbranch_scc0 .LBB102_26
; %bb.23:                               ;   in Loop: Header=BB102_11 Depth=1
	v_div_scale_f64 v[8:9], null, v[6:7], v[6:7], 1.0
	v_div_scale_f64 v[23:24], vcc_lo, 1.0, v[6:7], 1.0
	s_delay_alu instid0(VALU_DEP_2) | instskip(SKIP_2) | instid1(VALU_DEP_1)
	v_rcp_f64_e32 v[10:11], v[8:9]
	s_waitcnt_depctr 0xfff
	v_fma_f64 v[21:22], -v[8:9], v[10:11], 1.0
	v_fma_f64 v[10:11], v[10:11], v[21:22], v[10:11]
	s_delay_alu instid0(VALU_DEP_1) | instskip(NEXT) | instid1(VALU_DEP_1)
	v_fma_f64 v[21:22], -v[8:9], v[10:11], 1.0
	v_fma_f64 v[10:11], v[10:11], v[21:22], v[10:11]
	s_delay_alu instid0(VALU_DEP_1) | instskip(NEXT) | instid1(VALU_DEP_1)
	v_mul_f64 v[21:22], v[23:24], v[10:11]
	v_fma_f64 v[8:9], -v[8:9], v[21:22], v[23:24]
	s_delay_alu instid0(VALU_DEP_1) | instskip(NEXT) | instid1(VALU_DEP_1)
	v_div_fmas_f64 v[8:9], v[8:9], v[10:11], v[21:22]
	v_div_fixup_f64 v[8:9], v[8:9], v[6:7], 1.0
	s_delay_alu instid0(VALU_DEP_1) | instskip(NEXT) | instid1(VALU_DEP_2)
	v_cndmask_b32_e64 v9, v5, v9, s1
	v_cndmask_b32_e64 v8, v4, v8, s1
	s_branch .LBB102_27
.LBB102_24:                             ;   in Loop: Header=BB102_11 Depth=1
	s_mov_b32 s30, 0
                                        ; implicit-def: $vgpr10_vgpr11
                                        ; implicit-def: $vgpr8_vgpr9
                                        ; implicit-def: $sgpr31
	s_cbranch_execnz .LBB102_28
	s_branch .LBB102_30
.LBB102_25:                             ;   in Loop: Header=BB102_11 Depth=1
	s_mov_b32 s30, -1
                                        ; implicit-def: $vgpr10_vgpr11
                                        ; implicit-def: $vgpr8_vgpr9
                                        ; implicit-def: $sgpr31
	s_branch .LBB102_30
.LBB102_26:                             ;   in Loop: Header=BB102_11 Depth=1
	s_mov_b32 s30, -1
                                        ; implicit-def: $vgpr8_vgpr9
.LBB102_27:                             ;   in Loop: Header=BB102_11 Depth=1
	v_dual_mov_b32 v11, v3 :: v_dual_mov_b32 v10, v2
	s_mov_b32 s31, 4
	s_branch .LBB102_30
.LBB102_28:                             ;   in Loop: Header=BB102_11 Depth=1
	s_cmp_eq_u32 s5, 0
	s_cbranch_scc1 .LBB102_34
; %bb.29:                               ;   in Loop: Header=BB102_11 Depth=1
	s_mov_b32 s30, -1
                                        ; implicit-def: $vgpr10_vgpr11
                                        ; implicit-def: $vgpr8_vgpr9
                                        ; implicit-def: $sgpr31
.LBB102_30:                             ;   in Loop: Header=BB102_11 Depth=1
	s_delay_alu instid0(SALU_CYCLE_1)
	s_and_b32 vcc_lo, exec_lo, s30
	s_cbranch_vccnz .LBB102_37
.LBB102_31:                             ;   in Loop: Header=BB102_11 Depth=1
	s_and_b32 vcc_lo, exec_lo, s13
	s_cbranch_vccnz .LBB102_42
.LBB102_32:                             ;   in Loop: Header=BB102_11 Depth=1
	s_cmp_gt_i32 s31, 3
	s_mov_b32 s13, -1
	s_cbranch_scc1 .LBB102_43
.LBB102_33:                             ;   in Loop: Header=BB102_11 Depth=1
	s_cmp_eq_u32 s31, 0
	s_cselect_b32 s28, -1, 0
	s_delay_alu instid0(SALU_CYCLE_1)
	s_and_not1_b32 vcc_lo, exec_lo, s28
	s_cbranch_vccz .LBB102_9
	s_branch .LBB102_44
.LBB102_34:                             ;   in Loop: Header=BB102_11 Depth=1
	v_cmp_le_i64_e64 s30, s[28:29], s[20:21]
	s_delay_alu instid0(VALU_DEP_1)
	s_and_b32 vcc_lo, exec_lo, s30
	s_mov_b32 s30, 0
	s_cbranch_vccz .LBB102_36
; %bb.35:                               ;   in Loop: Header=BB102_11 Depth=1
	s_cmp_lg_u64 s[28:29], s[20:21]
	s_mov_b32 s13, -1
	s_cselect_b32 s30, -1, 0
.LBB102_36:                             ;   in Loop: Header=BB102_11 Depth=1
	v_dual_mov_b32 v11, v3 :: v_dual_mov_b32 v10, v2
	v_dual_mov_b32 v9, v5 :: v_dual_mov_b32 v8, v4
	s_mov_b32 s31, 2
	s_and_b32 vcc_lo, exec_lo, s30
	s_cbranch_vccz .LBB102_31
.LBB102_37:                             ;   in Loop: Header=BB102_11 Depth=1
	s_and_saveexec_b32 s13, s3
	s_cbranch_execz .LBB102_39
; %bb.38:                               ;   in Loop: Header=BB102_11 Depth=1
	s_lshl_b64 s[30:31], s[28:29], 2
	s_delay_alu instid0(SALU_CYCLE_1)
	s_add_u32 s30, s7, s30
	s_addc_u32 s31, s33, s31
	global_load_b32 v8, v20, s[30:31] glc
	s_waitcnt vmcnt(0)
	v_cmp_ne_u32_e32 vcc_lo, 0, v8
	s_cbranch_vccz .LBB102_45
.LBB102_39:                             ;   in Loop: Header=BB102_11 Depth=1
	s_or_b32 exec_lo, exec_lo, s13
	v_mov_b32_e32 v10, 0
	v_mov_b32_e32 v11, 0
	s_waitcnt_vscnt null, 0x0
	s_barrier
	buffer_gl0_inv
	buffer_gl1_inv
	buffer_gl0_inv
	s_and_saveexec_b32 s13, s2
	s_cbranch_execz .LBB102_41
; %bb.40:                               ;   in Loop: Header=BB102_11 Depth=1
	s_mul_i32 s30, s28, s9
	s_mul_hi_u32 s31, s28, s8
	s_mul_i32 s29, s29, s8
	s_add_i32 s30, s31, s30
	s_mul_i32 s28, s28, s8
	s_add_i32 s29, s30, s29
	s_delay_alu instid0(SALU_CYCLE_1) | instskip(NEXT) | instid1(SALU_CYCLE_1)
	s_lshl_b64 s[28:29], s[28:29], 3
	v_add_co_u32 v8, vcc_lo, v12, s28
	v_add_co_ci_u32_e32 v9, vcc_lo, s29, v13, vcc_lo
	global_load_b64 v[8:9], v[8:9], off
	s_waitcnt vmcnt(0)
	v_fma_f64 v[10:11], -v[6:7], v[8:9], v[2:3]
.LBB102_41:                             ;   in Loop: Header=BB102_11 Depth=1
	s_or_b32 exec_lo, exec_lo, s13
	v_dual_mov_b32 v9, v5 :: v_dual_mov_b32 v8, v4
	s_mov_b32 s31, 0
	s_branch .LBB102_32
.LBB102_42:                             ;   in Loop: Header=BB102_11 Depth=1
	v_div_scale_f64 v[8:9], null, v[6:7], v[6:7], 1.0
	v_div_scale_f64 v[23:24], vcc_lo, 1.0, v[6:7], 1.0
	s_mov_b32 s31, 2
	s_delay_alu instid0(VALU_DEP_2) | instskip(SKIP_2) | instid1(VALU_DEP_1)
	v_rcp_f64_e32 v[10:11], v[8:9]
	s_waitcnt_depctr 0xfff
	v_fma_f64 v[21:22], -v[8:9], v[10:11], 1.0
	v_fma_f64 v[10:11], v[10:11], v[21:22], v[10:11]
	s_delay_alu instid0(VALU_DEP_1) | instskip(NEXT) | instid1(VALU_DEP_1)
	v_fma_f64 v[21:22], -v[8:9], v[10:11], 1.0
	v_fma_f64 v[10:11], v[10:11], v[21:22], v[10:11]
	s_delay_alu instid0(VALU_DEP_1) | instskip(NEXT) | instid1(VALU_DEP_1)
	v_mul_f64 v[21:22], v[23:24], v[10:11]
	v_fma_f64 v[8:9], -v[8:9], v[21:22], v[23:24]
	s_delay_alu instid0(VALU_DEP_1) | instskip(SKIP_1) | instid1(VALU_DEP_2)
	v_div_fmas_f64 v[8:9], v[8:9], v[10:11], v[21:22]
	v_dual_mov_b32 v11, v3 :: v_dual_mov_b32 v10, v2
	v_div_fixup_f64 v[6:7], v[8:9], v[6:7], 1.0
	s_delay_alu instid0(VALU_DEP_1) | instskip(NEXT) | instid1(VALU_DEP_2)
	v_cndmask_b32_e64 v9, v5, v7, s1
	v_cndmask_b32_e64 v8, v4, v6, s1
	s_cmp_gt_i32 s31, 3
	s_mov_b32 s13, -1
	s_cbranch_scc0 .LBB102_33
.LBB102_43:                             ;   in Loop: Header=BB102_11 Depth=1
	s_branch .LBB102_9
.LBB102_44:                             ;   in Loop: Header=BB102_11 Depth=1
                                        ; implicit-def: $sgpr26_sgpr27
	s_branch .LBB102_10
.LBB102_45:                             ;   in Loop: Header=BB102_11 Depth=1
	s_mov_b32 s35, 0
	s_branch .LBB102_47
	.p2align	6
.LBB102_46:                             ;   in Loop: Header=BB102_47 Depth=2
	global_load_b32 v8, v20, s[30:31] glc
	s_cmpk_lt_u32 s35, 0xf43
	s_cselect_b32 s36, -1, 0
	s_delay_alu instid0(SALU_CYCLE_1)
	s_cmp_lg_u32 s36, 0
	s_addc_u32 s35, s35, 0
	s_waitcnt vmcnt(0)
	v_cmp_ne_u32_e32 vcc_lo, 0, v8
	s_cbranch_vccnz .LBB102_39
.LBB102_47:                             ;   Parent Loop BB102_11 Depth=1
                                        ; =>  This Loop Header: Depth=2
                                        ;       Child Loop BB102_48 Depth 3
	s_cmp_eq_u32 s35, 0
	s_mov_b32 s36, s35
	s_cbranch_scc1 .LBB102_46
.LBB102_48:                             ;   Parent Loop BB102_11 Depth=1
                                        ;     Parent Loop BB102_47 Depth=2
                                        ; =>    This Inner Loop Header: Depth=3
	s_add_i32 s36, s36, -1
	s_sleep 1
	s_cmp_eq_u32 s36, 0
	s_cbranch_scc0 .LBB102_48
	s_branch .LBB102_46
.LBB102_49:
	v_dual_mov_b32 v11, v3 :: v_dual_mov_b32 v10, v2
.LBB102_50:
	s_and_saveexec_b32 s0, s2
	s_cbranch_execz .LBB102_52
; %bb.51:
	s_delay_alu instid0(VALU_DEP_1) | instskip(SKIP_3) | instid1(VALU_DEP_1)
	v_mul_f64 v[1:2], v[8:9], v[10:11]
	s_cmp_eq_u32 s6, 0
	s_cselect_b32 vcc_lo, -1, 0
	s_lshl_b64 s[2:3], s[18:19], 3
	v_dual_cndmask_b32 v2, v11, v2 :: v_dual_cndmask_b32 v1, v10, v1
	v_add_co_u32 v3, vcc_lo, v12, s2
	v_add_co_ci_u32_e32 v4, vcc_lo, s3, v13, vcc_lo
	global_store_b64 v[3:4], v[1:2], off
.LBB102_52:
	s_or_b32 exec_lo, exec_lo, s0
	s_waitcnt_vscnt null, 0x0
	buffer_gl1_inv
	buffer_gl0_inv
	s_barrier
	buffer_gl0_inv
	s_mov_b32 s0, exec_lo
	v_cmpx_eq_u32_e32 0, v0
	s_cbranch_execz .LBB102_54
; %bb.53:
	s_lshl_b64 s[0:1], s[20:21], 2
	v_dual_mov_b32 v0, 0 :: v_dual_mov_b32 v1, 1
	s_add_u32 s2, s10, s0
	s_addc_u32 s3, s11, s1
	s_lshl_b64 s[0:1], s[16:17], 2
	s_delay_alu instid0(SALU_CYCLE_1)
	s_add_u32 s0, s2, s0
	s_addc_u32 s1, s3, s1
	global_store_b32 v0, v1, s[0:1]
.LBB102_54:
	s_nop 0
	s_sendmsg sendmsg(MSG_DEALLOC_VGPRS)
	s_endpgm
.LBB102_55:
                                        ; implicit-def: $sgpr24_sgpr25
	s_load_b64 s[22:23], s[0:1], 0x38
	s_branch .LBB102_4
	.section	.rodata,"a",@progbits
	.p2align	6, 0x0
	.amdhsa_kernel _ZN9rocsparseL5csrsmILj1024ELj64ELb1ElldEEv20rocsparse_operation_T3_S2_NS_24const_host_device_scalarIT4_EEPKT2_PKS2_PKS4_PS4_lPiSA_PS2_21rocsparse_index_base_20rocsparse_fill_mode_20rocsparse_diag_type_b
		.amdhsa_group_segment_fixed_size 16384
		.amdhsa_private_segment_fixed_size 0
		.amdhsa_kernarg_size 112
		.amdhsa_user_sgpr_count 15
		.amdhsa_user_sgpr_dispatch_ptr 0
		.amdhsa_user_sgpr_queue_ptr 0
		.amdhsa_user_sgpr_kernarg_segment_ptr 1
		.amdhsa_user_sgpr_dispatch_id 0
		.amdhsa_user_sgpr_private_segment_size 0
		.amdhsa_wavefront_size32 1
		.amdhsa_uses_dynamic_stack 0
		.amdhsa_enable_private_segment 0
		.amdhsa_system_sgpr_workgroup_id_x 1
		.amdhsa_system_sgpr_workgroup_id_y 0
		.amdhsa_system_sgpr_workgroup_id_z 0
		.amdhsa_system_sgpr_workgroup_info 0
		.amdhsa_system_vgpr_workitem_id 0
		.amdhsa_next_free_vgpr 25
		.amdhsa_next_free_sgpr 37
		.amdhsa_reserve_vcc 1
		.amdhsa_float_round_mode_32 0
		.amdhsa_float_round_mode_16_64 0
		.amdhsa_float_denorm_mode_32 3
		.amdhsa_float_denorm_mode_16_64 3
		.amdhsa_dx10_clamp 1
		.amdhsa_ieee_mode 1
		.amdhsa_fp16_overflow 0
		.amdhsa_workgroup_processor_mode 1
		.amdhsa_memory_ordered 1
		.amdhsa_forward_progress 0
		.amdhsa_shared_vgpr_count 0
		.amdhsa_exception_fp_ieee_invalid_op 0
		.amdhsa_exception_fp_denorm_src 0
		.amdhsa_exception_fp_ieee_div_zero 0
		.amdhsa_exception_fp_ieee_overflow 0
		.amdhsa_exception_fp_ieee_underflow 0
		.amdhsa_exception_fp_ieee_inexact 0
		.amdhsa_exception_int_div_zero 0
	.end_amdhsa_kernel
	.section	.text._ZN9rocsparseL5csrsmILj1024ELj64ELb1ElldEEv20rocsparse_operation_T3_S2_NS_24const_host_device_scalarIT4_EEPKT2_PKS2_PKS4_PS4_lPiSA_PS2_21rocsparse_index_base_20rocsparse_fill_mode_20rocsparse_diag_type_b,"axG",@progbits,_ZN9rocsparseL5csrsmILj1024ELj64ELb1ElldEEv20rocsparse_operation_T3_S2_NS_24const_host_device_scalarIT4_EEPKT2_PKS2_PKS4_PS4_lPiSA_PS2_21rocsparse_index_base_20rocsparse_fill_mode_20rocsparse_diag_type_b,comdat
.Lfunc_end102:
	.size	_ZN9rocsparseL5csrsmILj1024ELj64ELb1ElldEEv20rocsparse_operation_T3_S2_NS_24const_host_device_scalarIT4_EEPKT2_PKS2_PKS4_PS4_lPiSA_PS2_21rocsparse_index_base_20rocsparse_fill_mode_20rocsparse_diag_type_b, .Lfunc_end102-_ZN9rocsparseL5csrsmILj1024ELj64ELb1ElldEEv20rocsparse_operation_T3_S2_NS_24const_host_device_scalarIT4_EEPKT2_PKS2_PKS4_PS4_lPiSA_PS2_21rocsparse_index_base_20rocsparse_fill_mode_20rocsparse_diag_type_b
                                        ; -- End function
	.section	.AMDGPU.csdata,"",@progbits
; Kernel info:
; codeLenInByte = 2600
; NumSgprs: 39
; NumVgprs: 25
; ScratchSize: 0
; MemoryBound: 0
; FloatMode: 240
; IeeeMode: 1
; LDSByteSize: 16384 bytes/workgroup (compile time only)
; SGPRBlocks: 4
; VGPRBlocks: 3
; NumSGPRsForWavesPerEU: 39
; NumVGPRsForWavesPerEU: 25
; Occupancy: 16
; WaveLimiterHint : 1
; COMPUTE_PGM_RSRC2:SCRATCH_EN: 0
; COMPUTE_PGM_RSRC2:USER_SGPR: 15
; COMPUTE_PGM_RSRC2:TRAP_HANDLER: 0
; COMPUTE_PGM_RSRC2:TGID_X_EN: 1
; COMPUTE_PGM_RSRC2:TGID_Y_EN: 0
; COMPUTE_PGM_RSRC2:TGID_Z_EN: 0
; COMPUTE_PGM_RSRC2:TIDIG_COMP_CNT: 0
	.section	.text._ZN9rocsparseL5csrsmILj1024ELj64ELb0ElldEEv20rocsparse_operation_T3_S2_NS_24const_host_device_scalarIT4_EEPKT2_PKS2_PKS4_PS4_lPiSA_PS2_21rocsparse_index_base_20rocsparse_fill_mode_20rocsparse_diag_type_b,"axG",@progbits,_ZN9rocsparseL5csrsmILj1024ELj64ELb0ElldEEv20rocsparse_operation_T3_S2_NS_24const_host_device_scalarIT4_EEPKT2_PKS2_PKS4_PS4_lPiSA_PS2_21rocsparse_index_base_20rocsparse_fill_mode_20rocsparse_diag_type_b,comdat
	.globl	_ZN9rocsparseL5csrsmILj1024ELj64ELb0ElldEEv20rocsparse_operation_T3_S2_NS_24const_host_device_scalarIT4_EEPKT2_PKS2_PKS4_PS4_lPiSA_PS2_21rocsparse_index_base_20rocsparse_fill_mode_20rocsparse_diag_type_b ; -- Begin function _ZN9rocsparseL5csrsmILj1024ELj64ELb0ElldEEv20rocsparse_operation_T3_S2_NS_24const_host_device_scalarIT4_EEPKT2_PKS2_PKS4_PS4_lPiSA_PS2_21rocsparse_index_base_20rocsparse_fill_mode_20rocsparse_diag_type_b
	.p2align	8
	.type	_ZN9rocsparseL5csrsmILj1024ELj64ELb0ElldEEv20rocsparse_operation_T3_S2_NS_24const_host_device_scalarIT4_EEPKT2_PKS2_PKS4_PS4_lPiSA_PS2_21rocsparse_index_base_20rocsparse_fill_mode_20rocsparse_diag_type_b,@function
_ZN9rocsparseL5csrsmILj1024ELj64ELb0ElldEEv20rocsparse_operation_T3_S2_NS_24const_host_device_scalarIT4_EEPKT2_PKS2_PKS4_PS4_lPiSA_PS2_21rocsparse_index_base_20rocsparse_fill_mode_20rocsparse_diag_type_b: ; @_ZN9rocsparseL5csrsmILj1024ELj64ELb0ElldEEv20rocsparse_operation_T3_S2_NS_24const_host_device_scalarIT4_EEPKT2_PKS2_PKS4_PS4_lPiSA_PS2_21rocsparse_index_base_20rocsparse_fill_mode_20rocsparse_diag_type_b
; %bb.0:
	s_clause 0x2
	s_load_b128 s[4:7], s[0:1], 0x60
	s_load_b64 s[2:3], s[0:1], 0x18
	s_load_b128 s[16:19], s[0:1], 0x8
	s_waitcnt lgkmcnt(0)
	s_bitcmp1_b32 s7, 0
	v_dual_mov_b32 v5, s3 :: v_dual_mov_b32 v4, s2
	s_cselect_b32 s7, -1, 0
	s_delay_alu instid0(SALU_CYCLE_1)
	s_and_b32 vcc_lo, exec_lo, s7
	s_cbranch_vccnz .LBB103_2
; %bb.1:
	v_dual_mov_b32 v1, s2 :: v_dual_mov_b32 v2, s3
	flat_load_b64 v[4:5], v[1:2]
.LBB103_2:
	s_clause 0x1
	s_load_b64 s[8:9], s[0:1], 0x50
	s_load_b64 s[2:3], s[0:1], 0x20
	s_mov_b32 s10, 0
	s_mov_b32 s11, s17
	s_delay_alu instid0(SALU_CYCLE_1)
	s_cmp_lg_u64 s[10:11], 0
	s_cbranch_scc0 .LBB103_52
; %bb.3:
	s_ashr_i32 s12, s17, 31
	s_delay_alu instid0(SALU_CYCLE_1) | instskip(SKIP_2) | instid1(SALU_CYCLE_1)
	s_add_u32 s20, s16, s12
	s_mov_b32 s13, s12
	s_addc_u32 s21, s17, s12
	s_xor_b64 s[20:21], s[20:21], s[12:13]
	s_delay_alu instid0(SALU_CYCLE_1) | instskip(SKIP_3) | instid1(VALU_DEP_1)
	v_cvt_f32_u32_e32 v1, s20
	v_cvt_f32_u32_e32 v2, s21
	s_sub_u32 s14, 0, s20
	s_subb_u32 s22, 0, s21
	v_fmamk_f32 v1, v2, 0x4f800000, v1
	s_delay_alu instid0(VALU_DEP_1) | instskip(SKIP_2) | instid1(VALU_DEP_1)
	v_rcp_f32_e32 v1, v1
	s_waitcnt_depctr 0xfff
	v_mul_f32_e32 v1, 0x5f7ffffc, v1
	v_mul_f32_e32 v2, 0x2f800000, v1
	s_delay_alu instid0(VALU_DEP_1) | instskip(NEXT) | instid1(VALU_DEP_1)
	v_trunc_f32_e32 v2, v2
	v_fmamk_f32 v1, v2, 0xcf800000, v1
	v_cvt_u32_f32_e32 v2, v2
	s_delay_alu instid0(VALU_DEP_2) | instskip(NEXT) | instid1(VALU_DEP_2)
	v_cvt_u32_f32_e32 v1, v1
	v_readfirstlane_b32 s7, v2
	s_delay_alu instid0(VALU_DEP_2) | instskip(NEXT) | instid1(VALU_DEP_2)
	v_readfirstlane_b32 s11, v1
	s_mul_i32 s23, s14, s7
	s_delay_alu instid0(VALU_DEP_1)
	s_mul_hi_u32 s25, s14, s11
	s_mul_i32 s24, s22, s11
	s_add_i32 s23, s25, s23
	s_mul_i32 s26, s14, s11
	s_add_i32 s23, s23, s24
	s_mul_hi_u32 s25, s11, s26
	s_mul_hi_u32 s27, s7, s26
	s_mul_i32 s24, s7, s26
	s_mul_hi_u32 s26, s11, s23
	s_mul_i32 s11, s11, s23
	s_mul_hi_u32 s28, s7, s23
	s_add_u32 s11, s25, s11
	s_addc_u32 s25, 0, s26
	s_add_u32 s11, s11, s24
	s_mul_i32 s23, s7, s23
	s_addc_u32 s11, s25, s27
	s_addc_u32 s24, s28, 0
	s_add_u32 s11, s11, s23
	s_addc_u32 s23, 0, s24
	v_add_co_u32 v1, s11, v1, s11
	s_delay_alu instid0(VALU_DEP_1) | instskip(SKIP_1) | instid1(VALU_DEP_1)
	s_cmp_lg_u32 s11, 0
	s_addc_u32 s7, s7, s23
	v_readfirstlane_b32 s11, v1
	s_mul_i32 s23, s14, s7
	s_delay_alu instid0(VALU_DEP_1)
	s_mul_hi_u32 s24, s14, s11
	s_mul_i32 s22, s22, s11
	s_add_i32 s23, s24, s23
	s_mul_i32 s14, s14, s11
	s_add_i32 s23, s23, s22
	s_mul_hi_u32 s24, s7, s14
	s_mul_i32 s25, s7, s14
	s_mul_hi_u32 s14, s11, s14
	s_mul_hi_u32 s26, s11, s23
	s_mul_i32 s11, s11, s23
	s_mul_hi_u32 s22, s7, s23
	s_add_u32 s11, s14, s11
	s_addc_u32 s14, 0, s26
	s_add_u32 s11, s11, s25
	s_mul_i32 s23, s7, s23
	s_addc_u32 s11, s14, s24
	s_addc_u32 s14, s22, 0
	s_add_u32 s11, s11, s23
	s_addc_u32 s14, 0, s14
	v_add_co_u32 v1, s11, v1, s11
	s_delay_alu instid0(VALU_DEP_1) | instskip(SKIP_1) | instid1(VALU_DEP_1)
	s_cmp_lg_u32 s11, 0
	s_addc_u32 s7, s7, s14
	v_readfirstlane_b32 s11, v1
	s_mul_i32 s14, s15, s7
	s_mul_hi_u32 s7, s15, s7
	s_delay_alu instid0(VALU_DEP_1) | instskip(NEXT) | instid1(SALU_CYCLE_1)
	s_mul_hi_u32 s11, s15, s11
	s_add_u32 s11, s11, s14
	s_addc_u32 s7, 0, s7
	s_add_u32 s11, s11, 0
	s_addc_u32 s7, s7, 0
	s_addc_u32 s11, 0, 0
	s_add_u32 s7, s7, 0
	s_addc_u32 s11, 0, s11
	s_mul_hi_u32 s14, s20, s7
	s_mul_i32 s23, s20, s11
	s_mul_i32 s24, s20, s7
	s_add_i32 s14, s14, s23
	v_sub_co_u32 v1, s23, s15, s24
	s_mul_i32 s22, s21, s7
	s_delay_alu instid0(SALU_CYCLE_1) | instskip(NEXT) | instid1(VALU_DEP_1)
	s_add_i32 s14, s14, s22
	v_sub_co_u32 v2, s24, v1, s20
	s_sub_i32 s22, 0, s14
	s_cmp_lg_u32 s23, 0
	s_subb_u32 s22, s22, s21
	s_cmp_lg_u32 s24, 0
	v_readfirstlane_b32 s24, v2
	s_subb_u32 s22, s22, 0
	s_delay_alu instid0(SALU_CYCLE_1) | instskip(SKIP_1) | instid1(VALU_DEP_1)
	s_cmp_ge_u32 s22, s21
	s_cselect_b32 s25, -1, 0
	s_cmp_ge_u32 s24, s20
	s_cselect_b32 s24, -1, 0
	s_cmp_eq_u32 s22, s21
	s_cselect_b32 s22, s24, s25
	s_add_u32 s24, s7, 1
	s_addc_u32 s25, s11, 0
	s_add_u32 s26, s7, 2
	s_addc_u32 s27, s11, 0
	s_cmp_lg_u32 s22, 0
	s_cselect_b32 s22, s26, s24
	s_cselect_b32 s24, s27, s25
	s_cmp_lg_u32 s23, 0
	v_readfirstlane_b32 s23, v1
	s_subb_u32 s14, 0, s14
	s_delay_alu instid0(SALU_CYCLE_1) | instskip(SKIP_1) | instid1(VALU_DEP_1)
	s_cmp_ge_u32 s14, s21
	s_cselect_b32 s25, -1, 0
	s_cmp_ge_u32 s23, s20
	s_cselect_b32 s20, -1, 0
	s_cmp_eq_u32 s14, s21
	s_cselect_b32 s14, s20, s25
	s_delay_alu instid0(SALU_CYCLE_1) | instskip(SKIP_2) | instid1(SALU_CYCLE_1)
	s_cmp_lg_u32 s14, 0
	s_cselect_b32 s21, s24, s11
	s_cselect_b32 s20, s22, s7
	s_xor_b64 s[20:21], s[20:21], s[12:13]
	s_delay_alu instid0(SALU_CYCLE_1)
	s_sub_u32 s24, s20, s12
	s_subb_u32 s25, s21, s12
	s_load_b64 s[22:23], s[0:1], 0x38
	s_and_not1_b32 vcc_lo, exec_lo, s10
	s_cbranch_vccnz .LBB103_5
.LBB103_4:
	v_cvt_f32_u32_e32 v1, s16
	s_sub_i32 s10, 0, s16
	s_mov_b32 s25, 0
	s_delay_alu instid0(VALU_DEP_1) | instskip(SKIP_2) | instid1(VALU_DEP_1)
	v_rcp_iflag_f32_e32 v1, v1
	s_waitcnt_depctr 0xfff
	v_mul_f32_e32 v1, 0x4f7ffffe, v1
	v_cvt_u32_f32_e32 v1, v1
	s_delay_alu instid0(VALU_DEP_1) | instskip(NEXT) | instid1(VALU_DEP_1)
	v_readfirstlane_b32 s7, v1
	s_mul_i32 s10, s10, s7
	s_delay_alu instid0(SALU_CYCLE_1) | instskip(NEXT) | instid1(SALU_CYCLE_1)
	s_mul_hi_u32 s10, s7, s10
	s_add_i32 s7, s7, s10
	s_delay_alu instid0(SALU_CYCLE_1) | instskip(NEXT) | instid1(SALU_CYCLE_1)
	s_mul_hi_u32 s7, s15, s7
	s_mul_i32 s10, s7, s16
	s_add_i32 s11, s7, 1
	s_sub_i32 s10, s15, s10
	s_delay_alu instid0(SALU_CYCLE_1)
	s_sub_i32 s12, s10, s16
	s_cmp_ge_u32 s10, s16
	s_cselect_b32 s7, s11, s7
	s_cselect_b32 s10, s12, s10
	s_add_i32 s11, s7, 1
	s_cmp_ge_u32 s10, s16
	s_cselect_b32 s24, s11, s7
.LBB103_5:
	s_delay_alu instid0(SALU_CYCLE_1)
	s_mul_i32 s7, s24, s17
	s_mul_hi_u32 s10, s24, s16
	v_mov_b32_e32 v1, 0
	s_add_i32 s7, s10, s7
	s_mul_i32 s10, s25, s16
	s_mul_i32 s16, s24, s16
	s_add_i32 s17, s7, s10
	s_sub_u32 s10, s15, s16
	s_subb_u32 s11, 0, s17
	v_mov_b32_e32 v2, 0
	s_lshl_b64 s[10:11], s[10:11], 3
	v_mov_b32_e32 v3, 0
	s_waitcnt lgkmcnt(0)
	s_add_u32 s8, s8, s10
	s_addc_u32 s9, s9, s11
	s_load_b64 s[20:21], s[8:9], 0x0
	s_load_b128 s[8:11], s[0:1], 0x40
	s_waitcnt lgkmcnt(0)
	s_lshl_b64 s[12:13], s[20:21], 3
	s_mul_i32 s7, s21, s8
	s_add_u32 s2, s2, s12
	s_addc_u32 s3, s3, s13
	s_load_b128 s[12:15], s[2:3], 0x0
	s_lshl_b64 s[2:3], s[24:25], 10
	s_delay_alu instid0(SALU_CYCLE_1) | instskip(SKIP_3) | instid1(SALU_CYCLE_1)
	v_or_b32_e32 v6, s2, v0
	v_mov_b32_e32 v7, s3
	s_mul_i32 s2, s20, s9
	s_mul_hi_u32 s3, s20, s8
	s_add_i32 s3, s3, s2
	s_delay_alu instid0(VALU_DEP_1) | instskip(SKIP_2) | instid1(VALU_DEP_1)
	v_cmp_gt_i64_e64 s2, s[18:19], v[6:7]
	s_add_i32 s19, s3, s7
	s_mul_i32 s18, s20, s8
	s_and_saveexec_b32 s3, s2
	s_cbranch_execz .LBB103_7
; %bb.6:
	v_add_co_u32 v2, vcc_lo, v6, s18
	v_add_co_ci_u32_e32 v3, vcc_lo, s19, v7, vcc_lo
	s_delay_alu instid0(VALU_DEP_1) | instskip(NEXT) | instid1(VALU_DEP_1)
	v_lshlrev_b64 v[2:3], 3, v[2:3]
	v_add_co_u32 v2, vcc_lo, s22, v2
	s_delay_alu instid0(VALU_DEP_2)
	v_add_co_ci_u32_e32 v3, vcc_lo, s23, v3, vcc_lo
	global_load_b64 v[2:3], v[2:3], off
	s_waitcnt vmcnt(0)
	v_mul_f64 v[2:3], v[4:5], v[2:3]
.LBB103_7:
	s_or_b32 exec_lo, exec_lo, s3
	s_waitcnt vmcnt(0)
	v_lshlrev_b64 v[4:5], 3, v[6:7]
	s_waitcnt lgkmcnt(0)
	v_cmp_ge_i64_e64 s3, s[12:13], s[14:15]
	v_mov_b32_e32 v8, 0
	v_mov_b32_e32 v9, 0x3ff00000
	s_delay_alu instid0(VALU_DEP_4)
	v_add_co_u32 v12, vcc_lo, s22, v4
	v_add_co_ci_u32_e32 v13, vcc_lo, s23, v5, vcc_lo
	s_and_b32 vcc_lo, exec_lo, s3
	v_cmp_eq_u32_e64 s3, 0, v0
	s_cbranch_vccnz .LBB103_46
; %bb.8:
	s_clause 0x1
	s_load_b128 s[24:27], s[0:1], 0x28
	s_load_b64 s[22:23], s[0:1], 0x58
	s_lshl_b64 s[0:1], s[16:17], 2
	v_lshlrev_b32_e32 v14, 3, v0
	s_add_u32 s7, s10, s0
	s_addc_u32 s33, s11, s1
	s_sub_u32 s12, s12, s4
	s_subb_u32 s13, s13, 0
	s_sub_u32 s14, s14, s4
	v_mov_b32_e32 v4, 0
	v_mov_b32_e32 v5, 0x3ff00000
	s_subb_u32 s15, s15, 0
	s_cmp_lg_u32 s6, 0
	v_or_b32_e32 v15, 0x2000, v14
	s_cselect_b32 s34, -1, 0
	v_mov_b32_e32 v20, 0
	s_waitcnt lgkmcnt(0)
	v_add_co_u32 v16, s0, s24, v14
	s_delay_alu instid0(VALU_DEP_1)
	v_add_co_ci_u32_e64 v17, null, s25, 0, s0
	v_add_co_u32 v18, s0, s26, v14
	s_add_u32 s24, s20, s4
	v_add_co_ci_u32_e64 v19, null, s27, 0, s0
	v_cmp_ne_u32_e64 s0, 0, v0
	s_addc_u32 s25, s21, 0
	s_cmp_eq_u32 s6, 0
	s_mov_b64 s[26:27], s[12:13]
	s_cselect_b32 s1, -1, 0
	s_branch .LBB103_11
.LBB103_9:                              ;   in Loop: Header=BB103_11 Depth=1
	s_add_u32 s26, s26, 1
	s_addc_u32 s27, s27, 0
	s_delay_alu instid0(SALU_CYCLE_1)
	v_cmp_ge_i64_e64 s13, s[26:27], s[14:15]
.LBB103_10:                             ;   in Loop: Header=BB103_11 Depth=1
	s_delay_alu instid0(VALU_DEP_2) | instskip(SKIP_1) | instid1(VALU_DEP_3)
	v_dual_mov_b32 v2, v10 :: v_dual_mov_b32 v3, v11
	v_dual_mov_b32 v4, v8 :: v_dual_mov_b32 v5, v9
	s_and_not1_b32 vcc_lo, exec_lo, s13
	s_cbranch_vccz .LBB103_47
.LBB103_11:                             ; =>This Loop Header: Depth=1
                                        ;     Child Loop BB103_39 Depth 2
	s_sub_i32 s13, s26, s12
	s_delay_alu instid0(SALU_CYCLE_1) | instskip(NEXT) | instid1(SALU_CYCLE_1)
	s_and_b32 s13, s13, 0x3ff
	s_cmp_lg_u32 s13, 0
	s_cbranch_scc1 .LBB103_15
; %bb.12:                               ;   in Loop: Header=BB103_11 Depth=1
	s_sub_u32 s28, s14, s26
	s_subb_u32 s29, s15, s27
	v_mov_b32_e32 v6, -1
	v_dual_mov_b32 v7, -1 :: v_dual_mov_b32 v8, 0
	v_cmp_gt_i64_e32 vcc_lo, s[28:29], v[0:1]
	v_mov_b32_e32 v9, 0xbff00000
	s_and_saveexec_b32 s28, vcc_lo
	s_cbranch_execz .LBB103_14
; %bb.13:                               ;   in Loop: Header=BB103_11 Depth=1
	s_lshl_b64 s[30:31], s[26:27], 3
	s_delay_alu instid0(SALU_CYCLE_1)
	v_add_co_u32 v6, vcc_lo, v16, s30
	v_add_co_ci_u32_e32 v7, vcc_lo, s31, v17, vcc_lo
	v_add_co_u32 v8, vcc_lo, v18, s30
	v_add_co_ci_u32_e32 v9, vcc_lo, s31, v19, vcc_lo
	global_load_b64 v[6:7], v[6:7], off
	global_load_b64 v[8:9], v[8:9], off
	s_waitcnt vmcnt(1)
	v_sub_co_u32 v6, vcc_lo, v6, s4
	v_subrev_co_ci_u32_e32 v7, vcc_lo, 0, v7, vcc_lo
.LBB103_14:                             ;   in Loop: Header=BB103_11 Depth=1
	s_or_b32 exec_lo, exec_lo, s28
	ds_store_b64 v14, v[6:7]
	s_waitcnt vmcnt(0)
	ds_store_b64 v15, v[8:9]
.LBB103_15:                             ;   in Loop: Header=BB103_11 Depth=1
	s_lshl_b32 s13, s13, 3
	s_waitcnt lgkmcnt(0)
	v_mov_b32_e32 v6, s13
	s_waitcnt_vscnt null, 0x0
	s_barrier
	buffer_gl0_inv
	ds_load_2addr_stride64_b64 v[6:9], v6 offset1:16
	s_waitcnt lgkmcnt(0)
	v_cmp_neq_f64_e32 vcc_lo, 0, v[8:9]
	v_readfirstlane_b32 s28, v6
	v_readfirstlane_b32 s29, v7
	s_delay_alu instid0(VALU_DEP_1) | instskip(SKIP_1) | instid1(SALU_CYCLE_1)
	s_cmp_lg_u64 s[28:29], s[20:21]
	s_cselect_b32 s13, -1, 0
	s_or_b32 s13, s34, s13
	s_delay_alu instid0(SALU_CYCLE_1) | instskip(SKIP_3) | instid1(SALU_CYCLE_1)
	s_or_b32 vcc_lo, vcc_lo, s13
	v_cndmask_b32_e32 v7, 0x3ff00000, v9, vcc_lo
	v_cndmask_b32_e32 v6, 0, v8, vcc_lo
	s_or_b32 s13, s0, vcc_lo
	s_xor_b32 s30, s13, -1
	s_delay_alu instid0(SALU_CYCLE_1)
	s_and_saveexec_b32 s13, s30
	s_cbranch_execz .LBB103_19
; %bb.16:                               ;   in Loop: Header=BB103_11 Depth=1
	v_mbcnt_lo_u32_b32 v6, exec_lo, 0
	s_mov_b32 s30, exec_lo
	s_delay_alu instid0(VALU_DEP_1)
	v_cmpx_eq_u32_e32 0, v6
	s_cbranch_execz .LBB103_18
; %bb.17:                               ;   in Loop: Header=BB103_11 Depth=1
	v_dual_mov_b32 v6, s24 :: v_dual_mov_b32 v7, s25
	global_atomic_min_u64 v20, v[6:7], s[22:23]
.LBB103_18:                             ;   in Loop: Header=BB103_11 Depth=1
	s_or_b32 exec_lo, exec_lo, s30
	v_mov_b32_e32 v6, 0
	v_mov_b32_e32 v7, 0x3ff00000
.LBB103_19:                             ;   in Loop: Header=BB103_11 Depth=1
	s_or_b32 exec_lo, exec_lo, s13
	s_cmp_lt_i32 s5, 1
	s_mov_b32 s13, 0
	s_cbranch_scc1 .LBB103_24
; %bb.20:                               ;   in Loop: Header=BB103_11 Depth=1
	s_cmp_eq_u32 s5, 1
	s_cbranch_scc0 .LBB103_25
; %bb.21:                               ;   in Loop: Header=BB103_11 Depth=1
	v_cmp_ge_i64_e64 s30, s[28:29], s[20:21]
	v_dual_mov_b32 v9, v5 :: v_dual_mov_b32 v8, v4
	s_delay_alu instid0(VALU_DEP_2)
	s_and_b32 vcc_lo, exec_lo, s30
	s_mov_b32 s30, 0
	s_cbranch_vccz .LBB103_27
; %bb.22:                               ;   in Loop: Header=BB103_11 Depth=1
	s_cmp_eq_u64 s[28:29], s[20:21]
	s_cbranch_scc0 .LBB103_26
; %bb.23:                               ;   in Loop: Header=BB103_11 Depth=1
	v_div_scale_f64 v[8:9], null, v[6:7], v[6:7], 1.0
	v_div_scale_f64 v[23:24], vcc_lo, 1.0, v[6:7], 1.0
	s_delay_alu instid0(VALU_DEP_2) | instskip(SKIP_2) | instid1(VALU_DEP_1)
	v_rcp_f64_e32 v[10:11], v[8:9]
	s_waitcnt_depctr 0xfff
	v_fma_f64 v[21:22], -v[8:9], v[10:11], 1.0
	v_fma_f64 v[10:11], v[10:11], v[21:22], v[10:11]
	s_delay_alu instid0(VALU_DEP_1) | instskip(NEXT) | instid1(VALU_DEP_1)
	v_fma_f64 v[21:22], -v[8:9], v[10:11], 1.0
	v_fma_f64 v[10:11], v[10:11], v[21:22], v[10:11]
	s_delay_alu instid0(VALU_DEP_1) | instskip(NEXT) | instid1(VALU_DEP_1)
	v_mul_f64 v[21:22], v[23:24], v[10:11]
	v_fma_f64 v[8:9], -v[8:9], v[21:22], v[23:24]
	s_delay_alu instid0(VALU_DEP_1) | instskip(NEXT) | instid1(VALU_DEP_1)
	v_div_fmas_f64 v[8:9], v[8:9], v[10:11], v[21:22]
	v_div_fixup_f64 v[8:9], v[8:9], v[6:7], 1.0
	s_delay_alu instid0(VALU_DEP_1) | instskip(NEXT) | instid1(VALU_DEP_2)
	v_cndmask_b32_e64 v9, v5, v9, s1
	v_cndmask_b32_e64 v8, v4, v8, s1
	s_branch .LBB103_27
.LBB103_24:                             ;   in Loop: Header=BB103_11 Depth=1
	s_mov_b32 s30, 0
                                        ; implicit-def: $vgpr10_vgpr11
                                        ; implicit-def: $vgpr8_vgpr9
                                        ; implicit-def: $sgpr31
	s_cbranch_execnz .LBB103_28
	s_branch .LBB103_30
.LBB103_25:                             ;   in Loop: Header=BB103_11 Depth=1
	s_mov_b32 s30, -1
                                        ; implicit-def: $vgpr10_vgpr11
                                        ; implicit-def: $vgpr8_vgpr9
                                        ; implicit-def: $sgpr31
	s_branch .LBB103_30
.LBB103_26:                             ;   in Loop: Header=BB103_11 Depth=1
	s_mov_b32 s30, -1
                                        ; implicit-def: $vgpr8_vgpr9
.LBB103_27:                             ;   in Loop: Header=BB103_11 Depth=1
	v_dual_mov_b32 v11, v3 :: v_dual_mov_b32 v10, v2
	s_mov_b32 s31, 4
	s_branch .LBB103_30
.LBB103_28:                             ;   in Loop: Header=BB103_11 Depth=1
	s_cmp_eq_u32 s5, 0
	s_cbranch_scc1 .LBB103_34
; %bb.29:                               ;   in Loop: Header=BB103_11 Depth=1
	s_mov_b32 s30, -1
                                        ; implicit-def: $vgpr10_vgpr11
                                        ; implicit-def: $vgpr8_vgpr9
                                        ; implicit-def: $sgpr31
.LBB103_30:                             ;   in Loop: Header=BB103_11 Depth=1
	s_delay_alu instid0(SALU_CYCLE_1)
	s_and_b32 vcc_lo, exec_lo, s30
	s_cbranch_vccnz .LBB103_37
.LBB103_31:                             ;   in Loop: Header=BB103_11 Depth=1
	s_and_b32 vcc_lo, exec_lo, s13
	s_cbranch_vccnz .LBB103_43
.LBB103_32:                             ;   in Loop: Header=BB103_11 Depth=1
	s_cmp_gt_i32 s31, 3
	s_mov_b32 s13, -1
	s_cbranch_scc1 .LBB103_44
.LBB103_33:                             ;   in Loop: Header=BB103_11 Depth=1
	s_cmp_eq_u32 s31, 0
	s_cselect_b32 s28, -1, 0
	s_delay_alu instid0(SALU_CYCLE_1)
	s_and_not1_b32 vcc_lo, exec_lo, s28
	s_cbranch_vccz .LBB103_9
	s_branch .LBB103_45
.LBB103_34:                             ;   in Loop: Header=BB103_11 Depth=1
	v_cmp_le_i64_e64 s30, s[28:29], s[20:21]
	s_delay_alu instid0(VALU_DEP_1)
	s_and_b32 vcc_lo, exec_lo, s30
	s_mov_b32 s30, 0
	s_cbranch_vccz .LBB103_36
; %bb.35:                               ;   in Loop: Header=BB103_11 Depth=1
	s_cmp_lg_u64 s[28:29], s[20:21]
	s_mov_b32 s13, -1
	s_cselect_b32 s30, -1, 0
.LBB103_36:                             ;   in Loop: Header=BB103_11 Depth=1
	v_dual_mov_b32 v11, v3 :: v_dual_mov_b32 v10, v2
	v_dual_mov_b32 v9, v5 :: v_dual_mov_b32 v8, v4
	s_mov_b32 s31, 2
	s_and_b32 vcc_lo, exec_lo, s30
	s_cbranch_vccz .LBB103_31
.LBB103_37:                             ;   in Loop: Header=BB103_11 Depth=1
	s_and_saveexec_b32 s13, s3
	s_cbranch_execz .LBB103_40
; %bb.38:                               ;   in Loop: Header=BB103_11 Depth=1
	s_lshl_b64 s[30:31], s[28:29], 2
	s_delay_alu instid0(SALU_CYCLE_1)
	s_add_u32 s30, s7, s30
	s_addc_u32 s31, s33, s31
	global_load_b32 v8, v20, s[30:31] glc
	s_waitcnt vmcnt(0)
	v_cmp_ne_u32_e32 vcc_lo, 0, v8
	s_cbranch_vccnz .LBB103_40
.LBB103_39:                             ;   Parent Loop BB103_11 Depth=1
                                        ; =>  This Inner Loop Header: Depth=2
	global_load_b32 v8, v20, s[30:31] glc
	s_waitcnt vmcnt(0)
	v_cmp_eq_u32_e32 vcc_lo, 0, v8
	s_cbranch_vccnz .LBB103_39
.LBB103_40:                             ;   in Loop: Header=BB103_11 Depth=1
	s_or_b32 exec_lo, exec_lo, s13
	v_mov_b32_e32 v10, 0
	v_mov_b32_e32 v11, 0
	s_waitcnt_vscnt null, 0x0
	s_barrier
	buffer_gl0_inv
	buffer_gl1_inv
	buffer_gl0_inv
	s_and_saveexec_b32 s13, s2
	s_cbranch_execz .LBB103_42
; %bb.41:                               ;   in Loop: Header=BB103_11 Depth=1
	s_mul_i32 s30, s28, s9
	s_mul_hi_u32 s31, s28, s8
	s_mul_i32 s29, s29, s8
	s_add_i32 s30, s31, s30
	s_mul_i32 s28, s28, s8
	s_add_i32 s29, s30, s29
	s_delay_alu instid0(SALU_CYCLE_1) | instskip(NEXT) | instid1(SALU_CYCLE_1)
	s_lshl_b64 s[28:29], s[28:29], 3
	v_add_co_u32 v8, vcc_lo, v12, s28
	v_add_co_ci_u32_e32 v9, vcc_lo, s29, v13, vcc_lo
	global_load_b64 v[8:9], v[8:9], off
	s_waitcnt vmcnt(0)
	v_fma_f64 v[10:11], -v[6:7], v[8:9], v[2:3]
.LBB103_42:                             ;   in Loop: Header=BB103_11 Depth=1
	s_or_b32 exec_lo, exec_lo, s13
	v_dual_mov_b32 v9, v5 :: v_dual_mov_b32 v8, v4
	s_mov_b32 s31, 0
	s_branch .LBB103_32
.LBB103_43:                             ;   in Loop: Header=BB103_11 Depth=1
	v_div_scale_f64 v[8:9], null, v[6:7], v[6:7], 1.0
	v_div_scale_f64 v[23:24], vcc_lo, 1.0, v[6:7], 1.0
	s_mov_b32 s31, 2
	s_delay_alu instid0(VALU_DEP_2) | instskip(SKIP_2) | instid1(VALU_DEP_1)
	v_rcp_f64_e32 v[10:11], v[8:9]
	s_waitcnt_depctr 0xfff
	v_fma_f64 v[21:22], -v[8:9], v[10:11], 1.0
	v_fma_f64 v[10:11], v[10:11], v[21:22], v[10:11]
	s_delay_alu instid0(VALU_DEP_1) | instskip(NEXT) | instid1(VALU_DEP_1)
	v_fma_f64 v[21:22], -v[8:9], v[10:11], 1.0
	v_fma_f64 v[10:11], v[10:11], v[21:22], v[10:11]
	s_delay_alu instid0(VALU_DEP_1) | instskip(NEXT) | instid1(VALU_DEP_1)
	v_mul_f64 v[21:22], v[23:24], v[10:11]
	v_fma_f64 v[8:9], -v[8:9], v[21:22], v[23:24]
	s_delay_alu instid0(VALU_DEP_1) | instskip(SKIP_1) | instid1(VALU_DEP_2)
	v_div_fmas_f64 v[8:9], v[8:9], v[10:11], v[21:22]
	v_dual_mov_b32 v11, v3 :: v_dual_mov_b32 v10, v2
	v_div_fixup_f64 v[6:7], v[8:9], v[6:7], 1.0
	s_delay_alu instid0(VALU_DEP_1) | instskip(NEXT) | instid1(VALU_DEP_2)
	v_cndmask_b32_e64 v9, v5, v7, s1
	v_cndmask_b32_e64 v8, v4, v6, s1
	s_cmp_gt_i32 s31, 3
	s_mov_b32 s13, -1
	s_cbranch_scc0 .LBB103_33
.LBB103_44:                             ;   in Loop: Header=BB103_11 Depth=1
	s_branch .LBB103_9
.LBB103_45:                             ;   in Loop: Header=BB103_11 Depth=1
                                        ; implicit-def: $sgpr26_sgpr27
	s_branch .LBB103_10
.LBB103_46:
	v_dual_mov_b32 v11, v3 :: v_dual_mov_b32 v10, v2
.LBB103_47:
	s_and_saveexec_b32 s0, s2
	s_cbranch_execz .LBB103_49
; %bb.48:
	s_delay_alu instid0(VALU_DEP_1) | instskip(SKIP_3) | instid1(VALU_DEP_1)
	v_mul_f64 v[1:2], v[8:9], v[10:11]
	s_cmp_eq_u32 s6, 0
	s_cselect_b32 vcc_lo, -1, 0
	s_lshl_b64 s[2:3], s[18:19], 3
	v_dual_cndmask_b32 v2, v11, v2 :: v_dual_cndmask_b32 v1, v10, v1
	v_add_co_u32 v3, vcc_lo, v12, s2
	v_add_co_ci_u32_e32 v4, vcc_lo, s3, v13, vcc_lo
	global_store_b64 v[3:4], v[1:2], off
.LBB103_49:
	s_or_b32 exec_lo, exec_lo, s0
	s_waitcnt_vscnt null, 0x0
	buffer_gl1_inv
	buffer_gl0_inv
	s_barrier
	buffer_gl0_inv
	s_mov_b32 s0, exec_lo
	v_cmpx_eq_u32_e32 0, v0
	s_cbranch_execz .LBB103_51
; %bb.50:
	s_lshl_b64 s[0:1], s[20:21], 2
	v_dual_mov_b32 v0, 0 :: v_dual_mov_b32 v1, 1
	s_add_u32 s2, s10, s0
	s_addc_u32 s3, s11, s1
	s_lshl_b64 s[0:1], s[16:17], 2
	s_delay_alu instid0(SALU_CYCLE_1)
	s_add_u32 s0, s2, s0
	s_addc_u32 s1, s3, s1
	global_store_b32 v0, v1, s[0:1]
.LBB103_51:
	s_nop 0
	s_sendmsg sendmsg(MSG_DEALLOC_VGPRS)
	s_endpgm
.LBB103_52:
                                        ; implicit-def: $sgpr24_sgpr25
	s_load_b64 s[22:23], s[0:1], 0x38
	s_branch .LBB103_4
	.section	.rodata,"a",@progbits
	.p2align	6, 0x0
	.amdhsa_kernel _ZN9rocsparseL5csrsmILj1024ELj64ELb0ElldEEv20rocsparse_operation_T3_S2_NS_24const_host_device_scalarIT4_EEPKT2_PKS2_PKS4_PS4_lPiSA_PS2_21rocsparse_index_base_20rocsparse_fill_mode_20rocsparse_diag_type_b
		.amdhsa_group_segment_fixed_size 16384
		.amdhsa_private_segment_fixed_size 0
		.amdhsa_kernarg_size 112
		.amdhsa_user_sgpr_count 15
		.amdhsa_user_sgpr_dispatch_ptr 0
		.amdhsa_user_sgpr_queue_ptr 0
		.amdhsa_user_sgpr_kernarg_segment_ptr 1
		.amdhsa_user_sgpr_dispatch_id 0
		.amdhsa_user_sgpr_private_segment_size 0
		.amdhsa_wavefront_size32 1
		.amdhsa_uses_dynamic_stack 0
		.amdhsa_enable_private_segment 0
		.amdhsa_system_sgpr_workgroup_id_x 1
		.amdhsa_system_sgpr_workgroup_id_y 0
		.amdhsa_system_sgpr_workgroup_id_z 0
		.amdhsa_system_sgpr_workgroup_info 0
		.amdhsa_system_vgpr_workitem_id 0
		.amdhsa_next_free_vgpr 25
		.amdhsa_next_free_sgpr 35
		.amdhsa_reserve_vcc 1
		.amdhsa_float_round_mode_32 0
		.amdhsa_float_round_mode_16_64 0
		.amdhsa_float_denorm_mode_32 3
		.amdhsa_float_denorm_mode_16_64 3
		.amdhsa_dx10_clamp 1
		.amdhsa_ieee_mode 1
		.amdhsa_fp16_overflow 0
		.amdhsa_workgroup_processor_mode 1
		.amdhsa_memory_ordered 1
		.amdhsa_forward_progress 0
		.amdhsa_shared_vgpr_count 0
		.amdhsa_exception_fp_ieee_invalid_op 0
		.amdhsa_exception_fp_denorm_src 0
		.amdhsa_exception_fp_ieee_div_zero 0
		.amdhsa_exception_fp_ieee_overflow 0
		.amdhsa_exception_fp_ieee_underflow 0
		.amdhsa_exception_fp_ieee_inexact 0
		.amdhsa_exception_int_div_zero 0
	.end_amdhsa_kernel
	.section	.text._ZN9rocsparseL5csrsmILj1024ELj64ELb0ElldEEv20rocsparse_operation_T3_S2_NS_24const_host_device_scalarIT4_EEPKT2_PKS2_PKS4_PS4_lPiSA_PS2_21rocsparse_index_base_20rocsparse_fill_mode_20rocsparse_diag_type_b,"axG",@progbits,_ZN9rocsparseL5csrsmILj1024ELj64ELb0ElldEEv20rocsparse_operation_T3_S2_NS_24const_host_device_scalarIT4_EEPKT2_PKS2_PKS4_PS4_lPiSA_PS2_21rocsparse_index_base_20rocsparse_fill_mode_20rocsparse_diag_type_b,comdat
.Lfunc_end103:
	.size	_ZN9rocsparseL5csrsmILj1024ELj64ELb0ElldEEv20rocsparse_operation_T3_S2_NS_24const_host_device_scalarIT4_EEPKT2_PKS2_PKS4_PS4_lPiSA_PS2_21rocsparse_index_base_20rocsparse_fill_mode_20rocsparse_diag_type_b, .Lfunc_end103-_ZN9rocsparseL5csrsmILj1024ELj64ELb0ElldEEv20rocsparse_operation_T3_S2_NS_24const_host_device_scalarIT4_EEPKT2_PKS2_PKS4_PS4_lPiSA_PS2_21rocsparse_index_base_20rocsparse_fill_mode_20rocsparse_diag_type_b
                                        ; -- End function
	.section	.AMDGPU.csdata,"",@progbits
; Kernel info:
; codeLenInByte = 2540
; NumSgprs: 37
; NumVgprs: 25
; ScratchSize: 0
; MemoryBound: 0
; FloatMode: 240
; IeeeMode: 1
; LDSByteSize: 16384 bytes/workgroup (compile time only)
; SGPRBlocks: 4
; VGPRBlocks: 3
; NumSGPRsForWavesPerEU: 37
; NumVGPRsForWavesPerEU: 25
; Occupancy: 16
; WaveLimiterHint : 1
; COMPUTE_PGM_RSRC2:SCRATCH_EN: 0
; COMPUTE_PGM_RSRC2:USER_SGPR: 15
; COMPUTE_PGM_RSRC2:TRAP_HANDLER: 0
; COMPUTE_PGM_RSRC2:TGID_X_EN: 1
; COMPUTE_PGM_RSRC2:TGID_Y_EN: 0
; COMPUTE_PGM_RSRC2:TGID_Z_EN: 0
; COMPUTE_PGM_RSRC2:TIDIG_COMP_CNT: 0
	.section	.text._ZN9rocsparseL5csrsmILj64ELj64ELb1Ell21rocsparse_complex_numIfEEEv20rocsparse_operation_T3_S4_NS_24const_host_device_scalarIT4_EEPKT2_PKS4_PKS6_PS6_lPiSC_PS4_21rocsparse_index_base_20rocsparse_fill_mode_20rocsparse_diag_type_b,"axG",@progbits,_ZN9rocsparseL5csrsmILj64ELj64ELb1Ell21rocsparse_complex_numIfEEEv20rocsparse_operation_T3_S4_NS_24const_host_device_scalarIT4_EEPKT2_PKS4_PKS6_PS6_lPiSC_PS4_21rocsparse_index_base_20rocsparse_fill_mode_20rocsparse_diag_type_b,comdat
	.globl	_ZN9rocsparseL5csrsmILj64ELj64ELb1Ell21rocsparse_complex_numIfEEEv20rocsparse_operation_T3_S4_NS_24const_host_device_scalarIT4_EEPKT2_PKS4_PKS6_PS6_lPiSC_PS4_21rocsparse_index_base_20rocsparse_fill_mode_20rocsparse_diag_type_b ; -- Begin function _ZN9rocsparseL5csrsmILj64ELj64ELb1Ell21rocsparse_complex_numIfEEEv20rocsparse_operation_T3_S4_NS_24const_host_device_scalarIT4_EEPKT2_PKS4_PKS6_PS6_lPiSC_PS4_21rocsparse_index_base_20rocsparse_fill_mode_20rocsparse_diag_type_b
	.p2align	8
	.type	_ZN9rocsparseL5csrsmILj64ELj64ELb1Ell21rocsparse_complex_numIfEEEv20rocsparse_operation_T3_S4_NS_24const_host_device_scalarIT4_EEPKT2_PKS4_PKS6_PS6_lPiSC_PS4_21rocsparse_index_base_20rocsparse_fill_mode_20rocsparse_diag_type_b,@function
_ZN9rocsparseL5csrsmILj64ELj64ELb1Ell21rocsparse_complex_numIfEEEv20rocsparse_operation_T3_S4_NS_24const_host_device_scalarIT4_EEPKT2_PKS4_PKS6_PS6_lPiSC_PS4_21rocsparse_index_base_20rocsparse_fill_mode_20rocsparse_diag_type_b: ; @_ZN9rocsparseL5csrsmILj64ELj64ELb1Ell21rocsparse_complex_numIfEEEv20rocsparse_operation_T3_S4_NS_24const_host_device_scalarIT4_EEPKT2_PKS4_PKS6_PS6_lPiSC_PS4_21rocsparse_index_base_20rocsparse_fill_mode_20rocsparse_diag_type_b
; %bb.0:
	s_clause 0x2
	s_load_b128 s[4:7], s[0:1], 0x60
	s_load_b64 s[2:3], s[0:1], 0x18
	s_load_b128 s[8:11], s[0:1], 0x8
	s_waitcnt lgkmcnt(0)
	s_bitcmp1_b32 s7, 0
	s_cselect_b32 s7, -1, 0
	s_delay_alu instid0(SALU_CYCLE_1)
	s_xor_b32 s12, s7, -1
	s_and_b32 vcc_lo, exec_lo, s7
	s_mov_b32 s7, s2
	s_cbranch_vccnz .LBB104_2
; %bb.1:
	s_load_b32 s7, s[2:3], 0x0
.LBB104_2:
	s_and_not1_b32 vcc_lo, exec_lo, s12
	s_cbranch_vccnz .LBB104_4
; %bb.3:
	s_load_b32 s3, s[2:3], 0x4
.LBB104_4:
	s_clause 0x1
	s_load_b64 s[16:17], s[0:1], 0x50
	s_load_b64 s[12:13], s[0:1], 0x20
	s_mov_b32 s18, 0
	s_mov_b32 s19, s9
	s_delay_alu instid0(SALU_CYCLE_1)
	s_cmp_lg_u64 s[18:19], 0
	s_cbranch_scc0 .LBB104_66
; %bb.5:
	s_ashr_i32 s20, s9, 31
	s_delay_alu instid0(SALU_CYCLE_1) | instskip(SKIP_2) | instid1(SALU_CYCLE_1)
	s_add_u32 s22, s8, s20
	s_mov_b32 s21, s20
	s_addc_u32 s23, s9, s20
	s_xor_b64 s[22:23], s[22:23], s[20:21]
	s_delay_alu instid0(SALU_CYCLE_1) | instskip(SKIP_3) | instid1(VALU_DEP_1)
	v_cvt_f32_u32_e32 v1, s22
	v_cvt_f32_u32_e32 v2, s23
	s_sub_u32 s19, 0, s22
	s_subb_u32 s24, 0, s23
	v_fmamk_f32 v1, v2, 0x4f800000, v1
	s_delay_alu instid0(VALU_DEP_1) | instskip(SKIP_2) | instid1(VALU_DEP_1)
	v_rcp_f32_e32 v1, v1
	s_waitcnt_depctr 0xfff
	v_mul_f32_e32 v1, 0x5f7ffffc, v1
	v_mul_f32_e32 v2, 0x2f800000, v1
	s_delay_alu instid0(VALU_DEP_1) | instskip(NEXT) | instid1(VALU_DEP_1)
	v_trunc_f32_e32 v2, v2
	v_fmamk_f32 v1, v2, 0xcf800000, v1
	v_cvt_u32_f32_e32 v2, v2
	s_delay_alu instid0(VALU_DEP_2) | instskip(NEXT) | instid1(VALU_DEP_2)
	v_cvt_u32_f32_e32 v1, v1
	v_readfirstlane_b32 s2, v2
	s_delay_alu instid0(VALU_DEP_2) | instskip(NEXT) | instid1(VALU_DEP_2)
	v_readfirstlane_b32 s14, v1
	s_mul_i32 s25, s19, s2
	s_delay_alu instid0(VALU_DEP_1)
	s_mul_hi_u32 s27, s19, s14
	s_mul_i32 s26, s24, s14
	s_add_i32 s25, s27, s25
	s_mul_i32 s28, s19, s14
	s_add_i32 s25, s25, s26
	s_mul_hi_u32 s27, s14, s28
	s_mul_hi_u32 s29, s2, s28
	s_mul_i32 s26, s2, s28
	s_mul_hi_u32 s28, s14, s25
	s_mul_i32 s14, s14, s25
	s_mul_hi_u32 s30, s2, s25
	s_add_u32 s14, s27, s14
	s_addc_u32 s27, 0, s28
	s_add_u32 s14, s14, s26
	s_mul_i32 s25, s2, s25
	s_addc_u32 s14, s27, s29
	s_addc_u32 s26, s30, 0
	s_add_u32 s14, s14, s25
	s_addc_u32 s25, 0, s26
	v_add_co_u32 v1, s14, v1, s14
	s_delay_alu instid0(VALU_DEP_1) | instskip(SKIP_1) | instid1(VALU_DEP_1)
	s_cmp_lg_u32 s14, 0
	s_addc_u32 s2, s2, s25
	v_readfirstlane_b32 s14, v1
	s_mul_i32 s25, s19, s2
	s_delay_alu instid0(VALU_DEP_1)
	s_mul_hi_u32 s26, s19, s14
	s_mul_i32 s24, s24, s14
	s_add_i32 s25, s26, s25
	s_mul_i32 s19, s19, s14
	s_add_i32 s25, s25, s24
	s_mul_hi_u32 s26, s2, s19
	s_mul_i32 s27, s2, s19
	s_mul_hi_u32 s19, s14, s19
	s_mul_hi_u32 s28, s14, s25
	s_mul_i32 s14, s14, s25
	s_mul_hi_u32 s24, s2, s25
	s_add_u32 s14, s19, s14
	s_addc_u32 s19, 0, s28
	s_add_u32 s14, s14, s27
	s_mul_i32 s25, s2, s25
	s_addc_u32 s14, s19, s26
	s_addc_u32 s19, s24, 0
	s_add_u32 s14, s14, s25
	s_addc_u32 s19, 0, s19
	v_add_co_u32 v1, s14, v1, s14
	s_delay_alu instid0(VALU_DEP_1) | instskip(SKIP_1) | instid1(VALU_DEP_1)
	s_cmp_lg_u32 s14, 0
	s_addc_u32 s2, s2, s19
	v_readfirstlane_b32 s14, v1
	s_mul_i32 s19, s15, s2
	s_mul_hi_u32 s2, s15, s2
	s_delay_alu instid0(VALU_DEP_1) | instskip(NEXT) | instid1(SALU_CYCLE_1)
	s_mul_hi_u32 s14, s15, s14
	s_add_u32 s14, s14, s19
	s_addc_u32 s2, 0, s2
	s_add_u32 s14, s14, 0
	s_addc_u32 s2, s2, 0
	s_addc_u32 s14, 0, 0
	s_add_u32 s2, s2, 0
	s_addc_u32 s14, 0, s14
	s_mul_hi_u32 s19, s22, s2
	s_mul_i32 s25, s22, s14
	s_mul_i32 s26, s22, s2
	s_add_i32 s19, s19, s25
	v_sub_co_u32 v1, s25, s15, s26
	s_mul_i32 s24, s23, s2
	s_delay_alu instid0(SALU_CYCLE_1) | instskip(NEXT) | instid1(VALU_DEP_1)
	s_add_i32 s19, s19, s24
	v_sub_co_u32 v2, s26, v1, s22
	s_sub_i32 s24, 0, s19
	s_cmp_lg_u32 s25, 0
	s_subb_u32 s24, s24, s23
	s_cmp_lg_u32 s26, 0
	v_readfirstlane_b32 s26, v2
	s_subb_u32 s24, s24, 0
	s_delay_alu instid0(SALU_CYCLE_1) | instskip(SKIP_1) | instid1(VALU_DEP_1)
	s_cmp_ge_u32 s24, s23
	s_cselect_b32 s27, -1, 0
	s_cmp_ge_u32 s26, s22
	s_cselect_b32 s26, -1, 0
	s_cmp_eq_u32 s24, s23
	s_cselect_b32 s24, s26, s27
	s_add_u32 s26, s2, 1
	s_addc_u32 s27, s14, 0
	s_add_u32 s28, s2, 2
	s_addc_u32 s29, s14, 0
	s_cmp_lg_u32 s24, 0
	s_cselect_b32 s24, s28, s26
	s_cselect_b32 s26, s29, s27
	s_cmp_lg_u32 s25, 0
	v_readfirstlane_b32 s25, v1
	s_subb_u32 s19, 0, s19
	s_delay_alu instid0(SALU_CYCLE_1) | instskip(SKIP_1) | instid1(VALU_DEP_1)
	s_cmp_ge_u32 s19, s23
	s_cselect_b32 s27, -1, 0
	s_cmp_ge_u32 s25, s22
	s_cselect_b32 s22, -1, 0
	s_cmp_eq_u32 s19, s23
	s_cselect_b32 s19, s22, s27
	s_delay_alu instid0(SALU_CYCLE_1) | instskip(SKIP_2) | instid1(SALU_CYCLE_1)
	s_cmp_lg_u32 s19, 0
	s_cselect_b32 s23, s26, s14
	s_cselect_b32 s22, s24, s2
	s_xor_b64 s[22:23], s[22:23], s[20:21]
	s_delay_alu instid0(SALU_CYCLE_1)
	s_sub_u32 s24, s22, s20
	s_subb_u32 s25, s23, s20
	s_load_b64 s[22:23], s[0:1], 0x38
	s_and_not1_b32 vcc_lo, exec_lo, s18
	s_cbranch_vccnz .LBB104_7
.LBB104_6:
	v_cvt_f32_u32_e32 v1, s8
	s_sub_i32 s14, 0, s8
	s_mov_b32 s25, 0
	s_delay_alu instid0(VALU_DEP_1) | instskip(SKIP_2) | instid1(VALU_DEP_1)
	v_rcp_iflag_f32_e32 v1, v1
	s_waitcnt_depctr 0xfff
	v_mul_f32_e32 v1, 0x4f7ffffe, v1
	v_cvt_u32_f32_e32 v1, v1
	s_delay_alu instid0(VALU_DEP_1) | instskip(NEXT) | instid1(VALU_DEP_1)
	v_readfirstlane_b32 s2, v1
	s_mul_i32 s14, s14, s2
	s_delay_alu instid0(SALU_CYCLE_1) | instskip(NEXT) | instid1(SALU_CYCLE_1)
	s_mul_hi_u32 s14, s2, s14
	s_add_i32 s2, s2, s14
	s_delay_alu instid0(SALU_CYCLE_1) | instskip(NEXT) | instid1(SALU_CYCLE_1)
	s_mul_hi_u32 s2, s15, s2
	s_mul_i32 s14, s2, s8
	s_add_i32 s18, s2, 1
	s_sub_i32 s14, s15, s14
	s_delay_alu instid0(SALU_CYCLE_1)
	s_sub_i32 s19, s14, s8
	s_cmp_ge_u32 s14, s8
	s_cselect_b32 s2, s18, s2
	s_cselect_b32 s14, s19, s14
	s_add_i32 s18, s2, 1
	s_cmp_ge_u32 s14, s8
	s_cselect_b32 s24, s18, s2
.LBB104_7:
	s_delay_alu instid0(SALU_CYCLE_1)
	s_mul_i32 s2, s24, s9
	s_mul_hi_u32 s9, s24, s8
	s_load_b32 s26, s[0:1], 0x0
	s_add_i32 s2, s9, s2
	s_mul_i32 s9, s25, s8
	s_mul_i32 s8, s24, s8
	s_add_i32 s9, s2, s9
	s_sub_u32 s14, s15, s8
	s_subb_u32 s15, 0, s9
	v_mov_b32_e32 v1, 0
	s_lshl_b64 s[14:15], s[14:15], 3
	s_waitcnt lgkmcnt(0)
	s_add_u32 s14, s16, s14
	s_addc_u32 s15, s17, s15
	s_load_b64 s[16:17], s[14:15], 0x0
	s_load_b64 s[20:21], s[0:1], 0x40
	s_waitcnt lgkmcnt(0)
	s_lshl_b64 s[14:15], s[16:17], 3
	s_mul_i32 s2, s16, s21
	s_add_u32 s12, s12, s14
	s_addc_u32 s13, s13, s15
	s_lshl_b64 s[24:25], s[24:25], 6
	s_load_b128 s[12:15], s[12:13], 0x0
	s_mul_hi_u32 s18, s16, s20
	v_or_b32_e32 v2, s24, v0
	v_mov_b32_e32 v3, s25
	s_add_i32 s2, s18, s2
	s_mul_i32 s18, s17, s20
	v_mov_b32_e32 v5, s25
	s_add_i32 s19, s2, s18
	s_mul_i32 s18, s16, s20
	v_cmp_gt_i64_e64 s2, s[10:11], v[2:3]
	v_add_co_u32 v4, vcc_lo, v2, s18
	v_add_co_ci_u32_e32 v5, vcc_lo, s19, v5, vcc_lo
	s_cmpk_lg_i32 s26, 0x71
	s_cbranch_scc0 .LBB104_11
; %bb.8:
	v_mov_b32_e32 v8, v1
	v_mov_b32_e32 v9, v1
	s_mov_b32 s24, 0
	s_and_saveexec_b32 s10, s2
	s_cbranch_execz .LBB104_10
; %bb.9:
	v_lshlrev_b64 v[6:7], 3, v[4:5]
	s_delay_alu instid0(VALU_DEP_1) | instskip(NEXT) | instid1(VALU_DEP_2)
	v_add_co_u32 v6, vcc_lo, s22, v6
	v_add_co_ci_u32_e32 v7, vcc_lo, s23, v7, vcc_lo
	global_load_b64 v[6:7], v[6:7], off
	s_waitcnt vmcnt(0)
	v_mul_f32_e64 v9, v7, -s3
	s_delay_alu instid0(VALU_DEP_1) | instskip(NEXT) | instid1(VALU_DEP_1)
	v_dual_mul_f32 v8, s7, v7 :: v_dual_fmac_f32 v9, s7, v6
	v_fmac_f32_e32 v8, s3, v6
.LBB104_10:
	s_or_b32 exec_lo, exec_lo, s10
	s_load_b64 s[10:11], s[0:1], 0x48
	s_and_not1_b32 vcc_lo, exec_lo, s24
	s_cbranch_vccz .LBB104_12
	s_branch .LBB104_15
.LBB104_11:
                                        ; implicit-def: $vgpr8
                                        ; implicit-def: $vgpr9
	s_load_b64 s[10:11], s[0:1], 0x48
.LBB104_12:
	v_dual_mov_b32 v8, 0 :: v_dual_mov_b32 v9, 0
	s_and_saveexec_b32 s24, s2
	s_cbranch_execz .LBB104_14
; %bb.13:
	v_lshlrev_b64 v[4:5], 3, v[4:5]
	s_delay_alu instid0(VALU_DEP_1) | instskip(NEXT) | instid1(VALU_DEP_2)
	v_add_co_u32 v4, vcc_lo, s22, v4
	v_add_co_ci_u32_e32 v5, vcc_lo, s23, v5, vcc_lo
	global_load_b64 v[4:5], v[4:5], off
	s_waitcnt vmcnt(0)
	v_mul_f32_e64 v8, s7, -v5
	s_delay_alu instid0(VALU_DEP_1) | instskip(NEXT) | instid1(VALU_DEP_1)
	v_dual_mul_f32 v9, s3, v5 :: v_dual_fmac_f32 v8, s3, v4
	v_fmac_f32_e32 v9, s7, v4
.LBB104_14:
	s_or_b32 exec_lo, exec_lo, s24
.LBB104_15:
	v_lshlrev_b64 v[2:3], 3, v[2:3]
	s_waitcnt lgkmcnt(0)
	v_cmp_ge_i64_e64 s3, s[12:13], s[14:15]
	s_delay_alu instid0(VALU_DEP_2) | instskip(NEXT) | instid1(VALU_DEP_3)
	v_add_co_u32 v6, vcc_lo, s22, v2
	v_add_co_ci_u32_e32 v7, vcc_lo, s23, v3, vcc_lo
	s_delay_alu instid0(VALU_DEP_3)
	s_and_b32 vcc_lo, exec_lo, s3
	v_cmp_eq_u32_e64 s3, 0, v0
	s_cbranch_vccnz .LBB104_60
; %bb.16:
	s_clause 0x1
	s_load_b128 s[24:27], s[0:1], 0x28
	s_load_b64 s[22:23], s[0:1], 0x58
	v_dual_mov_b32 v11, 0 :: v_dual_lshlrev_b32 v10, 3, v0
	s_lshl_b64 s[0:1], s[8:9], 2
	v_dual_mov_b32 v17, 1.0 :: v_dual_mov_b32 v18, 0
	s_add_u32 s7, s10, s0
	s_addc_u32 s28, s11, s1
	s_sub_u32 s12, s12, s4
	s_subb_u32 s13, s13, 0
	s_sub_u32 s14, s14, s4
	s_subb_u32 s15, s15, 0
	v_or_b32_e32 v12, 0x200, v10
	s_cmp_eq_u32 s6, 0
	s_cselect_b32 s29, -1, 0
	s_waitcnt lgkmcnt(0)
	v_add_co_u32 v13, s0, s24, v10
	s_delay_alu instid0(VALU_DEP_1) | instskip(SKIP_1) | instid1(VALU_DEP_1)
	v_add_co_ci_u32_e64 v14, null, s25, 0, s0
	v_add_co_u32 v15, s0, s26, v10
	v_add_co_ci_u32_e64 v16, null, s27, 0, s0
	s_add_u32 s24, s16, s4
	s_addc_u32 s25, s17, 0
	s_mov_b64 s[26:27], s[12:13]
	s_branch .LBB104_19
.LBB104_17:                             ;   in Loop: Header=BB104_19 Depth=1
	s_add_u32 s26, s26, 1
	s_addc_u32 s27, s27, 0
	s_delay_alu instid0(SALU_CYCLE_1)
	v_cmp_ge_i64_e64 s1, s[26:27], s[14:15]
.LBB104_18:                             ;   in Loop: Header=BB104_19 Depth=1
	v_dual_mov_b32 v8, v21 :: v_dual_mov_b32 v9, v22
	v_dual_mov_b32 v18, v4 :: v_dual_mov_b32 v17, v5
	s_delay_alu instid0(VALU_DEP_3)
	s_and_not1_b32 vcc_lo, exec_lo, s1
	s_cbranch_vccz .LBB104_61
.LBB104_19:                             ; =>This Loop Header: Depth=1
                                        ;     Child Loop BB104_58 Depth 2
                                        ;       Child Loop BB104_59 Depth 3
	s_sub_i32 s0, s26, s12
	s_delay_alu instid0(SALU_CYCLE_1) | instskip(NEXT) | instid1(SALU_CYCLE_1)
	s_and_b32 s0, s0, 63
	s_cmp_lg_u32 s0, 0
	s_cbranch_scc1 .LBB104_23
; %bb.20:                               ;   in Loop: Header=BB104_19 Depth=1
	v_dual_mov_b32 v4, -1 :: v_dual_mov_b32 v3, 0
	v_dual_mov_b32 v5, -1 :: v_dual_mov_b32 v2, -1.0
	s_sub_u32 s30, s14, s26
	s_subb_u32 s31, s15, s27
	s_mov_b32 s1, exec_lo
	v_cmpx_gt_i64_e64 s[30:31], v[0:1]
	s_cbranch_execz .LBB104_22
; %bb.21:                               ;   in Loop: Header=BB104_19 Depth=1
	s_lshl_b64 s[30:31], s[26:27], 3
	s_delay_alu instid0(SALU_CYCLE_1)
	v_add_co_u32 v2, vcc_lo, v13, s30
	v_add_co_ci_u32_e32 v3, vcc_lo, s31, v14, vcc_lo
	global_load_b64 v[4:5], v[2:3], off
	v_add_co_u32 v2, vcc_lo, v15, s30
	v_add_co_ci_u32_e32 v3, vcc_lo, s31, v16, vcc_lo
	global_load_b64 v[2:3], v[2:3], off
	s_waitcnt vmcnt(1)
	v_sub_co_u32 v4, vcc_lo, v4, s4
	v_subrev_co_ci_u32_e32 v5, vcc_lo, 0, v5, vcc_lo
.LBB104_22:                             ;   in Loop: Header=BB104_19 Depth=1
	s_or_b32 exec_lo, exec_lo, s1
	ds_store_b64 v10, v[4:5]
	s_waitcnt vmcnt(0)
	ds_store_b64 v12, v[2:3]
.LBB104_23:                             ;   in Loop: Header=BB104_19 Depth=1
	s_lshl_b32 s0, s0, 3
	s_waitcnt lgkmcnt(0)
	v_mov_b32_e32 v2, s0
	s_waitcnt_vscnt null, 0x0
	s_barrier
	buffer_gl0_inv
	ds_load_2addr_stride64_b64 v[2:5], v2 offset1:1
	s_waitcnt lgkmcnt(0)
	v_cmp_eq_f32_e32 vcc_lo, 0, v4
	v_cmp_eq_f32_e64 s1, 0, v5
	v_cmp_eq_u64_e64 s0, s[16:17], v[2:3]
	v_cmp_ne_u64_e64 s13, s[16:17], v[2:3]
	s_delay_alu instid0(VALU_DEP_3)
	s_and_b32 s1, vcc_lo, s1
	s_delay_alu instid0(VALU_DEP_2) | instid1(SALU_CYCLE_1)
	s_and_b32 s1, s1, s0
	s_delay_alu instid0(SALU_CYCLE_1) | instskip(NEXT) | instid1(SALU_CYCLE_1)
	s_and_b32 s1, s29, s1
	v_cndmask_b32_e64 v19, v5, 0, s1
	v_cndmask_b32_e64 v20, v4, 1.0, s1
	s_and_b32 s30, s3, s1
	s_delay_alu instid0(SALU_CYCLE_1)
	s_and_saveexec_b32 s1, s30
	s_cbranch_execz .LBB104_27
; %bb.24:                               ;   in Loop: Header=BB104_19 Depth=1
	v_mbcnt_lo_u32_b32 v4, exec_lo, 0
	s_mov_b32 s30, exec_lo
	s_delay_alu instid0(VALU_DEP_1)
	v_cmpx_eq_u32_e32 0, v4
	s_cbranch_execz .LBB104_26
; %bb.25:                               ;   in Loop: Header=BB104_19 Depth=1
	v_dual_mov_b32 v4, s24 :: v_dual_mov_b32 v5, s25
	global_atomic_min_u64 v11, v[4:5], s[22:23]
.LBB104_26:                             ;   in Loop: Header=BB104_19 Depth=1
	s_or_b32 exec_lo, exec_lo, s30
	v_dual_mov_b32 v19, 0 :: v_dual_mov_b32 v20, 1.0
.LBB104_27:                             ;   in Loop: Header=BB104_19 Depth=1
	s_or_b32 exec_lo, exec_lo, s1
	s_cmp_lt_i32 s5, 1
	s_mov_b32 s1, 0
	s_cbranch_scc1 .LBB104_33
; %bb.28:                               ;   in Loop: Header=BB104_19 Depth=1
	s_cmp_eq_u32 s5, 1
	s_cbranch_scc0 .LBB104_34
; %bb.29:                               ;   in Loop: Header=BB104_19 Depth=1
	v_cmp_le_i64_e32 vcc_lo, s[16:17], v[2:3]
	v_dual_mov_b32 v4, v18 :: v_dual_mov_b32 v5, v17
	s_mov_b32 s30, 0
	s_cbranch_vccz .LBB104_36
; %bb.30:                               ;   in Loop: Header=BB104_19 Depth=1
	s_and_b32 vcc_lo, exec_lo, s0
	s_cbranch_vccz .LBB104_35
; %bb.31:                               ;   in Loop: Header=BB104_19 Depth=1
	v_dual_mov_b32 v4, v18 :: v_dual_mov_b32 v5, v17
	s_and_not1_b32 vcc_lo, exec_lo, s29
	s_cbranch_vccnz .LBB104_36
; %bb.32:                               ;   in Loop: Header=BB104_19 Depth=1
	v_mul_f32_e32 v4, v19, v19
	s_delay_alu instid0(VALU_DEP_1) | instskip(NEXT) | instid1(VALU_DEP_1)
	v_fmac_f32_e32 v4, v20, v20
	v_div_scale_f32 v5, null, v4, v4, 1.0
	v_div_scale_f32 v23, vcc_lo, 1.0, v4, 1.0
	s_delay_alu instid0(VALU_DEP_2) | instskip(SKIP_2) | instid1(VALU_DEP_1)
	v_rcp_f32_e32 v21, v5
	s_waitcnt_depctr 0xfff
	v_fma_f32 v22, -v5, v21, 1.0
	v_fmac_f32_e32 v21, v22, v21
	s_delay_alu instid0(VALU_DEP_1) | instskip(NEXT) | instid1(VALU_DEP_1)
	v_mul_f32_e32 v22, v23, v21
	v_fma_f32 v24, -v5, v22, v23
	s_delay_alu instid0(VALU_DEP_1) | instskip(NEXT) | instid1(VALU_DEP_1)
	v_fmac_f32_e32 v22, v24, v21
	v_fma_f32 v5, -v5, v22, v23
	s_delay_alu instid0(VALU_DEP_1) | instskip(SKIP_2) | instid1(VALU_DEP_3)
	v_div_fmas_f32 v5, v5, v21, v22
	v_fma_f32 v21, 0, v19, v20
	v_fma_f32 v22, v20, 0, -v19
	v_div_fixup_f32 v4, v5, v4, 1.0
	s_delay_alu instid0(VALU_DEP_1) | instskip(NEXT) | instid1(VALU_DEP_3)
	v_mul_f32_e32 v5, v21, v4
	v_mul_f32_e32 v4, v22, v4
	s_branch .LBB104_36
.LBB104_33:                             ;   in Loop: Header=BB104_19 Depth=1
	s_mov_b32 s30, 0
                                        ; implicit-def: $sgpr0
                                        ; implicit-def: $vgpr21
                                        ; implicit-def: $vgpr22
                                        ; implicit-def: $vgpr4
                                        ; implicit-def: $vgpr5
	s_cbranch_execnz .LBB104_37
	s_branch .LBB104_39
.LBB104_34:                             ;   in Loop: Header=BB104_19 Depth=1
	s_mov_b32 s30, -1
                                        ; implicit-def: $sgpr0
                                        ; implicit-def: $vgpr21
                                        ; implicit-def: $vgpr22
                                        ; implicit-def: $vgpr4
                                        ; implicit-def: $vgpr5
	s_branch .LBB104_39
.LBB104_35:                             ;   in Loop: Header=BB104_19 Depth=1
	s_mov_b32 s30, -1
                                        ; implicit-def: $vgpr4
                                        ; implicit-def: $vgpr5
.LBB104_36:                             ;   in Loop: Header=BB104_19 Depth=1
	v_dual_mov_b32 v21, v8 :: v_dual_mov_b32 v22, v9
	s_mov_b32 s0, 4
	s_branch .LBB104_39
.LBB104_37:                             ;   in Loop: Header=BB104_19 Depth=1
	s_cmp_eq_u32 s5, 0
	s_cbranch_scc1 .LBB104_43
; %bb.38:                               ;   in Loop: Header=BB104_19 Depth=1
	s_mov_b32 s30, -1
                                        ; implicit-def: $sgpr0
                                        ; implicit-def: $vgpr21
                                        ; implicit-def: $vgpr22
                                        ; implicit-def: $vgpr4
                                        ; implicit-def: $vgpr5
.LBB104_39:                             ;   in Loop: Header=BB104_19 Depth=1
	s_delay_alu instid0(SALU_CYCLE_1)
	s_and_b32 vcc_lo, exec_lo, s30
	s_cbranch_vccnz .LBB104_46
.LBB104_40:                             ;   in Loop: Header=BB104_19 Depth=1
	s_and_b32 vcc_lo, exec_lo, s1
	s_cbranch_vccnz .LBB104_51
.LBB104_41:                             ;   in Loop: Header=BB104_19 Depth=1
	s_cmp_gt_i32 s0, 3
	s_mov_b32 s1, -1
	s_cbranch_scc1 .LBB104_54
.LBB104_42:                             ;   in Loop: Header=BB104_19 Depth=1
	s_cmp_eq_u32 s0, 0
	s_cselect_b32 s0, -1, 0
	s_delay_alu instid0(SALU_CYCLE_1)
	s_and_not1_b32 vcc_lo, exec_lo, s0
	s_cbranch_vccz .LBB104_17
	s_branch .LBB104_55
.LBB104_43:                             ;   in Loop: Header=BB104_19 Depth=1
	v_cmp_ge_i64_e32 vcc_lo, s[16:17], v[2:3]
	s_mov_b32 s30, 0
	s_cbranch_vccz .LBB104_45
; %bb.44:                               ;   in Loop: Header=BB104_19 Depth=1
	s_mov_b32 s1, -1
	s_mov_b32 s30, s13
.LBB104_45:                             ;   in Loop: Header=BB104_19 Depth=1
	v_dual_mov_b32 v21, v8 :: v_dual_mov_b32 v22, v9
	v_dual_mov_b32 v4, v18 :: v_dual_mov_b32 v5, v17
	s_mov_b32 s0, 2
	s_and_b32 vcc_lo, exec_lo, s30
	s_cbranch_vccz .LBB104_40
.LBB104_46:                             ;   in Loop: Header=BB104_19 Depth=1
	s_and_saveexec_b32 s0, s3
	s_cbranch_execz .LBB104_48
; %bb.47:                               ;   in Loop: Header=BB104_19 Depth=1
	v_lshlrev_b64 v[4:5], 2, v[2:3]
	s_delay_alu instid0(VALU_DEP_1) | instskip(NEXT) | instid1(VALU_DEP_2)
	v_add_co_u32 v4, vcc_lo, s7, v4
	v_add_co_ci_u32_e32 v5, vcc_lo, s28, v5, vcc_lo
	global_load_b32 v21, v[4:5], off glc
	s_waitcnt vmcnt(0)
	v_cmp_ne_u32_e32 vcc_lo, 0, v21
	s_cbranch_vccz .LBB104_56
.LBB104_48:                             ;   in Loop: Header=BB104_19 Depth=1
	s_or_b32 exec_lo, exec_lo, s0
	v_dual_mov_b32 v21, 0 :: v_dual_mov_b32 v22, 0
	s_mov_b32 s1, 0
	s_waitcnt_vscnt null, 0x0
	s_barrier
	buffer_gl0_inv
	buffer_gl1_inv
	buffer_gl0_inv
	s_and_saveexec_b32 s0, s2
	s_cbranch_execz .LBB104_50
; %bb.49:                               ;   in Loop: Header=BB104_19 Depth=1
	v_mul_lo_u32 v4, v2, s21
	v_mul_hi_u32 v5, v2, s20
	v_mul_lo_u32 v3, v3, s20
	v_mul_lo_u32 v2, v2, s20
	s_delay_alu instid0(VALU_DEP_3) | instskip(NEXT) | instid1(VALU_DEP_1)
	v_add_nc_u32_e32 v4, v5, v4
	v_add_nc_u32_e32 v3, v4, v3
	s_delay_alu instid0(VALU_DEP_1) | instskip(NEXT) | instid1(VALU_DEP_1)
	v_lshlrev_b64 v[2:3], 3, v[2:3]
	v_add_co_u32 v2, vcc_lo, v6, v2
	s_delay_alu instid0(VALU_DEP_2) | instskip(SKIP_4) | instid1(VALU_DEP_2)
	v_add_co_ci_u32_e32 v3, vcc_lo, v7, v3, vcc_lo
	global_load_b64 v[2:3], v[2:3], off
	s_waitcnt vmcnt(0)
	v_fma_f32 v22, -v20, v2, v9
	v_fma_f32 v2, -v19, v2, v8
	v_fmac_f32_e32 v22, v19, v3
	s_delay_alu instid0(VALU_DEP_2)
	v_fma_f32 v21, -v20, v3, v2
.LBB104_50:                             ;   in Loop: Header=BB104_19 Depth=1
	s_or_b32 exec_lo, exec_lo, s0
	v_dual_mov_b32 v4, v18 :: v_dual_mov_b32 v5, v17
	s_mov_b32 s0, 0
	s_and_b32 vcc_lo, exec_lo, s1
	s_cbranch_vccz .LBB104_41
.LBB104_51:                             ;   in Loop: Header=BB104_19 Depth=1
	s_and_not1_b32 vcc_lo, exec_lo, s29
	s_cbranch_vccnz .LBB104_53
; %bb.52:                               ;   in Loop: Header=BB104_19 Depth=1
	v_mul_f32_e32 v2, v19, v19
	s_delay_alu instid0(VALU_DEP_1) | instskip(NEXT) | instid1(VALU_DEP_1)
	v_fmac_f32_e32 v2, v20, v20
	v_div_scale_f32 v3, null, v2, v2, 1.0
	v_div_scale_f32 v17, vcc_lo, 1.0, v2, 1.0
	s_delay_alu instid0(VALU_DEP_2) | instskip(SKIP_2) | instid1(VALU_DEP_1)
	v_rcp_f32_e32 v4, v3
	s_waitcnt_depctr 0xfff
	v_fma_f32 v5, -v3, v4, 1.0
	v_fmac_f32_e32 v4, v5, v4
	s_delay_alu instid0(VALU_DEP_1) | instskip(NEXT) | instid1(VALU_DEP_1)
	v_mul_f32_e32 v5, v17, v4
	v_fma_f32 v18, -v3, v5, v17
	s_delay_alu instid0(VALU_DEP_1) | instskip(NEXT) | instid1(VALU_DEP_1)
	v_fmac_f32_e32 v5, v18, v4
	v_fma_f32 v3, -v3, v5, v17
	s_delay_alu instid0(VALU_DEP_1) | instskip(SKIP_1) | instid1(VALU_DEP_2)
	v_div_fmas_f32 v3, v3, v4, v5
	v_fma_f32 v4, 0, v19, v20
	v_div_fixup_f32 v2, v3, v2, 1.0
	v_fma_f32 v3, v20, 0, -v19
	s_delay_alu instid0(VALU_DEP_2) | instskip(NEXT) | instid1(VALU_DEP_2)
	v_mul_f32_e32 v17, v4, v2
	v_mul_f32_e32 v18, v3, v2
.LBB104_53:                             ;   in Loop: Header=BB104_19 Depth=1
	s_delay_alu instid0(VALU_DEP_1) | instskip(SKIP_2) | instid1(SALU_CYCLE_1)
	v_dual_mov_b32 v5, v17 :: v_dual_mov_b32 v4, v18
	v_dual_mov_b32 v22, v9 :: v_dual_mov_b32 v21, v8
	s_mov_b32 s0, 2
	s_cmp_gt_i32 s0, 3
	s_mov_b32 s1, -1
	s_cbranch_scc0 .LBB104_42
.LBB104_54:                             ;   in Loop: Header=BB104_19 Depth=1
	s_branch .LBB104_17
.LBB104_55:                             ;   in Loop: Header=BB104_19 Depth=1
                                        ; implicit-def: $sgpr26_sgpr27
	s_branch .LBB104_18
.LBB104_56:                             ;   in Loop: Header=BB104_19 Depth=1
	s_mov_b32 s1, 0
	s_branch .LBB104_58
	.p2align	6
.LBB104_57:                             ;   in Loop: Header=BB104_58 Depth=2
	global_load_b32 v21, v[4:5], off glc
	s_cmpk_lt_u32 s1, 0xf43
	s_cselect_b32 s13, -1, 0
	s_delay_alu instid0(SALU_CYCLE_1)
	s_cmp_lg_u32 s13, 0
	s_addc_u32 s1, s1, 0
	s_waitcnt vmcnt(0)
	v_cmp_ne_u32_e32 vcc_lo, 0, v21
	s_cbranch_vccnz .LBB104_48
.LBB104_58:                             ;   Parent Loop BB104_19 Depth=1
                                        ; =>  This Loop Header: Depth=2
                                        ;       Child Loop BB104_59 Depth 3
	s_cmp_eq_u32 s1, 0
	s_mov_b32 s13, s1
	s_cbranch_scc1 .LBB104_57
.LBB104_59:                             ;   Parent Loop BB104_19 Depth=1
                                        ;     Parent Loop BB104_58 Depth=2
                                        ; =>    This Inner Loop Header: Depth=3
	s_add_i32 s13, s13, -1
	s_sleep 1
	s_cmp_eq_u32 s13, 0
	s_cbranch_scc0 .LBB104_59
	s_branch .LBB104_57
.LBB104_60:
	v_dual_mov_b32 v4, 0 :: v_dual_mov_b32 v5, 1.0
	s_and_saveexec_b32 s0, s2
	s_cbranch_execnz .LBB104_62
	s_branch .LBB104_63
.LBB104_61:
	v_dual_mov_b32 v8, v21 :: v_dual_mov_b32 v9, v22
	s_and_saveexec_b32 s0, s2
	s_cbranch_execz .LBB104_63
.LBB104_62:
	s_delay_alu instid0(VALU_DEP_1) | instskip(NEXT) | instid1(VALU_DEP_2)
	v_mul_f32_e32 v3, v4, v9
	v_mul_f32_e64 v10, v4, -v8
	s_lshl_b64 s[2:3], s[18:19], 3
	s_cmp_eq_u32 s6, 0
	v_add_co_u32 v1, vcc_lo, v6, s2
	v_fmac_f32_e32 v3, v8, v5
	v_fmac_f32_e32 v10, v9, v5
	v_add_co_ci_u32_e32 v2, vcc_lo, s3, v7, vcc_lo
	s_cselect_b32 vcc_lo, -1, 0
	s_delay_alu instid0(VALU_DEP_2)
	v_dual_cndmask_b32 v4, v8, v3 :: v_dual_cndmask_b32 v3, v9, v10
	global_store_b64 v[1:2], v[3:4], off
.LBB104_63:
	s_or_b32 exec_lo, exec_lo, s0
	s_waitcnt_vscnt null, 0x0
	buffer_gl1_inv
	buffer_gl0_inv
	s_barrier
	buffer_gl0_inv
	s_mov_b32 s0, exec_lo
	v_cmpx_eq_u32_e32 0, v0
	s_cbranch_execz .LBB104_65
; %bb.64:
	s_lshl_b64 s[0:1], s[16:17], 2
	v_dual_mov_b32 v0, 0 :: v_dual_mov_b32 v1, 1
	s_add_u32 s2, s10, s0
	s_addc_u32 s3, s11, s1
	s_lshl_b64 s[0:1], s[8:9], 2
	s_delay_alu instid0(SALU_CYCLE_1)
	s_add_u32 s0, s2, s0
	s_addc_u32 s1, s3, s1
	global_store_b32 v0, v1, s[0:1]
.LBB104_65:
	s_nop 0
	s_sendmsg sendmsg(MSG_DEALLOC_VGPRS)
	s_endpgm
.LBB104_66:
                                        ; implicit-def: $sgpr24_sgpr25
	s_load_b64 s[22:23], s[0:1], 0x38
	s_branch .LBB104_6
	.section	.rodata,"a",@progbits
	.p2align	6, 0x0
	.amdhsa_kernel _ZN9rocsparseL5csrsmILj64ELj64ELb1Ell21rocsparse_complex_numIfEEEv20rocsparse_operation_T3_S4_NS_24const_host_device_scalarIT4_EEPKT2_PKS4_PKS6_PS6_lPiSC_PS4_21rocsparse_index_base_20rocsparse_fill_mode_20rocsparse_diag_type_b
		.amdhsa_group_segment_fixed_size 1024
		.amdhsa_private_segment_fixed_size 0
		.amdhsa_kernarg_size 112
		.amdhsa_user_sgpr_count 15
		.amdhsa_user_sgpr_dispatch_ptr 0
		.amdhsa_user_sgpr_queue_ptr 0
		.amdhsa_user_sgpr_kernarg_segment_ptr 1
		.amdhsa_user_sgpr_dispatch_id 0
		.amdhsa_user_sgpr_private_segment_size 0
		.amdhsa_wavefront_size32 1
		.amdhsa_uses_dynamic_stack 0
		.amdhsa_enable_private_segment 0
		.amdhsa_system_sgpr_workgroup_id_x 1
		.amdhsa_system_sgpr_workgroup_id_y 0
		.amdhsa_system_sgpr_workgroup_id_z 0
		.amdhsa_system_sgpr_workgroup_info 0
		.amdhsa_system_vgpr_workitem_id 0
		.amdhsa_next_free_vgpr 25
		.amdhsa_next_free_sgpr 32
		.amdhsa_reserve_vcc 1
		.amdhsa_float_round_mode_32 0
		.amdhsa_float_round_mode_16_64 0
		.amdhsa_float_denorm_mode_32 3
		.amdhsa_float_denorm_mode_16_64 3
		.amdhsa_dx10_clamp 1
		.amdhsa_ieee_mode 1
		.amdhsa_fp16_overflow 0
		.amdhsa_workgroup_processor_mode 1
		.amdhsa_memory_ordered 1
		.amdhsa_forward_progress 0
		.amdhsa_shared_vgpr_count 0
		.amdhsa_exception_fp_ieee_invalid_op 0
		.amdhsa_exception_fp_denorm_src 0
		.amdhsa_exception_fp_ieee_div_zero 0
		.amdhsa_exception_fp_ieee_overflow 0
		.amdhsa_exception_fp_ieee_underflow 0
		.amdhsa_exception_fp_ieee_inexact 0
		.amdhsa_exception_int_div_zero 0
	.end_amdhsa_kernel
	.section	.text._ZN9rocsparseL5csrsmILj64ELj64ELb1Ell21rocsparse_complex_numIfEEEv20rocsparse_operation_T3_S4_NS_24const_host_device_scalarIT4_EEPKT2_PKS4_PKS6_PS6_lPiSC_PS4_21rocsparse_index_base_20rocsparse_fill_mode_20rocsparse_diag_type_b,"axG",@progbits,_ZN9rocsparseL5csrsmILj64ELj64ELb1Ell21rocsparse_complex_numIfEEEv20rocsparse_operation_T3_S4_NS_24const_host_device_scalarIT4_EEPKT2_PKS4_PKS6_PS6_lPiSC_PS4_21rocsparse_index_base_20rocsparse_fill_mode_20rocsparse_diag_type_b,comdat
.Lfunc_end104:
	.size	_ZN9rocsparseL5csrsmILj64ELj64ELb1Ell21rocsparse_complex_numIfEEEv20rocsparse_operation_T3_S4_NS_24const_host_device_scalarIT4_EEPKT2_PKS4_PKS6_PS6_lPiSC_PS4_21rocsparse_index_base_20rocsparse_fill_mode_20rocsparse_diag_type_b, .Lfunc_end104-_ZN9rocsparseL5csrsmILj64ELj64ELb1Ell21rocsparse_complex_numIfEEEv20rocsparse_operation_T3_S4_NS_24const_host_device_scalarIT4_EEPKT2_PKS4_PKS6_PS6_lPiSC_PS4_21rocsparse_index_base_20rocsparse_fill_mode_20rocsparse_diag_type_b
                                        ; -- End function
	.section	.AMDGPU.csdata,"",@progbits
; Kernel info:
; codeLenInByte = 2848
; NumSgprs: 34
; NumVgprs: 25
; ScratchSize: 0
; MemoryBound: 0
; FloatMode: 240
; IeeeMode: 1
; LDSByteSize: 1024 bytes/workgroup (compile time only)
; SGPRBlocks: 4
; VGPRBlocks: 3
; NumSGPRsForWavesPerEU: 34
; NumVGPRsForWavesPerEU: 25
; Occupancy: 16
; WaveLimiterHint : 1
; COMPUTE_PGM_RSRC2:SCRATCH_EN: 0
; COMPUTE_PGM_RSRC2:USER_SGPR: 15
; COMPUTE_PGM_RSRC2:TRAP_HANDLER: 0
; COMPUTE_PGM_RSRC2:TGID_X_EN: 1
; COMPUTE_PGM_RSRC2:TGID_Y_EN: 0
; COMPUTE_PGM_RSRC2:TGID_Z_EN: 0
; COMPUTE_PGM_RSRC2:TIDIG_COMP_CNT: 0
	.section	.text._ZN9rocsparseL5csrsmILj64ELj64ELb0Ell21rocsparse_complex_numIfEEEv20rocsparse_operation_T3_S4_NS_24const_host_device_scalarIT4_EEPKT2_PKS4_PKS6_PS6_lPiSC_PS4_21rocsparse_index_base_20rocsparse_fill_mode_20rocsparse_diag_type_b,"axG",@progbits,_ZN9rocsparseL5csrsmILj64ELj64ELb0Ell21rocsparse_complex_numIfEEEv20rocsparse_operation_T3_S4_NS_24const_host_device_scalarIT4_EEPKT2_PKS4_PKS6_PS6_lPiSC_PS4_21rocsparse_index_base_20rocsparse_fill_mode_20rocsparse_diag_type_b,comdat
	.globl	_ZN9rocsparseL5csrsmILj64ELj64ELb0Ell21rocsparse_complex_numIfEEEv20rocsparse_operation_T3_S4_NS_24const_host_device_scalarIT4_EEPKT2_PKS4_PKS6_PS6_lPiSC_PS4_21rocsparse_index_base_20rocsparse_fill_mode_20rocsparse_diag_type_b ; -- Begin function _ZN9rocsparseL5csrsmILj64ELj64ELb0Ell21rocsparse_complex_numIfEEEv20rocsparse_operation_T3_S4_NS_24const_host_device_scalarIT4_EEPKT2_PKS4_PKS6_PS6_lPiSC_PS4_21rocsparse_index_base_20rocsparse_fill_mode_20rocsparse_diag_type_b
	.p2align	8
	.type	_ZN9rocsparseL5csrsmILj64ELj64ELb0Ell21rocsparse_complex_numIfEEEv20rocsparse_operation_T3_S4_NS_24const_host_device_scalarIT4_EEPKT2_PKS4_PKS6_PS6_lPiSC_PS4_21rocsparse_index_base_20rocsparse_fill_mode_20rocsparse_diag_type_b,@function
_ZN9rocsparseL5csrsmILj64ELj64ELb0Ell21rocsparse_complex_numIfEEEv20rocsparse_operation_T3_S4_NS_24const_host_device_scalarIT4_EEPKT2_PKS4_PKS6_PS6_lPiSC_PS4_21rocsparse_index_base_20rocsparse_fill_mode_20rocsparse_diag_type_b: ; @_ZN9rocsparseL5csrsmILj64ELj64ELb0Ell21rocsparse_complex_numIfEEEv20rocsparse_operation_T3_S4_NS_24const_host_device_scalarIT4_EEPKT2_PKS4_PKS6_PS6_lPiSC_PS4_21rocsparse_index_base_20rocsparse_fill_mode_20rocsparse_diag_type_b
; %bb.0:
	s_clause 0x2
	s_load_b128 s[4:7], s[0:1], 0x60
	s_load_b64 s[2:3], s[0:1], 0x18
	s_load_b128 s[8:11], s[0:1], 0x8
	s_waitcnt lgkmcnt(0)
	s_bitcmp1_b32 s7, 0
	s_cselect_b32 s7, -1, 0
	s_delay_alu instid0(SALU_CYCLE_1)
	s_xor_b32 s12, s7, -1
	s_and_b32 vcc_lo, exec_lo, s7
	s_mov_b32 s7, s2
	s_cbranch_vccnz .LBB105_2
; %bb.1:
	s_load_b32 s7, s[2:3], 0x0
.LBB105_2:
	s_and_not1_b32 vcc_lo, exec_lo, s12
	s_cbranch_vccnz .LBB105_4
; %bb.3:
	s_load_b32 s3, s[2:3], 0x4
.LBB105_4:
	s_clause 0x1
	s_load_b64 s[16:17], s[0:1], 0x50
	s_load_b64 s[12:13], s[0:1], 0x20
	s_mov_b32 s18, 0
	s_mov_b32 s19, s9
	s_delay_alu instid0(SALU_CYCLE_1)
	s_cmp_lg_u64 s[18:19], 0
	s_cbranch_scc0 .LBB105_63
; %bb.5:
	s_ashr_i32 s20, s9, 31
	s_delay_alu instid0(SALU_CYCLE_1) | instskip(SKIP_2) | instid1(SALU_CYCLE_1)
	s_add_u32 s22, s8, s20
	s_mov_b32 s21, s20
	s_addc_u32 s23, s9, s20
	s_xor_b64 s[22:23], s[22:23], s[20:21]
	s_delay_alu instid0(SALU_CYCLE_1) | instskip(SKIP_3) | instid1(VALU_DEP_1)
	v_cvt_f32_u32_e32 v1, s22
	v_cvt_f32_u32_e32 v2, s23
	s_sub_u32 s19, 0, s22
	s_subb_u32 s24, 0, s23
	v_fmamk_f32 v1, v2, 0x4f800000, v1
	s_delay_alu instid0(VALU_DEP_1) | instskip(SKIP_2) | instid1(VALU_DEP_1)
	v_rcp_f32_e32 v1, v1
	s_waitcnt_depctr 0xfff
	v_mul_f32_e32 v1, 0x5f7ffffc, v1
	v_mul_f32_e32 v2, 0x2f800000, v1
	s_delay_alu instid0(VALU_DEP_1) | instskip(NEXT) | instid1(VALU_DEP_1)
	v_trunc_f32_e32 v2, v2
	v_fmamk_f32 v1, v2, 0xcf800000, v1
	v_cvt_u32_f32_e32 v2, v2
	s_delay_alu instid0(VALU_DEP_2) | instskip(NEXT) | instid1(VALU_DEP_2)
	v_cvt_u32_f32_e32 v1, v1
	v_readfirstlane_b32 s2, v2
	s_delay_alu instid0(VALU_DEP_2) | instskip(NEXT) | instid1(VALU_DEP_2)
	v_readfirstlane_b32 s14, v1
	s_mul_i32 s25, s19, s2
	s_delay_alu instid0(VALU_DEP_1)
	s_mul_hi_u32 s27, s19, s14
	s_mul_i32 s26, s24, s14
	s_add_i32 s25, s27, s25
	s_mul_i32 s28, s19, s14
	s_add_i32 s25, s25, s26
	s_mul_hi_u32 s27, s14, s28
	s_mul_hi_u32 s29, s2, s28
	s_mul_i32 s26, s2, s28
	s_mul_hi_u32 s28, s14, s25
	s_mul_i32 s14, s14, s25
	s_mul_hi_u32 s30, s2, s25
	s_add_u32 s14, s27, s14
	s_addc_u32 s27, 0, s28
	s_add_u32 s14, s14, s26
	s_mul_i32 s25, s2, s25
	s_addc_u32 s14, s27, s29
	s_addc_u32 s26, s30, 0
	s_add_u32 s14, s14, s25
	s_addc_u32 s25, 0, s26
	v_add_co_u32 v1, s14, v1, s14
	s_delay_alu instid0(VALU_DEP_1) | instskip(SKIP_1) | instid1(VALU_DEP_1)
	s_cmp_lg_u32 s14, 0
	s_addc_u32 s2, s2, s25
	v_readfirstlane_b32 s14, v1
	s_mul_i32 s25, s19, s2
	s_delay_alu instid0(VALU_DEP_1)
	s_mul_hi_u32 s26, s19, s14
	s_mul_i32 s24, s24, s14
	s_add_i32 s25, s26, s25
	s_mul_i32 s19, s19, s14
	s_add_i32 s25, s25, s24
	s_mul_hi_u32 s26, s2, s19
	s_mul_i32 s27, s2, s19
	s_mul_hi_u32 s19, s14, s19
	s_mul_hi_u32 s28, s14, s25
	s_mul_i32 s14, s14, s25
	s_mul_hi_u32 s24, s2, s25
	s_add_u32 s14, s19, s14
	s_addc_u32 s19, 0, s28
	s_add_u32 s14, s14, s27
	s_mul_i32 s25, s2, s25
	s_addc_u32 s14, s19, s26
	s_addc_u32 s19, s24, 0
	s_add_u32 s14, s14, s25
	s_addc_u32 s19, 0, s19
	v_add_co_u32 v1, s14, v1, s14
	s_delay_alu instid0(VALU_DEP_1) | instskip(SKIP_1) | instid1(VALU_DEP_1)
	s_cmp_lg_u32 s14, 0
	s_addc_u32 s2, s2, s19
	v_readfirstlane_b32 s14, v1
	s_mul_i32 s19, s15, s2
	s_mul_hi_u32 s2, s15, s2
	s_delay_alu instid0(VALU_DEP_1) | instskip(NEXT) | instid1(SALU_CYCLE_1)
	s_mul_hi_u32 s14, s15, s14
	s_add_u32 s14, s14, s19
	s_addc_u32 s2, 0, s2
	s_add_u32 s14, s14, 0
	s_addc_u32 s2, s2, 0
	s_addc_u32 s14, 0, 0
	s_add_u32 s2, s2, 0
	s_addc_u32 s14, 0, s14
	s_mul_hi_u32 s19, s22, s2
	s_mul_i32 s25, s22, s14
	s_mul_i32 s26, s22, s2
	s_add_i32 s19, s19, s25
	v_sub_co_u32 v1, s25, s15, s26
	s_mul_i32 s24, s23, s2
	s_delay_alu instid0(SALU_CYCLE_1) | instskip(NEXT) | instid1(VALU_DEP_1)
	s_add_i32 s19, s19, s24
	v_sub_co_u32 v2, s26, v1, s22
	s_sub_i32 s24, 0, s19
	s_cmp_lg_u32 s25, 0
	s_subb_u32 s24, s24, s23
	s_cmp_lg_u32 s26, 0
	v_readfirstlane_b32 s26, v2
	s_subb_u32 s24, s24, 0
	s_delay_alu instid0(SALU_CYCLE_1) | instskip(SKIP_1) | instid1(VALU_DEP_1)
	s_cmp_ge_u32 s24, s23
	s_cselect_b32 s27, -1, 0
	s_cmp_ge_u32 s26, s22
	s_cselect_b32 s26, -1, 0
	s_cmp_eq_u32 s24, s23
	s_cselect_b32 s24, s26, s27
	s_add_u32 s26, s2, 1
	s_addc_u32 s27, s14, 0
	s_add_u32 s28, s2, 2
	s_addc_u32 s29, s14, 0
	s_cmp_lg_u32 s24, 0
	s_cselect_b32 s24, s28, s26
	s_cselect_b32 s26, s29, s27
	s_cmp_lg_u32 s25, 0
	v_readfirstlane_b32 s25, v1
	s_subb_u32 s19, 0, s19
	s_delay_alu instid0(SALU_CYCLE_1) | instskip(SKIP_1) | instid1(VALU_DEP_1)
	s_cmp_ge_u32 s19, s23
	s_cselect_b32 s27, -1, 0
	s_cmp_ge_u32 s25, s22
	s_cselect_b32 s22, -1, 0
	s_cmp_eq_u32 s19, s23
	s_cselect_b32 s19, s22, s27
	s_delay_alu instid0(SALU_CYCLE_1) | instskip(SKIP_2) | instid1(SALU_CYCLE_1)
	s_cmp_lg_u32 s19, 0
	s_cselect_b32 s23, s26, s14
	s_cselect_b32 s22, s24, s2
	s_xor_b64 s[22:23], s[22:23], s[20:21]
	s_delay_alu instid0(SALU_CYCLE_1)
	s_sub_u32 s24, s22, s20
	s_subb_u32 s25, s23, s20
	s_load_b64 s[22:23], s[0:1], 0x38
	s_and_not1_b32 vcc_lo, exec_lo, s18
	s_cbranch_vccnz .LBB105_7
.LBB105_6:
	v_cvt_f32_u32_e32 v1, s8
	s_sub_i32 s14, 0, s8
	s_mov_b32 s25, 0
	s_delay_alu instid0(VALU_DEP_1) | instskip(SKIP_2) | instid1(VALU_DEP_1)
	v_rcp_iflag_f32_e32 v1, v1
	s_waitcnt_depctr 0xfff
	v_mul_f32_e32 v1, 0x4f7ffffe, v1
	v_cvt_u32_f32_e32 v1, v1
	s_delay_alu instid0(VALU_DEP_1) | instskip(NEXT) | instid1(VALU_DEP_1)
	v_readfirstlane_b32 s2, v1
	s_mul_i32 s14, s14, s2
	s_delay_alu instid0(SALU_CYCLE_1) | instskip(NEXT) | instid1(SALU_CYCLE_1)
	s_mul_hi_u32 s14, s2, s14
	s_add_i32 s2, s2, s14
	s_delay_alu instid0(SALU_CYCLE_1) | instskip(NEXT) | instid1(SALU_CYCLE_1)
	s_mul_hi_u32 s2, s15, s2
	s_mul_i32 s14, s2, s8
	s_add_i32 s18, s2, 1
	s_sub_i32 s14, s15, s14
	s_delay_alu instid0(SALU_CYCLE_1)
	s_sub_i32 s19, s14, s8
	s_cmp_ge_u32 s14, s8
	s_cselect_b32 s2, s18, s2
	s_cselect_b32 s14, s19, s14
	s_add_i32 s18, s2, 1
	s_cmp_ge_u32 s14, s8
	s_cselect_b32 s24, s18, s2
.LBB105_7:
	s_delay_alu instid0(SALU_CYCLE_1)
	s_mul_i32 s2, s24, s9
	s_mul_hi_u32 s9, s24, s8
	s_load_b32 s26, s[0:1], 0x0
	s_add_i32 s2, s9, s2
	s_mul_i32 s9, s25, s8
	s_mul_i32 s8, s24, s8
	s_add_i32 s9, s2, s9
	s_sub_u32 s14, s15, s8
	s_subb_u32 s15, 0, s9
	v_mov_b32_e32 v1, 0
	s_lshl_b64 s[14:15], s[14:15], 3
	s_waitcnt lgkmcnt(0)
	s_add_u32 s14, s16, s14
	s_addc_u32 s15, s17, s15
	s_load_b64 s[16:17], s[14:15], 0x0
	s_load_b64 s[20:21], s[0:1], 0x40
	s_waitcnt lgkmcnt(0)
	s_lshl_b64 s[14:15], s[16:17], 3
	s_mul_i32 s2, s16, s21
	s_add_u32 s12, s12, s14
	s_addc_u32 s13, s13, s15
	s_lshl_b64 s[24:25], s[24:25], 6
	s_load_b128 s[12:15], s[12:13], 0x0
	s_mul_hi_u32 s18, s16, s20
	v_or_b32_e32 v2, s24, v0
	v_mov_b32_e32 v3, s25
	s_add_i32 s2, s18, s2
	s_mul_i32 s18, s17, s20
	v_mov_b32_e32 v5, s25
	s_add_i32 s19, s2, s18
	s_mul_i32 s18, s16, s20
	v_cmp_gt_i64_e64 s2, s[10:11], v[2:3]
	v_add_co_u32 v4, vcc_lo, v2, s18
	v_add_co_ci_u32_e32 v5, vcc_lo, s19, v5, vcc_lo
	s_cmpk_lg_i32 s26, 0x71
	s_cbranch_scc0 .LBB105_11
; %bb.8:
	v_mov_b32_e32 v8, v1
	v_mov_b32_e32 v9, v1
	s_mov_b32 s24, 0
	s_and_saveexec_b32 s10, s2
	s_cbranch_execz .LBB105_10
; %bb.9:
	v_lshlrev_b64 v[6:7], 3, v[4:5]
	s_delay_alu instid0(VALU_DEP_1) | instskip(NEXT) | instid1(VALU_DEP_2)
	v_add_co_u32 v6, vcc_lo, s22, v6
	v_add_co_ci_u32_e32 v7, vcc_lo, s23, v7, vcc_lo
	global_load_b64 v[6:7], v[6:7], off
	s_waitcnt vmcnt(0)
	v_mul_f32_e64 v9, v7, -s3
	s_delay_alu instid0(VALU_DEP_1) | instskip(NEXT) | instid1(VALU_DEP_1)
	v_dual_mul_f32 v8, s7, v7 :: v_dual_fmac_f32 v9, s7, v6
	v_fmac_f32_e32 v8, s3, v6
.LBB105_10:
	s_or_b32 exec_lo, exec_lo, s10
	s_load_b64 s[10:11], s[0:1], 0x48
	s_and_not1_b32 vcc_lo, exec_lo, s24
	s_cbranch_vccz .LBB105_12
	s_branch .LBB105_15
.LBB105_11:
                                        ; implicit-def: $vgpr8
                                        ; implicit-def: $vgpr9
	s_load_b64 s[10:11], s[0:1], 0x48
.LBB105_12:
	v_dual_mov_b32 v8, 0 :: v_dual_mov_b32 v9, 0
	s_and_saveexec_b32 s24, s2
	s_cbranch_execz .LBB105_14
; %bb.13:
	v_lshlrev_b64 v[4:5], 3, v[4:5]
	s_delay_alu instid0(VALU_DEP_1) | instskip(NEXT) | instid1(VALU_DEP_2)
	v_add_co_u32 v4, vcc_lo, s22, v4
	v_add_co_ci_u32_e32 v5, vcc_lo, s23, v5, vcc_lo
	global_load_b64 v[4:5], v[4:5], off
	s_waitcnt vmcnt(0)
	v_mul_f32_e64 v8, s7, -v5
	s_delay_alu instid0(VALU_DEP_1) | instskip(NEXT) | instid1(VALU_DEP_1)
	v_dual_mul_f32 v9, s3, v5 :: v_dual_fmac_f32 v8, s3, v4
	v_fmac_f32_e32 v9, s7, v4
.LBB105_14:
	s_or_b32 exec_lo, exec_lo, s24
.LBB105_15:
	v_lshlrev_b64 v[2:3], 3, v[2:3]
	s_waitcnt lgkmcnt(0)
	v_cmp_ge_i64_e64 s3, s[12:13], s[14:15]
	s_delay_alu instid0(VALU_DEP_2) | instskip(NEXT) | instid1(VALU_DEP_3)
	v_add_co_u32 v6, vcc_lo, s22, v2
	v_add_co_ci_u32_e32 v7, vcc_lo, s23, v3, vcc_lo
	s_delay_alu instid0(VALU_DEP_3)
	s_and_b32 vcc_lo, exec_lo, s3
	v_cmp_eq_u32_e64 s3, 0, v0
	s_cbranch_vccnz .LBB105_57
; %bb.16:
	s_clause 0x1
	s_load_b128 s[24:27], s[0:1], 0x28
	s_load_b64 s[22:23], s[0:1], 0x58
	v_dual_mov_b32 v11, 0 :: v_dual_lshlrev_b32 v10, 3, v0
	s_lshl_b64 s[0:1], s[8:9], 2
	v_dual_mov_b32 v17, 1.0 :: v_dual_mov_b32 v18, 0
	s_add_u32 s7, s10, s0
	s_addc_u32 s28, s11, s1
	s_sub_u32 s12, s12, s4
	s_subb_u32 s13, s13, 0
	s_sub_u32 s14, s14, s4
	s_subb_u32 s15, s15, 0
	v_or_b32_e32 v12, 0x200, v10
	s_cmp_eq_u32 s6, 0
	s_cselect_b32 s29, -1, 0
	s_waitcnt lgkmcnt(0)
	v_add_co_u32 v13, s0, s24, v10
	s_delay_alu instid0(VALU_DEP_1) | instskip(SKIP_1) | instid1(VALU_DEP_1)
	v_add_co_ci_u32_e64 v14, null, s25, 0, s0
	v_add_co_u32 v15, s0, s26, v10
	v_add_co_ci_u32_e64 v16, null, s27, 0, s0
	s_add_u32 s24, s16, s4
	s_addc_u32 s25, s17, 0
	s_mov_b64 s[26:27], s[12:13]
	s_branch .LBB105_19
.LBB105_17:                             ;   in Loop: Header=BB105_19 Depth=1
	s_add_u32 s26, s26, 1
	s_addc_u32 s27, s27, 0
	s_delay_alu instid0(SALU_CYCLE_1)
	v_cmp_ge_i64_e64 s1, s[26:27], s[14:15]
.LBB105_18:                             ;   in Loop: Header=BB105_19 Depth=1
	v_dual_mov_b32 v8, v21 :: v_dual_mov_b32 v9, v22
	v_dual_mov_b32 v18, v4 :: v_dual_mov_b32 v17, v5
	s_delay_alu instid0(VALU_DEP_3)
	s_and_not1_b32 vcc_lo, exec_lo, s1
	s_cbranch_vccz .LBB105_58
.LBB105_19:                             ; =>This Loop Header: Depth=1
                                        ;     Child Loop BB105_48 Depth 2
	s_sub_i32 s0, s26, s12
	s_delay_alu instid0(SALU_CYCLE_1) | instskip(NEXT) | instid1(SALU_CYCLE_1)
	s_and_b32 s0, s0, 63
	s_cmp_lg_u32 s0, 0
	s_cbranch_scc1 .LBB105_23
; %bb.20:                               ;   in Loop: Header=BB105_19 Depth=1
	v_dual_mov_b32 v4, -1 :: v_dual_mov_b32 v3, 0
	v_dual_mov_b32 v5, -1 :: v_dual_mov_b32 v2, -1.0
	s_sub_u32 s30, s14, s26
	s_subb_u32 s31, s15, s27
	s_mov_b32 s1, exec_lo
	v_cmpx_gt_i64_e64 s[30:31], v[0:1]
	s_cbranch_execz .LBB105_22
; %bb.21:                               ;   in Loop: Header=BB105_19 Depth=1
	s_lshl_b64 s[30:31], s[26:27], 3
	s_delay_alu instid0(SALU_CYCLE_1)
	v_add_co_u32 v2, vcc_lo, v13, s30
	v_add_co_ci_u32_e32 v3, vcc_lo, s31, v14, vcc_lo
	global_load_b64 v[4:5], v[2:3], off
	v_add_co_u32 v2, vcc_lo, v15, s30
	v_add_co_ci_u32_e32 v3, vcc_lo, s31, v16, vcc_lo
	global_load_b64 v[2:3], v[2:3], off
	s_waitcnt vmcnt(1)
	v_sub_co_u32 v4, vcc_lo, v4, s4
	v_subrev_co_ci_u32_e32 v5, vcc_lo, 0, v5, vcc_lo
.LBB105_22:                             ;   in Loop: Header=BB105_19 Depth=1
	s_or_b32 exec_lo, exec_lo, s1
	ds_store_b64 v10, v[4:5]
	s_waitcnt vmcnt(0)
	ds_store_b64 v12, v[2:3]
.LBB105_23:                             ;   in Loop: Header=BB105_19 Depth=1
	s_lshl_b32 s0, s0, 3
	s_waitcnt lgkmcnt(0)
	v_mov_b32_e32 v2, s0
	s_waitcnt_vscnt null, 0x0
	s_barrier
	buffer_gl0_inv
	ds_load_2addr_stride64_b64 v[2:5], v2 offset1:1
	s_waitcnt lgkmcnt(0)
	v_cmp_eq_f32_e32 vcc_lo, 0, v4
	v_cmp_eq_f32_e64 s1, 0, v5
	v_cmp_eq_u64_e64 s0, s[16:17], v[2:3]
	v_cmp_ne_u64_e64 s13, s[16:17], v[2:3]
	s_delay_alu instid0(VALU_DEP_3)
	s_and_b32 s1, vcc_lo, s1
	s_delay_alu instid0(VALU_DEP_2) | instid1(SALU_CYCLE_1)
	s_and_b32 s1, s1, s0
	s_delay_alu instid0(SALU_CYCLE_1) | instskip(NEXT) | instid1(SALU_CYCLE_1)
	s_and_b32 s1, s29, s1
	v_cndmask_b32_e64 v19, v5, 0, s1
	v_cndmask_b32_e64 v20, v4, 1.0, s1
	s_and_b32 s30, s3, s1
	s_delay_alu instid0(SALU_CYCLE_1)
	s_and_saveexec_b32 s1, s30
	s_cbranch_execz .LBB105_27
; %bb.24:                               ;   in Loop: Header=BB105_19 Depth=1
	v_mbcnt_lo_u32_b32 v4, exec_lo, 0
	s_mov_b32 s30, exec_lo
	s_delay_alu instid0(VALU_DEP_1)
	v_cmpx_eq_u32_e32 0, v4
	s_cbranch_execz .LBB105_26
; %bb.25:                               ;   in Loop: Header=BB105_19 Depth=1
	v_dual_mov_b32 v4, s24 :: v_dual_mov_b32 v5, s25
	global_atomic_min_u64 v11, v[4:5], s[22:23]
.LBB105_26:                             ;   in Loop: Header=BB105_19 Depth=1
	s_or_b32 exec_lo, exec_lo, s30
	v_dual_mov_b32 v19, 0 :: v_dual_mov_b32 v20, 1.0
.LBB105_27:                             ;   in Loop: Header=BB105_19 Depth=1
	s_or_b32 exec_lo, exec_lo, s1
	s_cmp_lt_i32 s5, 1
	s_mov_b32 s1, 0
	s_cbranch_scc1 .LBB105_33
; %bb.28:                               ;   in Loop: Header=BB105_19 Depth=1
	s_cmp_eq_u32 s5, 1
	s_cbranch_scc0 .LBB105_34
; %bb.29:                               ;   in Loop: Header=BB105_19 Depth=1
	v_cmp_le_i64_e32 vcc_lo, s[16:17], v[2:3]
	v_dual_mov_b32 v4, v18 :: v_dual_mov_b32 v5, v17
	s_mov_b32 s30, 0
	s_cbranch_vccz .LBB105_36
; %bb.30:                               ;   in Loop: Header=BB105_19 Depth=1
	s_and_b32 vcc_lo, exec_lo, s0
	s_cbranch_vccz .LBB105_35
; %bb.31:                               ;   in Loop: Header=BB105_19 Depth=1
	v_dual_mov_b32 v4, v18 :: v_dual_mov_b32 v5, v17
	s_and_not1_b32 vcc_lo, exec_lo, s29
	s_cbranch_vccnz .LBB105_36
; %bb.32:                               ;   in Loop: Header=BB105_19 Depth=1
	v_mul_f32_e32 v4, v19, v19
	s_delay_alu instid0(VALU_DEP_1) | instskip(NEXT) | instid1(VALU_DEP_1)
	v_fmac_f32_e32 v4, v20, v20
	v_div_scale_f32 v5, null, v4, v4, 1.0
	v_div_scale_f32 v23, vcc_lo, 1.0, v4, 1.0
	s_delay_alu instid0(VALU_DEP_2) | instskip(SKIP_2) | instid1(VALU_DEP_1)
	v_rcp_f32_e32 v21, v5
	s_waitcnt_depctr 0xfff
	v_fma_f32 v22, -v5, v21, 1.0
	v_fmac_f32_e32 v21, v22, v21
	s_delay_alu instid0(VALU_DEP_1) | instskip(NEXT) | instid1(VALU_DEP_1)
	v_mul_f32_e32 v22, v23, v21
	v_fma_f32 v24, -v5, v22, v23
	s_delay_alu instid0(VALU_DEP_1) | instskip(NEXT) | instid1(VALU_DEP_1)
	v_fmac_f32_e32 v22, v24, v21
	v_fma_f32 v5, -v5, v22, v23
	s_delay_alu instid0(VALU_DEP_1) | instskip(SKIP_2) | instid1(VALU_DEP_3)
	v_div_fmas_f32 v5, v5, v21, v22
	v_fma_f32 v21, 0, v19, v20
	v_fma_f32 v22, v20, 0, -v19
	v_div_fixup_f32 v4, v5, v4, 1.0
	s_delay_alu instid0(VALU_DEP_1) | instskip(NEXT) | instid1(VALU_DEP_3)
	v_mul_f32_e32 v5, v21, v4
	v_mul_f32_e32 v4, v22, v4
	s_branch .LBB105_36
.LBB105_33:                             ;   in Loop: Header=BB105_19 Depth=1
	s_mov_b32 s30, 0
                                        ; implicit-def: $sgpr0
                                        ; implicit-def: $vgpr21
                                        ; implicit-def: $vgpr22
                                        ; implicit-def: $vgpr4
                                        ; implicit-def: $vgpr5
	s_cbranch_execnz .LBB105_37
	s_branch .LBB105_39
.LBB105_34:                             ;   in Loop: Header=BB105_19 Depth=1
	s_mov_b32 s30, -1
                                        ; implicit-def: $sgpr0
                                        ; implicit-def: $vgpr21
                                        ; implicit-def: $vgpr22
                                        ; implicit-def: $vgpr4
                                        ; implicit-def: $vgpr5
	s_branch .LBB105_39
.LBB105_35:                             ;   in Loop: Header=BB105_19 Depth=1
	s_mov_b32 s30, -1
                                        ; implicit-def: $vgpr4
                                        ; implicit-def: $vgpr5
.LBB105_36:                             ;   in Loop: Header=BB105_19 Depth=1
	v_dual_mov_b32 v21, v8 :: v_dual_mov_b32 v22, v9
	s_mov_b32 s0, 4
	s_branch .LBB105_39
.LBB105_37:                             ;   in Loop: Header=BB105_19 Depth=1
	s_cmp_eq_u32 s5, 0
	s_cbranch_scc1 .LBB105_43
; %bb.38:                               ;   in Loop: Header=BB105_19 Depth=1
	s_mov_b32 s30, -1
                                        ; implicit-def: $sgpr0
                                        ; implicit-def: $vgpr21
                                        ; implicit-def: $vgpr22
                                        ; implicit-def: $vgpr4
                                        ; implicit-def: $vgpr5
.LBB105_39:                             ;   in Loop: Header=BB105_19 Depth=1
	s_delay_alu instid0(SALU_CYCLE_1)
	s_and_b32 vcc_lo, exec_lo, s30
	s_cbranch_vccnz .LBB105_46
.LBB105_40:                             ;   in Loop: Header=BB105_19 Depth=1
	s_and_b32 vcc_lo, exec_lo, s1
	s_cbranch_vccnz .LBB105_52
.LBB105_41:                             ;   in Loop: Header=BB105_19 Depth=1
	s_cmp_gt_i32 s0, 3
	s_mov_b32 s1, -1
	s_cbranch_scc1 .LBB105_55
.LBB105_42:                             ;   in Loop: Header=BB105_19 Depth=1
	s_cmp_eq_u32 s0, 0
	s_cselect_b32 s0, -1, 0
	s_delay_alu instid0(SALU_CYCLE_1)
	s_and_not1_b32 vcc_lo, exec_lo, s0
	s_cbranch_vccz .LBB105_17
	s_branch .LBB105_56
.LBB105_43:                             ;   in Loop: Header=BB105_19 Depth=1
	v_cmp_ge_i64_e32 vcc_lo, s[16:17], v[2:3]
	s_mov_b32 s30, 0
	s_cbranch_vccz .LBB105_45
; %bb.44:                               ;   in Loop: Header=BB105_19 Depth=1
	s_mov_b32 s1, -1
	s_mov_b32 s30, s13
.LBB105_45:                             ;   in Loop: Header=BB105_19 Depth=1
	v_dual_mov_b32 v21, v8 :: v_dual_mov_b32 v22, v9
	v_dual_mov_b32 v4, v18 :: v_dual_mov_b32 v5, v17
	s_mov_b32 s0, 2
	s_and_b32 vcc_lo, exec_lo, s30
	s_cbranch_vccz .LBB105_40
.LBB105_46:                             ;   in Loop: Header=BB105_19 Depth=1
	s_and_saveexec_b32 s0, s3
	s_cbranch_execz .LBB105_49
; %bb.47:                               ;   in Loop: Header=BB105_19 Depth=1
	v_lshlrev_b64 v[4:5], 2, v[2:3]
	s_delay_alu instid0(VALU_DEP_1) | instskip(NEXT) | instid1(VALU_DEP_2)
	v_add_co_u32 v4, vcc_lo, s7, v4
	v_add_co_ci_u32_e32 v5, vcc_lo, s28, v5, vcc_lo
	global_load_b32 v21, v[4:5], off glc
	s_waitcnt vmcnt(0)
	v_cmp_ne_u32_e32 vcc_lo, 0, v21
	s_cbranch_vccnz .LBB105_49
.LBB105_48:                             ;   Parent Loop BB105_19 Depth=1
                                        ; =>  This Inner Loop Header: Depth=2
	global_load_b32 v21, v[4:5], off glc
	s_waitcnt vmcnt(0)
	v_cmp_eq_u32_e32 vcc_lo, 0, v21
	s_cbranch_vccnz .LBB105_48
.LBB105_49:                             ;   in Loop: Header=BB105_19 Depth=1
	s_or_b32 exec_lo, exec_lo, s0
	v_dual_mov_b32 v21, 0 :: v_dual_mov_b32 v22, 0
	s_mov_b32 s1, 0
	s_waitcnt_vscnt null, 0x0
	s_barrier
	buffer_gl0_inv
	buffer_gl1_inv
	buffer_gl0_inv
	s_and_saveexec_b32 s0, s2
	s_cbranch_execz .LBB105_51
; %bb.50:                               ;   in Loop: Header=BB105_19 Depth=1
	v_mul_lo_u32 v4, v2, s21
	v_mul_hi_u32 v5, v2, s20
	v_mul_lo_u32 v3, v3, s20
	v_mul_lo_u32 v2, v2, s20
	s_delay_alu instid0(VALU_DEP_3) | instskip(NEXT) | instid1(VALU_DEP_1)
	v_add_nc_u32_e32 v4, v5, v4
	v_add_nc_u32_e32 v3, v4, v3
	s_delay_alu instid0(VALU_DEP_1) | instskip(NEXT) | instid1(VALU_DEP_1)
	v_lshlrev_b64 v[2:3], 3, v[2:3]
	v_add_co_u32 v2, vcc_lo, v6, v2
	s_delay_alu instid0(VALU_DEP_2) | instskip(SKIP_4) | instid1(VALU_DEP_2)
	v_add_co_ci_u32_e32 v3, vcc_lo, v7, v3, vcc_lo
	global_load_b64 v[2:3], v[2:3], off
	s_waitcnt vmcnt(0)
	v_fma_f32 v22, -v20, v2, v9
	v_fma_f32 v2, -v19, v2, v8
	v_fmac_f32_e32 v22, v19, v3
	s_delay_alu instid0(VALU_DEP_2)
	v_fma_f32 v21, -v20, v3, v2
.LBB105_51:                             ;   in Loop: Header=BB105_19 Depth=1
	s_or_b32 exec_lo, exec_lo, s0
	v_dual_mov_b32 v4, v18 :: v_dual_mov_b32 v5, v17
	s_mov_b32 s0, 0
	s_and_b32 vcc_lo, exec_lo, s1
	s_cbranch_vccz .LBB105_41
.LBB105_52:                             ;   in Loop: Header=BB105_19 Depth=1
	s_and_not1_b32 vcc_lo, exec_lo, s29
	s_cbranch_vccnz .LBB105_54
; %bb.53:                               ;   in Loop: Header=BB105_19 Depth=1
	v_mul_f32_e32 v2, v19, v19
	s_delay_alu instid0(VALU_DEP_1) | instskip(NEXT) | instid1(VALU_DEP_1)
	v_fmac_f32_e32 v2, v20, v20
	v_div_scale_f32 v3, null, v2, v2, 1.0
	v_div_scale_f32 v17, vcc_lo, 1.0, v2, 1.0
	s_delay_alu instid0(VALU_DEP_2) | instskip(SKIP_2) | instid1(VALU_DEP_1)
	v_rcp_f32_e32 v4, v3
	s_waitcnt_depctr 0xfff
	v_fma_f32 v5, -v3, v4, 1.0
	v_fmac_f32_e32 v4, v5, v4
	s_delay_alu instid0(VALU_DEP_1) | instskip(NEXT) | instid1(VALU_DEP_1)
	v_mul_f32_e32 v5, v17, v4
	v_fma_f32 v18, -v3, v5, v17
	s_delay_alu instid0(VALU_DEP_1) | instskip(NEXT) | instid1(VALU_DEP_1)
	v_fmac_f32_e32 v5, v18, v4
	v_fma_f32 v3, -v3, v5, v17
	s_delay_alu instid0(VALU_DEP_1) | instskip(SKIP_1) | instid1(VALU_DEP_2)
	v_div_fmas_f32 v3, v3, v4, v5
	v_fma_f32 v4, 0, v19, v20
	v_div_fixup_f32 v2, v3, v2, 1.0
	v_fma_f32 v3, v20, 0, -v19
	s_delay_alu instid0(VALU_DEP_2) | instskip(NEXT) | instid1(VALU_DEP_2)
	v_mul_f32_e32 v17, v4, v2
	v_mul_f32_e32 v18, v3, v2
.LBB105_54:                             ;   in Loop: Header=BB105_19 Depth=1
	s_delay_alu instid0(VALU_DEP_1) | instskip(SKIP_2) | instid1(SALU_CYCLE_1)
	v_dual_mov_b32 v5, v17 :: v_dual_mov_b32 v4, v18
	v_dual_mov_b32 v22, v9 :: v_dual_mov_b32 v21, v8
	s_mov_b32 s0, 2
	s_cmp_gt_i32 s0, 3
	s_mov_b32 s1, -1
	s_cbranch_scc0 .LBB105_42
.LBB105_55:                             ;   in Loop: Header=BB105_19 Depth=1
	s_branch .LBB105_17
.LBB105_56:                             ;   in Loop: Header=BB105_19 Depth=1
                                        ; implicit-def: $sgpr26_sgpr27
	s_branch .LBB105_18
.LBB105_57:
	v_dual_mov_b32 v4, 0 :: v_dual_mov_b32 v5, 1.0
	s_and_saveexec_b32 s0, s2
	s_cbranch_execnz .LBB105_59
	s_branch .LBB105_60
.LBB105_58:
	v_dual_mov_b32 v8, v21 :: v_dual_mov_b32 v9, v22
	s_and_saveexec_b32 s0, s2
	s_cbranch_execz .LBB105_60
.LBB105_59:
	s_delay_alu instid0(VALU_DEP_1) | instskip(NEXT) | instid1(VALU_DEP_2)
	v_mul_f32_e32 v3, v4, v9
	v_mul_f32_e64 v10, v4, -v8
	s_lshl_b64 s[2:3], s[18:19], 3
	s_cmp_eq_u32 s6, 0
	v_add_co_u32 v1, vcc_lo, v6, s2
	v_fmac_f32_e32 v3, v8, v5
	v_fmac_f32_e32 v10, v9, v5
	v_add_co_ci_u32_e32 v2, vcc_lo, s3, v7, vcc_lo
	s_cselect_b32 vcc_lo, -1, 0
	s_delay_alu instid0(VALU_DEP_2)
	v_dual_cndmask_b32 v4, v8, v3 :: v_dual_cndmask_b32 v3, v9, v10
	global_store_b64 v[1:2], v[3:4], off
.LBB105_60:
	s_or_b32 exec_lo, exec_lo, s0
	s_waitcnt_vscnt null, 0x0
	buffer_gl1_inv
	buffer_gl0_inv
	s_barrier
	buffer_gl0_inv
	s_mov_b32 s0, exec_lo
	v_cmpx_eq_u32_e32 0, v0
	s_cbranch_execz .LBB105_62
; %bb.61:
	s_lshl_b64 s[0:1], s[16:17], 2
	v_dual_mov_b32 v0, 0 :: v_dual_mov_b32 v1, 1
	s_add_u32 s2, s10, s0
	s_addc_u32 s3, s11, s1
	s_lshl_b64 s[0:1], s[8:9], 2
	s_delay_alu instid0(SALU_CYCLE_1)
	s_add_u32 s0, s2, s0
	s_addc_u32 s1, s3, s1
	global_store_b32 v0, v1, s[0:1]
.LBB105_62:
	s_nop 0
	s_sendmsg sendmsg(MSG_DEALLOC_VGPRS)
	s_endpgm
.LBB105_63:
                                        ; implicit-def: $sgpr24_sgpr25
	s_load_b64 s[22:23], s[0:1], 0x38
	s_branch .LBB105_6
	.section	.rodata,"a",@progbits
	.p2align	6, 0x0
	.amdhsa_kernel _ZN9rocsparseL5csrsmILj64ELj64ELb0Ell21rocsparse_complex_numIfEEEv20rocsparse_operation_T3_S4_NS_24const_host_device_scalarIT4_EEPKT2_PKS4_PKS6_PS6_lPiSC_PS4_21rocsparse_index_base_20rocsparse_fill_mode_20rocsparse_diag_type_b
		.amdhsa_group_segment_fixed_size 1024
		.amdhsa_private_segment_fixed_size 0
		.amdhsa_kernarg_size 112
		.amdhsa_user_sgpr_count 15
		.amdhsa_user_sgpr_dispatch_ptr 0
		.amdhsa_user_sgpr_queue_ptr 0
		.amdhsa_user_sgpr_kernarg_segment_ptr 1
		.amdhsa_user_sgpr_dispatch_id 0
		.amdhsa_user_sgpr_private_segment_size 0
		.amdhsa_wavefront_size32 1
		.amdhsa_uses_dynamic_stack 0
		.amdhsa_enable_private_segment 0
		.amdhsa_system_sgpr_workgroup_id_x 1
		.amdhsa_system_sgpr_workgroup_id_y 0
		.amdhsa_system_sgpr_workgroup_id_z 0
		.amdhsa_system_sgpr_workgroup_info 0
		.amdhsa_system_vgpr_workitem_id 0
		.amdhsa_next_free_vgpr 25
		.amdhsa_next_free_sgpr 32
		.amdhsa_reserve_vcc 1
		.amdhsa_float_round_mode_32 0
		.amdhsa_float_round_mode_16_64 0
		.amdhsa_float_denorm_mode_32 3
		.amdhsa_float_denorm_mode_16_64 3
		.amdhsa_dx10_clamp 1
		.amdhsa_ieee_mode 1
		.amdhsa_fp16_overflow 0
		.amdhsa_workgroup_processor_mode 1
		.amdhsa_memory_ordered 1
		.amdhsa_forward_progress 0
		.amdhsa_shared_vgpr_count 0
		.amdhsa_exception_fp_ieee_invalid_op 0
		.amdhsa_exception_fp_denorm_src 0
		.amdhsa_exception_fp_ieee_div_zero 0
		.amdhsa_exception_fp_ieee_overflow 0
		.amdhsa_exception_fp_ieee_underflow 0
		.amdhsa_exception_fp_ieee_inexact 0
		.amdhsa_exception_int_div_zero 0
	.end_amdhsa_kernel
	.section	.text._ZN9rocsparseL5csrsmILj64ELj64ELb0Ell21rocsparse_complex_numIfEEEv20rocsparse_operation_T3_S4_NS_24const_host_device_scalarIT4_EEPKT2_PKS4_PKS6_PS6_lPiSC_PS4_21rocsparse_index_base_20rocsparse_fill_mode_20rocsparse_diag_type_b,"axG",@progbits,_ZN9rocsparseL5csrsmILj64ELj64ELb0Ell21rocsparse_complex_numIfEEEv20rocsparse_operation_T3_S4_NS_24const_host_device_scalarIT4_EEPKT2_PKS4_PKS6_PS6_lPiSC_PS4_21rocsparse_index_base_20rocsparse_fill_mode_20rocsparse_diag_type_b,comdat
.Lfunc_end105:
	.size	_ZN9rocsparseL5csrsmILj64ELj64ELb0Ell21rocsparse_complex_numIfEEEv20rocsparse_operation_T3_S4_NS_24const_host_device_scalarIT4_EEPKT2_PKS4_PKS6_PS6_lPiSC_PS4_21rocsparse_index_base_20rocsparse_fill_mode_20rocsparse_diag_type_b, .Lfunc_end105-_ZN9rocsparseL5csrsmILj64ELj64ELb0Ell21rocsparse_complex_numIfEEEv20rocsparse_operation_T3_S4_NS_24const_host_device_scalarIT4_EEPKT2_PKS4_PKS6_PS6_lPiSC_PS4_21rocsparse_index_base_20rocsparse_fill_mode_20rocsparse_diag_type_b
                                        ; -- End function
	.section	.AMDGPU.csdata,"",@progbits
; Kernel info:
; codeLenInByte = 2788
; NumSgprs: 34
; NumVgprs: 25
; ScratchSize: 0
; MemoryBound: 0
; FloatMode: 240
; IeeeMode: 1
; LDSByteSize: 1024 bytes/workgroup (compile time only)
; SGPRBlocks: 4
; VGPRBlocks: 3
; NumSGPRsForWavesPerEU: 34
; NumVGPRsForWavesPerEU: 25
; Occupancy: 16
; WaveLimiterHint : 1
; COMPUTE_PGM_RSRC2:SCRATCH_EN: 0
; COMPUTE_PGM_RSRC2:USER_SGPR: 15
; COMPUTE_PGM_RSRC2:TRAP_HANDLER: 0
; COMPUTE_PGM_RSRC2:TGID_X_EN: 1
; COMPUTE_PGM_RSRC2:TGID_Y_EN: 0
; COMPUTE_PGM_RSRC2:TGID_Z_EN: 0
; COMPUTE_PGM_RSRC2:TIDIG_COMP_CNT: 0
	.section	.text._ZN9rocsparseL5csrsmILj128ELj64ELb1Ell21rocsparse_complex_numIfEEEv20rocsparse_operation_T3_S4_NS_24const_host_device_scalarIT4_EEPKT2_PKS4_PKS6_PS6_lPiSC_PS4_21rocsparse_index_base_20rocsparse_fill_mode_20rocsparse_diag_type_b,"axG",@progbits,_ZN9rocsparseL5csrsmILj128ELj64ELb1Ell21rocsparse_complex_numIfEEEv20rocsparse_operation_T3_S4_NS_24const_host_device_scalarIT4_EEPKT2_PKS4_PKS6_PS6_lPiSC_PS4_21rocsparse_index_base_20rocsparse_fill_mode_20rocsparse_diag_type_b,comdat
	.globl	_ZN9rocsparseL5csrsmILj128ELj64ELb1Ell21rocsparse_complex_numIfEEEv20rocsparse_operation_T3_S4_NS_24const_host_device_scalarIT4_EEPKT2_PKS4_PKS6_PS6_lPiSC_PS4_21rocsparse_index_base_20rocsparse_fill_mode_20rocsparse_diag_type_b ; -- Begin function _ZN9rocsparseL5csrsmILj128ELj64ELb1Ell21rocsparse_complex_numIfEEEv20rocsparse_operation_T3_S4_NS_24const_host_device_scalarIT4_EEPKT2_PKS4_PKS6_PS6_lPiSC_PS4_21rocsparse_index_base_20rocsparse_fill_mode_20rocsparse_diag_type_b
	.p2align	8
	.type	_ZN9rocsparseL5csrsmILj128ELj64ELb1Ell21rocsparse_complex_numIfEEEv20rocsparse_operation_T3_S4_NS_24const_host_device_scalarIT4_EEPKT2_PKS4_PKS6_PS6_lPiSC_PS4_21rocsparse_index_base_20rocsparse_fill_mode_20rocsparse_diag_type_b,@function
_ZN9rocsparseL5csrsmILj128ELj64ELb1Ell21rocsparse_complex_numIfEEEv20rocsparse_operation_T3_S4_NS_24const_host_device_scalarIT4_EEPKT2_PKS4_PKS6_PS6_lPiSC_PS4_21rocsparse_index_base_20rocsparse_fill_mode_20rocsparse_diag_type_b: ; @_ZN9rocsparseL5csrsmILj128ELj64ELb1Ell21rocsparse_complex_numIfEEEv20rocsparse_operation_T3_S4_NS_24const_host_device_scalarIT4_EEPKT2_PKS4_PKS6_PS6_lPiSC_PS4_21rocsparse_index_base_20rocsparse_fill_mode_20rocsparse_diag_type_b
; %bb.0:
	s_clause 0x2
	s_load_b128 s[4:7], s[0:1], 0x60
	s_load_b64 s[2:3], s[0:1], 0x18
	s_load_b128 s[8:11], s[0:1], 0x8
	s_waitcnt lgkmcnt(0)
	s_bitcmp1_b32 s7, 0
	s_cselect_b32 s7, -1, 0
	s_delay_alu instid0(SALU_CYCLE_1)
	s_xor_b32 s12, s7, -1
	s_and_b32 vcc_lo, exec_lo, s7
	s_mov_b32 s7, s2
	s_cbranch_vccnz .LBB106_2
; %bb.1:
	s_load_b32 s7, s[2:3], 0x0
.LBB106_2:
	s_and_not1_b32 vcc_lo, exec_lo, s12
	s_cbranch_vccnz .LBB106_4
; %bb.3:
	s_load_b32 s3, s[2:3], 0x4
.LBB106_4:
	s_clause 0x1
	s_load_b64 s[16:17], s[0:1], 0x50
	s_load_b64 s[12:13], s[0:1], 0x20
	s_mov_b32 s18, 0
	s_mov_b32 s19, s9
	s_delay_alu instid0(SALU_CYCLE_1)
	s_cmp_lg_u64 s[18:19], 0
	s_cbranch_scc0 .LBB106_66
; %bb.5:
	s_ashr_i32 s20, s9, 31
	s_delay_alu instid0(SALU_CYCLE_1) | instskip(SKIP_2) | instid1(SALU_CYCLE_1)
	s_add_u32 s22, s8, s20
	s_mov_b32 s21, s20
	s_addc_u32 s23, s9, s20
	s_xor_b64 s[22:23], s[22:23], s[20:21]
	s_delay_alu instid0(SALU_CYCLE_1) | instskip(SKIP_3) | instid1(VALU_DEP_1)
	v_cvt_f32_u32_e32 v1, s22
	v_cvt_f32_u32_e32 v2, s23
	s_sub_u32 s19, 0, s22
	s_subb_u32 s24, 0, s23
	v_fmamk_f32 v1, v2, 0x4f800000, v1
	s_delay_alu instid0(VALU_DEP_1) | instskip(SKIP_2) | instid1(VALU_DEP_1)
	v_rcp_f32_e32 v1, v1
	s_waitcnt_depctr 0xfff
	v_mul_f32_e32 v1, 0x5f7ffffc, v1
	v_mul_f32_e32 v2, 0x2f800000, v1
	s_delay_alu instid0(VALU_DEP_1) | instskip(NEXT) | instid1(VALU_DEP_1)
	v_trunc_f32_e32 v2, v2
	v_fmamk_f32 v1, v2, 0xcf800000, v1
	v_cvt_u32_f32_e32 v2, v2
	s_delay_alu instid0(VALU_DEP_2) | instskip(NEXT) | instid1(VALU_DEP_2)
	v_cvt_u32_f32_e32 v1, v1
	v_readfirstlane_b32 s2, v2
	s_delay_alu instid0(VALU_DEP_2) | instskip(NEXT) | instid1(VALU_DEP_2)
	v_readfirstlane_b32 s14, v1
	s_mul_i32 s25, s19, s2
	s_delay_alu instid0(VALU_DEP_1)
	s_mul_hi_u32 s27, s19, s14
	s_mul_i32 s26, s24, s14
	s_add_i32 s25, s27, s25
	s_mul_i32 s28, s19, s14
	s_add_i32 s25, s25, s26
	s_mul_hi_u32 s27, s14, s28
	s_mul_hi_u32 s29, s2, s28
	s_mul_i32 s26, s2, s28
	s_mul_hi_u32 s28, s14, s25
	s_mul_i32 s14, s14, s25
	s_mul_hi_u32 s30, s2, s25
	s_add_u32 s14, s27, s14
	s_addc_u32 s27, 0, s28
	s_add_u32 s14, s14, s26
	s_mul_i32 s25, s2, s25
	s_addc_u32 s14, s27, s29
	s_addc_u32 s26, s30, 0
	s_add_u32 s14, s14, s25
	s_addc_u32 s25, 0, s26
	v_add_co_u32 v1, s14, v1, s14
	s_delay_alu instid0(VALU_DEP_1) | instskip(SKIP_1) | instid1(VALU_DEP_1)
	s_cmp_lg_u32 s14, 0
	s_addc_u32 s2, s2, s25
	v_readfirstlane_b32 s14, v1
	s_mul_i32 s25, s19, s2
	s_delay_alu instid0(VALU_DEP_1)
	s_mul_hi_u32 s26, s19, s14
	s_mul_i32 s24, s24, s14
	s_add_i32 s25, s26, s25
	s_mul_i32 s19, s19, s14
	s_add_i32 s25, s25, s24
	s_mul_hi_u32 s26, s2, s19
	s_mul_i32 s27, s2, s19
	s_mul_hi_u32 s19, s14, s19
	s_mul_hi_u32 s28, s14, s25
	s_mul_i32 s14, s14, s25
	s_mul_hi_u32 s24, s2, s25
	s_add_u32 s14, s19, s14
	s_addc_u32 s19, 0, s28
	s_add_u32 s14, s14, s27
	s_mul_i32 s25, s2, s25
	s_addc_u32 s14, s19, s26
	s_addc_u32 s19, s24, 0
	s_add_u32 s14, s14, s25
	s_addc_u32 s19, 0, s19
	v_add_co_u32 v1, s14, v1, s14
	s_delay_alu instid0(VALU_DEP_1) | instskip(SKIP_1) | instid1(VALU_DEP_1)
	s_cmp_lg_u32 s14, 0
	s_addc_u32 s2, s2, s19
	v_readfirstlane_b32 s14, v1
	s_mul_i32 s19, s15, s2
	s_mul_hi_u32 s2, s15, s2
	s_delay_alu instid0(VALU_DEP_1) | instskip(NEXT) | instid1(SALU_CYCLE_1)
	s_mul_hi_u32 s14, s15, s14
	s_add_u32 s14, s14, s19
	s_addc_u32 s2, 0, s2
	s_add_u32 s14, s14, 0
	s_addc_u32 s2, s2, 0
	s_addc_u32 s14, 0, 0
	s_add_u32 s2, s2, 0
	s_addc_u32 s14, 0, s14
	s_mul_hi_u32 s19, s22, s2
	s_mul_i32 s25, s22, s14
	s_mul_i32 s26, s22, s2
	s_add_i32 s19, s19, s25
	v_sub_co_u32 v1, s25, s15, s26
	s_mul_i32 s24, s23, s2
	s_delay_alu instid0(SALU_CYCLE_1) | instskip(NEXT) | instid1(VALU_DEP_1)
	s_add_i32 s19, s19, s24
	v_sub_co_u32 v2, s26, v1, s22
	s_sub_i32 s24, 0, s19
	s_cmp_lg_u32 s25, 0
	s_subb_u32 s24, s24, s23
	s_cmp_lg_u32 s26, 0
	v_readfirstlane_b32 s26, v2
	s_subb_u32 s24, s24, 0
	s_delay_alu instid0(SALU_CYCLE_1) | instskip(SKIP_1) | instid1(VALU_DEP_1)
	s_cmp_ge_u32 s24, s23
	s_cselect_b32 s27, -1, 0
	s_cmp_ge_u32 s26, s22
	s_cselect_b32 s26, -1, 0
	s_cmp_eq_u32 s24, s23
	s_cselect_b32 s24, s26, s27
	s_add_u32 s26, s2, 1
	s_addc_u32 s27, s14, 0
	s_add_u32 s28, s2, 2
	s_addc_u32 s29, s14, 0
	s_cmp_lg_u32 s24, 0
	s_cselect_b32 s24, s28, s26
	s_cselect_b32 s26, s29, s27
	s_cmp_lg_u32 s25, 0
	v_readfirstlane_b32 s25, v1
	s_subb_u32 s19, 0, s19
	s_delay_alu instid0(SALU_CYCLE_1) | instskip(SKIP_1) | instid1(VALU_DEP_1)
	s_cmp_ge_u32 s19, s23
	s_cselect_b32 s27, -1, 0
	s_cmp_ge_u32 s25, s22
	s_cselect_b32 s22, -1, 0
	s_cmp_eq_u32 s19, s23
	s_cselect_b32 s19, s22, s27
	s_delay_alu instid0(SALU_CYCLE_1) | instskip(SKIP_2) | instid1(SALU_CYCLE_1)
	s_cmp_lg_u32 s19, 0
	s_cselect_b32 s23, s26, s14
	s_cselect_b32 s22, s24, s2
	s_xor_b64 s[22:23], s[22:23], s[20:21]
	s_delay_alu instid0(SALU_CYCLE_1)
	s_sub_u32 s24, s22, s20
	s_subb_u32 s25, s23, s20
	s_load_b64 s[22:23], s[0:1], 0x38
	s_and_not1_b32 vcc_lo, exec_lo, s18
	s_cbranch_vccnz .LBB106_7
.LBB106_6:
	v_cvt_f32_u32_e32 v1, s8
	s_sub_i32 s14, 0, s8
	s_mov_b32 s25, 0
	s_delay_alu instid0(VALU_DEP_1) | instskip(SKIP_2) | instid1(VALU_DEP_1)
	v_rcp_iflag_f32_e32 v1, v1
	s_waitcnt_depctr 0xfff
	v_mul_f32_e32 v1, 0x4f7ffffe, v1
	v_cvt_u32_f32_e32 v1, v1
	s_delay_alu instid0(VALU_DEP_1) | instskip(NEXT) | instid1(VALU_DEP_1)
	v_readfirstlane_b32 s2, v1
	s_mul_i32 s14, s14, s2
	s_delay_alu instid0(SALU_CYCLE_1) | instskip(NEXT) | instid1(SALU_CYCLE_1)
	s_mul_hi_u32 s14, s2, s14
	s_add_i32 s2, s2, s14
	s_delay_alu instid0(SALU_CYCLE_1) | instskip(NEXT) | instid1(SALU_CYCLE_1)
	s_mul_hi_u32 s2, s15, s2
	s_mul_i32 s14, s2, s8
	s_add_i32 s18, s2, 1
	s_sub_i32 s14, s15, s14
	s_delay_alu instid0(SALU_CYCLE_1)
	s_sub_i32 s19, s14, s8
	s_cmp_ge_u32 s14, s8
	s_cselect_b32 s2, s18, s2
	s_cselect_b32 s14, s19, s14
	s_add_i32 s18, s2, 1
	s_cmp_ge_u32 s14, s8
	s_cselect_b32 s24, s18, s2
.LBB106_7:
	s_delay_alu instid0(SALU_CYCLE_1)
	s_mul_i32 s2, s24, s9
	s_mul_hi_u32 s9, s24, s8
	s_load_b32 s26, s[0:1], 0x0
	s_add_i32 s2, s9, s2
	s_mul_i32 s9, s25, s8
	s_mul_i32 s8, s24, s8
	s_add_i32 s9, s2, s9
	s_sub_u32 s14, s15, s8
	s_subb_u32 s15, 0, s9
	v_mov_b32_e32 v1, 0
	s_lshl_b64 s[14:15], s[14:15], 3
	s_waitcnt lgkmcnt(0)
	s_add_u32 s14, s16, s14
	s_addc_u32 s15, s17, s15
	s_load_b64 s[16:17], s[14:15], 0x0
	s_load_b64 s[20:21], s[0:1], 0x40
	s_waitcnt lgkmcnt(0)
	s_lshl_b64 s[14:15], s[16:17], 3
	s_mul_i32 s2, s16, s21
	s_add_u32 s12, s12, s14
	s_addc_u32 s13, s13, s15
	s_lshl_b64 s[24:25], s[24:25], 7
	s_load_b128 s[12:15], s[12:13], 0x0
	s_mul_hi_u32 s18, s16, s20
	v_or_b32_e32 v2, s24, v0
	v_mov_b32_e32 v3, s25
	s_add_i32 s2, s18, s2
	s_mul_i32 s18, s17, s20
	v_mov_b32_e32 v5, s25
	s_add_i32 s19, s2, s18
	s_mul_i32 s18, s16, s20
	v_cmp_gt_i64_e64 s2, s[10:11], v[2:3]
	v_add_co_u32 v4, vcc_lo, v2, s18
	v_add_co_ci_u32_e32 v5, vcc_lo, s19, v5, vcc_lo
	s_cmpk_lg_i32 s26, 0x71
	s_cbranch_scc0 .LBB106_11
; %bb.8:
	v_mov_b32_e32 v8, v1
	v_mov_b32_e32 v9, v1
	s_mov_b32 s24, 0
	s_and_saveexec_b32 s10, s2
	s_cbranch_execz .LBB106_10
; %bb.9:
	v_lshlrev_b64 v[6:7], 3, v[4:5]
	s_delay_alu instid0(VALU_DEP_1) | instskip(NEXT) | instid1(VALU_DEP_2)
	v_add_co_u32 v6, vcc_lo, s22, v6
	v_add_co_ci_u32_e32 v7, vcc_lo, s23, v7, vcc_lo
	global_load_b64 v[6:7], v[6:7], off
	s_waitcnt vmcnt(0)
	v_mul_f32_e64 v9, v7, -s3
	s_delay_alu instid0(VALU_DEP_1) | instskip(NEXT) | instid1(VALU_DEP_1)
	v_dual_mul_f32 v8, s7, v7 :: v_dual_fmac_f32 v9, s7, v6
	v_fmac_f32_e32 v8, s3, v6
.LBB106_10:
	s_or_b32 exec_lo, exec_lo, s10
	s_load_b64 s[10:11], s[0:1], 0x48
	s_and_not1_b32 vcc_lo, exec_lo, s24
	s_cbranch_vccz .LBB106_12
	s_branch .LBB106_15
.LBB106_11:
                                        ; implicit-def: $vgpr8
                                        ; implicit-def: $vgpr9
	s_load_b64 s[10:11], s[0:1], 0x48
.LBB106_12:
	v_dual_mov_b32 v8, 0 :: v_dual_mov_b32 v9, 0
	s_and_saveexec_b32 s24, s2
	s_cbranch_execz .LBB106_14
; %bb.13:
	v_lshlrev_b64 v[4:5], 3, v[4:5]
	s_delay_alu instid0(VALU_DEP_1) | instskip(NEXT) | instid1(VALU_DEP_2)
	v_add_co_u32 v4, vcc_lo, s22, v4
	v_add_co_ci_u32_e32 v5, vcc_lo, s23, v5, vcc_lo
	global_load_b64 v[4:5], v[4:5], off
	s_waitcnt vmcnt(0)
	v_mul_f32_e64 v8, s7, -v5
	s_delay_alu instid0(VALU_DEP_1) | instskip(NEXT) | instid1(VALU_DEP_1)
	v_dual_mul_f32 v9, s3, v5 :: v_dual_fmac_f32 v8, s3, v4
	v_fmac_f32_e32 v9, s7, v4
.LBB106_14:
	s_or_b32 exec_lo, exec_lo, s24
.LBB106_15:
	v_lshlrev_b64 v[2:3], 3, v[2:3]
	s_waitcnt lgkmcnt(0)
	v_cmp_ge_i64_e64 s3, s[12:13], s[14:15]
	s_delay_alu instid0(VALU_DEP_2) | instskip(NEXT) | instid1(VALU_DEP_3)
	v_add_co_u32 v6, vcc_lo, s22, v2
	v_add_co_ci_u32_e32 v7, vcc_lo, s23, v3, vcc_lo
	s_delay_alu instid0(VALU_DEP_3)
	s_and_b32 vcc_lo, exec_lo, s3
	v_cmp_eq_u32_e64 s3, 0, v0
	s_cbranch_vccnz .LBB106_60
; %bb.16:
	s_clause 0x1
	s_load_b128 s[24:27], s[0:1], 0x28
	s_load_b64 s[22:23], s[0:1], 0x58
	v_dual_mov_b32 v11, 0 :: v_dual_lshlrev_b32 v10, 3, v0
	s_lshl_b64 s[0:1], s[8:9], 2
	v_dual_mov_b32 v17, 1.0 :: v_dual_mov_b32 v18, 0
	s_add_u32 s7, s10, s0
	s_addc_u32 s28, s11, s1
	s_sub_u32 s12, s12, s4
	s_subb_u32 s13, s13, 0
	s_sub_u32 s14, s14, s4
	s_subb_u32 s15, s15, 0
	v_or_b32_e32 v12, 0x400, v10
	s_cmp_eq_u32 s6, 0
	s_cselect_b32 s29, -1, 0
	s_waitcnt lgkmcnt(0)
	v_add_co_u32 v13, s0, s24, v10
	s_delay_alu instid0(VALU_DEP_1) | instskip(SKIP_1) | instid1(VALU_DEP_1)
	v_add_co_ci_u32_e64 v14, null, s25, 0, s0
	v_add_co_u32 v15, s0, s26, v10
	v_add_co_ci_u32_e64 v16, null, s27, 0, s0
	s_add_u32 s24, s16, s4
	s_addc_u32 s25, s17, 0
	s_mov_b64 s[26:27], s[12:13]
	s_branch .LBB106_19
.LBB106_17:                             ;   in Loop: Header=BB106_19 Depth=1
	s_add_u32 s26, s26, 1
	s_addc_u32 s27, s27, 0
	s_delay_alu instid0(SALU_CYCLE_1)
	v_cmp_ge_i64_e64 s1, s[26:27], s[14:15]
.LBB106_18:                             ;   in Loop: Header=BB106_19 Depth=1
	v_dual_mov_b32 v8, v21 :: v_dual_mov_b32 v9, v22
	v_dual_mov_b32 v18, v4 :: v_dual_mov_b32 v17, v5
	s_delay_alu instid0(VALU_DEP_3)
	s_and_not1_b32 vcc_lo, exec_lo, s1
	s_cbranch_vccz .LBB106_61
.LBB106_19:                             ; =>This Loop Header: Depth=1
                                        ;     Child Loop BB106_58 Depth 2
                                        ;       Child Loop BB106_59 Depth 3
	s_sub_i32 s0, s26, s12
	s_delay_alu instid0(SALU_CYCLE_1) | instskip(NEXT) | instid1(SALU_CYCLE_1)
	s_and_b32 s0, s0, 0x7f
	s_cmp_lg_u32 s0, 0
	s_cbranch_scc1 .LBB106_23
; %bb.20:                               ;   in Loop: Header=BB106_19 Depth=1
	v_dual_mov_b32 v4, -1 :: v_dual_mov_b32 v3, 0
	v_dual_mov_b32 v5, -1 :: v_dual_mov_b32 v2, -1.0
	s_sub_u32 s30, s14, s26
	s_subb_u32 s31, s15, s27
	s_mov_b32 s1, exec_lo
	v_cmpx_gt_i64_e64 s[30:31], v[0:1]
	s_cbranch_execz .LBB106_22
; %bb.21:                               ;   in Loop: Header=BB106_19 Depth=1
	s_lshl_b64 s[30:31], s[26:27], 3
	s_delay_alu instid0(SALU_CYCLE_1)
	v_add_co_u32 v2, vcc_lo, v13, s30
	v_add_co_ci_u32_e32 v3, vcc_lo, s31, v14, vcc_lo
	global_load_b64 v[4:5], v[2:3], off
	v_add_co_u32 v2, vcc_lo, v15, s30
	v_add_co_ci_u32_e32 v3, vcc_lo, s31, v16, vcc_lo
	global_load_b64 v[2:3], v[2:3], off
	s_waitcnt vmcnt(1)
	v_sub_co_u32 v4, vcc_lo, v4, s4
	v_subrev_co_ci_u32_e32 v5, vcc_lo, 0, v5, vcc_lo
.LBB106_22:                             ;   in Loop: Header=BB106_19 Depth=1
	s_or_b32 exec_lo, exec_lo, s1
	ds_store_b64 v10, v[4:5]
	s_waitcnt vmcnt(0)
	ds_store_b64 v12, v[2:3]
.LBB106_23:                             ;   in Loop: Header=BB106_19 Depth=1
	s_lshl_b32 s0, s0, 3
	s_waitcnt lgkmcnt(0)
	v_mov_b32_e32 v2, s0
	s_waitcnt_vscnt null, 0x0
	s_barrier
	buffer_gl0_inv
	ds_load_2addr_stride64_b64 v[2:5], v2 offset1:2
	s_waitcnt lgkmcnt(0)
	v_cmp_eq_f32_e32 vcc_lo, 0, v4
	v_cmp_eq_f32_e64 s1, 0, v5
	v_cmp_eq_u64_e64 s0, s[16:17], v[2:3]
	v_cmp_ne_u64_e64 s13, s[16:17], v[2:3]
	s_delay_alu instid0(VALU_DEP_3)
	s_and_b32 s1, vcc_lo, s1
	s_delay_alu instid0(VALU_DEP_2) | instid1(SALU_CYCLE_1)
	s_and_b32 s1, s1, s0
	s_delay_alu instid0(SALU_CYCLE_1) | instskip(NEXT) | instid1(SALU_CYCLE_1)
	s_and_b32 s1, s29, s1
	v_cndmask_b32_e64 v19, v5, 0, s1
	v_cndmask_b32_e64 v20, v4, 1.0, s1
	s_and_b32 s30, s3, s1
	s_delay_alu instid0(SALU_CYCLE_1)
	s_and_saveexec_b32 s1, s30
	s_cbranch_execz .LBB106_27
; %bb.24:                               ;   in Loop: Header=BB106_19 Depth=1
	v_mbcnt_lo_u32_b32 v4, exec_lo, 0
	s_mov_b32 s30, exec_lo
	s_delay_alu instid0(VALU_DEP_1)
	v_cmpx_eq_u32_e32 0, v4
	s_cbranch_execz .LBB106_26
; %bb.25:                               ;   in Loop: Header=BB106_19 Depth=1
	v_dual_mov_b32 v4, s24 :: v_dual_mov_b32 v5, s25
	global_atomic_min_u64 v11, v[4:5], s[22:23]
.LBB106_26:                             ;   in Loop: Header=BB106_19 Depth=1
	s_or_b32 exec_lo, exec_lo, s30
	v_dual_mov_b32 v19, 0 :: v_dual_mov_b32 v20, 1.0
.LBB106_27:                             ;   in Loop: Header=BB106_19 Depth=1
	s_or_b32 exec_lo, exec_lo, s1
	s_cmp_lt_i32 s5, 1
	s_mov_b32 s1, 0
	s_cbranch_scc1 .LBB106_33
; %bb.28:                               ;   in Loop: Header=BB106_19 Depth=1
	s_cmp_eq_u32 s5, 1
	s_cbranch_scc0 .LBB106_34
; %bb.29:                               ;   in Loop: Header=BB106_19 Depth=1
	v_cmp_le_i64_e32 vcc_lo, s[16:17], v[2:3]
	v_dual_mov_b32 v4, v18 :: v_dual_mov_b32 v5, v17
	s_mov_b32 s30, 0
	s_cbranch_vccz .LBB106_36
; %bb.30:                               ;   in Loop: Header=BB106_19 Depth=1
	s_and_b32 vcc_lo, exec_lo, s0
	s_cbranch_vccz .LBB106_35
; %bb.31:                               ;   in Loop: Header=BB106_19 Depth=1
	v_dual_mov_b32 v4, v18 :: v_dual_mov_b32 v5, v17
	s_and_not1_b32 vcc_lo, exec_lo, s29
	s_cbranch_vccnz .LBB106_36
; %bb.32:                               ;   in Loop: Header=BB106_19 Depth=1
	v_mul_f32_e32 v4, v19, v19
	s_delay_alu instid0(VALU_DEP_1) | instskip(NEXT) | instid1(VALU_DEP_1)
	v_fmac_f32_e32 v4, v20, v20
	v_div_scale_f32 v5, null, v4, v4, 1.0
	v_div_scale_f32 v23, vcc_lo, 1.0, v4, 1.0
	s_delay_alu instid0(VALU_DEP_2) | instskip(SKIP_2) | instid1(VALU_DEP_1)
	v_rcp_f32_e32 v21, v5
	s_waitcnt_depctr 0xfff
	v_fma_f32 v22, -v5, v21, 1.0
	v_fmac_f32_e32 v21, v22, v21
	s_delay_alu instid0(VALU_DEP_1) | instskip(NEXT) | instid1(VALU_DEP_1)
	v_mul_f32_e32 v22, v23, v21
	v_fma_f32 v24, -v5, v22, v23
	s_delay_alu instid0(VALU_DEP_1) | instskip(NEXT) | instid1(VALU_DEP_1)
	v_fmac_f32_e32 v22, v24, v21
	v_fma_f32 v5, -v5, v22, v23
	s_delay_alu instid0(VALU_DEP_1) | instskip(SKIP_2) | instid1(VALU_DEP_3)
	v_div_fmas_f32 v5, v5, v21, v22
	v_fma_f32 v21, 0, v19, v20
	v_fma_f32 v22, v20, 0, -v19
	v_div_fixup_f32 v4, v5, v4, 1.0
	s_delay_alu instid0(VALU_DEP_1) | instskip(NEXT) | instid1(VALU_DEP_3)
	v_mul_f32_e32 v5, v21, v4
	v_mul_f32_e32 v4, v22, v4
	s_branch .LBB106_36
.LBB106_33:                             ;   in Loop: Header=BB106_19 Depth=1
	s_mov_b32 s30, 0
                                        ; implicit-def: $sgpr0
                                        ; implicit-def: $vgpr21
                                        ; implicit-def: $vgpr22
                                        ; implicit-def: $vgpr4
                                        ; implicit-def: $vgpr5
	s_cbranch_execnz .LBB106_37
	s_branch .LBB106_39
.LBB106_34:                             ;   in Loop: Header=BB106_19 Depth=1
	s_mov_b32 s30, -1
                                        ; implicit-def: $sgpr0
                                        ; implicit-def: $vgpr21
                                        ; implicit-def: $vgpr22
                                        ; implicit-def: $vgpr4
                                        ; implicit-def: $vgpr5
	s_branch .LBB106_39
.LBB106_35:                             ;   in Loop: Header=BB106_19 Depth=1
	s_mov_b32 s30, -1
                                        ; implicit-def: $vgpr4
                                        ; implicit-def: $vgpr5
.LBB106_36:                             ;   in Loop: Header=BB106_19 Depth=1
	v_dual_mov_b32 v21, v8 :: v_dual_mov_b32 v22, v9
	s_mov_b32 s0, 4
	s_branch .LBB106_39
.LBB106_37:                             ;   in Loop: Header=BB106_19 Depth=1
	s_cmp_eq_u32 s5, 0
	s_cbranch_scc1 .LBB106_43
; %bb.38:                               ;   in Loop: Header=BB106_19 Depth=1
	s_mov_b32 s30, -1
                                        ; implicit-def: $sgpr0
                                        ; implicit-def: $vgpr21
                                        ; implicit-def: $vgpr22
                                        ; implicit-def: $vgpr4
                                        ; implicit-def: $vgpr5
.LBB106_39:                             ;   in Loop: Header=BB106_19 Depth=1
	s_delay_alu instid0(SALU_CYCLE_1)
	s_and_b32 vcc_lo, exec_lo, s30
	s_cbranch_vccnz .LBB106_46
.LBB106_40:                             ;   in Loop: Header=BB106_19 Depth=1
	s_and_b32 vcc_lo, exec_lo, s1
	s_cbranch_vccnz .LBB106_51
.LBB106_41:                             ;   in Loop: Header=BB106_19 Depth=1
	s_cmp_gt_i32 s0, 3
	s_mov_b32 s1, -1
	s_cbranch_scc1 .LBB106_54
.LBB106_42:                             ;   in Loop: Header=BB106_19 Depth=1
	s_cmp_eq_u32 s0, 0
	s_cselect_b32 s0, -1, 0
	s_delay_alu instid0(SALU_CYCLE_1)
	s_and_not1_b32 vcc_lo, exec_lo, s0
	s_cbranch_vccz .LBB106_17
	s_branch .LBB106_55
.LBB106_43:                             ;   in Loop: Header=BB106_19 Depth=1
	v_cmp_ge_i64_e32 vcc_lo, s[16:17], v[2:3]
	s_mov_b32 s30, 0
	s_cbranch_vccz .LBB106_45
; %bb.44:                               ;   in Loop: Header=BB106_19 Depth=1
	s_mov_b32 s1, -1
	s_mov_b32 s30, s13
.LBB106_45:                             ;   in Loop: Header=BB106_19 Depth=1
	v_dual_mov_b32 v21, v8 :: v_dual_mov_b32 v22, v9
	v_dual_mov_b32 v4, v18 :: v_dual_mov_b32 v5, v17
	s_mov_b32 s0, 2
	s_and_b32 vcc_lo, exec_lo, s30
	s_cbranch_vccz .LBB106_40
.LBB106_46:                             ;   in Loop: Header=BB106_19 Depth=1
	s_and_saveexec_b32 s0, s3
	s_cbranch_execz .LBB106_48
; %bb.47:                               ;   in Loop: Header=BB106_19 Depth=1
	v_lshlrev_b64 v[4:5], 2, v[2:3]
	s_delay_alu instid0(VALU_DEP_1) | instskip(NEXT) | instid1(VALU_DEP_2)
	v_add_co_u32 v4, vcc_lo, s7, v4
	v_add_co_ci_u32_e32 v5, vcc_lo, s28, v5, vcc_lo
	global_load_b32 v21, v[4:5], off glc
	s_waitcnt vmcnt(0)
	v_cmp_ne_u32_e32 vcc_lo, 0, v21
	s_cbranch_vccz .LBB106_56
.LBB106_48:                             ;   in Loop: Header=BB106_19 Depth=1
	s_or_b32 exec_lo, exec_lo, s0
	v_dual_mov_b32 v21, 0 :: v_dual_mov_b32 v22, 0
	s_mov_b32 s1, 0
	s_waitcnt_vscnt null, 0x0
	s_barrier
	buffer_gl0_inv
	buffer_gl1_inv
	buffer_gl0_inv
	s_and_saveexec_b32 s0, s2
	s_cbranch_execz .LBB106_50
; %bb.49:                               ;   in Loop: Header=BB106_19 Depth=1
	v_mul_lo_u32 v4, v2, s21
	v_mul_hi_u32 v5, v2, s20
	v_mul_lo_u32 v3, v3, s20
	v_mul_lo_u32 v2, v2, s20
	s_delay_alu instid0(VALU_DEP_3) | instskip(NEXT) | instid1(VALU_DEP_1)
	v_add_nc_u32_e32 v4, v5, v4
	v_add_nc_u32_e32 v3, v4, v3
	s_delay_alu instid0(VALU_DEP_1) | instskip(NEXT) | instid1(VALU_DEP_1)
	v_lshlrev_b64 v[2:3], 3, v[2:3]
	v_add_co_u32 v2, vcc_lo, v6, v2
	s_delay_alu instid0(VALU_DEP_2) | instskip(SKIP_4) | instid1(VALU_DEP_2)
	v_add_co_ci_u32_e32 v3, vcc_lo, v7, v3, vcc_lo
	global_load_b64 v[2:3], v[2:3], off
	s_waitcnt vmcnt(0)
	v_fma_f32 v22, -v20, v2, v9
	v_fma_f32 v2, -v19, v2, v8
	v_fmac_f32_e32 v22, v19, v3
	s_delay_alu instid0(VALU_DEP_2)
	v_fma_f32 v21, -v20, v3, v2
.LBB106_50:                             ;   in Loop: Header=BB106_19 Depth=1
	s_or_b32 exec_lo, exec_lo, s0
	v_dual_mov_b32 v4, v18 :: v_dual_mov_b32 v5, v17
	s_mov_b32 s0, 0
	s_and_b32 vcc_lo, exec_lo, s1
	s_cbranch_vccz .LBB106_41
.LBB106_51:                             ;   in Loop: Header=BB106_19 Depth=1
	s_and_not1_b32 vcc_lo, exec_lo, s29
	s_cbranch_vccnz .LBB106_53
; %bb.52:                               ;   in Loop: Header=BB106_19 Depth=1
	v_mul_f32_e32 v2, v19, v19
	s_delay_alu instid0(VALU_DEP_1) | instskip(NEXT) | instid1(VALU_DEP_1)
	v_fmac_f32_e32 v2, v20, v20
	v_div_scale_f32 v3, null, v2, v2, 1.0
	v_div_scale_f32 v17, vcc_lo, 1.0, v2, 1.0
	s_delay_alu instid0(VALU_DEP_2) | instskip(SKIP_2) | instid1(VALU_DEP_1)
	v_rcp_f32_e32 v4, v3
	s_waitcnt_depctr 0xfff
	v_fma_f32 v5, -v3, v4, 1.0
	v_fmac_f32_e32 v4, v5, v4
	s_delay_alu instid0(VALU_DEP_1) | instskip(NEXT) | instid1(VALU_DEP_1)
	v_mul_f32_e32 v5, v17, v4
	v_fma_f32 v18, -v3, v5, v17
	s_delay_alu instid0(VALU_DEP_1) | instskip(NEXT) | instid1(VALU_DEP_1)
	v_fmac_f32_e32 v5, v18, v4
	v_fma_f32 v3, -v3, v5, v17
	s_delay_alu instid0(VALU_DEP_1) | instskip(SKIP_1) | instid1(VALU_DEP_2)
	v_div_fmas_f32 v3, v3, v4, v5
	v_fma_f32 v4, 0, v19, v20
	v_div_fixup_f32 v2, v3, v2, 1.0
	v_fma_f32 v3, v20, 0, -v19
	s_delay_alu instid0(VALU_DEP_2) | instskip(NEXT) | instid1(VALU_DEP_2)
	v_mul_f32_e32 v17, v4, v2
	v_mul_f32_e32 v18, v3, v2
.LBB106_53:                             ;   in Loop: Header=BB106_19 Depth=1
	s_delay_alu instid0(VALU_DEP_1) | instskip(SKIP_2) | instid1(SALU_CYCLE_1)
	v_dual_mov_b32 v5, v17 :: v_dual_mov_b32 v4, v18
	v_dual_mov_b32 v22, v9 :: v_dual_mov_b32 v21, v8
	s_mov_b32 s0, 2
	s_cmp_gt_i32 s0, 3
	s_mov_b32 s1, -1
	s_cbranch_scc0 .LBB106_42
.LBB106_54:                             ;   in Loop: Header=BB106_19 Depth=1
	s_branch .LBB106_17
.LBB106_55:                             ;   in Loop: Header=BB106_19 Depth=1
                                        ; implicit-def: $sgpr26_sgpr27
	s_branch .LBB106_18
.LBB106_56:                             ;   in Loop: Header=BB106_19 Depth=1
	s_mov_b32 s1, 0
	s_branch .LBB106_58
	.p2align	6
.LBB106_57:                             ;   in Loop: Header=BB106_58 Depth=2
	global_load_b32 v21, v[4:5], off glc
	s_cmpk_lt_u32 s1, 0xf43
	s_cselect_b32 s13, -1, 0
	s_delay_alu instid0(SALU_CYCLE_1)
	s_cmp_lg_u32 s13, 0
	s_addc_u32 s1, s1, 0
	s_waitcnt vmcnt(0)
	v_cmp_ne_u32_e32 vcc_lo, 0, v21
	s_cbranch_vccnz .LBB106_48
.LBB106_58:                             ;   Parent Loop BB106_19 Depth=1
                                        ; =>  This Loop Header: Depth=2
                                        ;       Child Loop BB106_59 Depth 3
	s_cmp_eq_u32 s1, 0
	s_mov_b32 s13, s1
	s_cbranch_scc1 .LBB106_57
.LBB106_59:                             ;   Parent Loop BB106_19 Depth=1
                                        ;     Parent Loop BB106_58 Depth=2
                                        ; =>    This Inner Loop Header: Depth=3
	s_add_i32 s13, s13, -1
	s_sleep 1
	s_cmp_eq_u32 s13, 0
	s_cbranch_scc0 .LBB106_59
	s_branch .LBB106_57
.LBB106_60:
	v_dual_mov_b32 v4, 0 :: v_dual_mov_b32 v5, 1.0
	s_and_saveexec_b32 s0, s2
	s_cbranch_execnz .LBB106_62
	s_branch .LBB106_63
.LBB106_61:
	v_dual_mov_b32 v8, v21 :: v_dual_mov_b32 v9, v22
	s_and_saveexec_b32 s0, s2
	s_cbranch_execz .LBB106_63
.LBB106_62:
	s_delay_alu instid0(VALU_DEP_1) | instskip(NEXT) | instid1(VALU_DEP_2)
	v_mul_f32_e32 v3, v4, v9
	v_mul_f32_e64 v10, v4, -v8
	s_lshl_b64 s[2:3], s[18:19], 3
	s_cmp_eq_u32 s6, 0
	v_add_co_u32 v1, vcc_lo, v6, s2
	v_fmac_f32_e32 v3, v8, v5
	v_fmac_f32_e32 v10, v9, v5
	v_add_co_ci_u32_e32 v2, vcc_lo, s3, v7, vcc_lo
	s_cselect_b32 vcc_lo, -1, 0
	s_delay_alu instid0(VALU_DEP_2)
	v_dual_cndmask_b32 v4, v8, v3 :: v_dual_cndmask_b32 v3, v9, v10
	global_store_b64 v[1:2], v[3:4], off
.LBB106_63:
	s_or_b32 exec_lo, exec_lo, s0
	s_waitcnt_vscnt null, 0x0
	buffer_gl1_inv
	buffer_gl0_inv
	s_barrier
	buffer_gl0_inv
	s_mov_b32 s0, exec_lo
	v_cmpx_eq_u32_e32 0, v0
	s_cbranch_execz .LBB106_65
; %bb.64:
	s_lshl_b64 s[0:1], s[16:17], 2
	v_dual_mov_b32 v0, 0 :: v_dual_mov_b32 v1, 1
	s_add_u32 s2, s10, s0
	s_addc_u32 s3, s11, s1
	s_lshl_b64 s[0:1], s[8:9], 2
	s_delay_alu instid0(SALU_CYCLE_1)
	s_add_u32 s0, s2, s0
	s_addc_u32 s1, s3, s1
	global_store_b32 v0, v1, s[0:1]
.LBB106_65:
	s_nop 0
	s_sendmsg sendmsg(MSG_DEALLOC_VGPRS)
	s_endpgm
.LBB106_66:
                                        ; implicit-def: $sgpr24_sgpr25
	s_load_b64 s[22:23], s[0:1], 0x38
	s_branch .LBB106_6
	.section	.rodata,"a",@progbits
	.p2align	6, 0x0
	.amdhsa_kernel _ZN9rocsparseL5csrsmILj128ELj64ELb1Ell21rocsparse_complex_numIfEEEv20rocsparse_operation_T3_S4_NS_24const_host_device_scalarIT4_EEPKT2_PKS4_PKS6_PS6_lPiSC_PS4_21rocsparse_index_base_20rocsparse_fill_mode_20rocsparse_diag_type_b
		.amdhsa_group_segment_fixed_size 2048
		.amdhsa_private_segment_fixed_size 0
		.amdhsa_kernarg_size 112
		.amdhsa_user_sgpr_count 15
		.amdhsa_user_sgpr_dispatch_ptr 0
		.amdhsa_user_sgpr_queue_ptr 0
		.amdhsa_user_sgpr_kernarg_segment_ptr 1
		.amdhsa_user_sgpr_dispatch_id 0
		.amdhsa_user_sgpr_private_segment_size 0
		.amdhsa_wavefront_size32 1
		.amdhsa_uses_dynamic_stack 0
		.amdhsa_enable_private_segment 0
		.amdhsa_system_sgpr_workgroup_id_x 1
		.amdhsa_system_sgpr_workgroup_id_y 0
		.amdhsa_system_sgpr_workgroup_id_z 0
		.amdhsa_system_sgpr_workgroup_info 0
		.amdhsa_system_vgpr_workitem_id 0
		.amdhsa_next_free_vgpr 25
		.amdhsa_next_free_sgpr 32
		.amdhsa_reserve_vcc 1
		.amdhsa_float_round_mode_32 0
		.amdhsa_float_round_mode_16_64 0
		.amdhsa_float_denorm_mode_32 3
		.amdhsa_float_denorm_mode_16_64 3
		.amdhsa_dx10_clamp 1
		.amdhsa_ieee_mode 1
		.amdhsa_fp16_overflow 0
		.amdhsa_workgroup_processor_mode 1
		.amdhsa_memory_ordered 1
		.amdhsa_forward_progress 0
		.amdhsa_shared_vgpr_count 0
		.amdhsa_exception_fp_ieee_invalid_op 0
		.amdhsa_exception_fp_denorm_src 0
		.amdhsa_exception_fp_ieee_div_zero 0
		.amdhsa_exception_fp_ieee_overflow 0
		.amdhsa_exception_fp_ieee_underflow 0
		.amdhsa_exception_fp_ieee_inexact 0
		.amdhsa_exception_int_div_zero 0
	.end_amdhsa_kernel
	.section	.text._ZN9rocsparseL5csrsmILj128ELj64ELb1Ell21rocsparse_complex_numIfEEEv20rocsparse_operation_T3_S4_NS_24const_host_device_scalarIT4_EEPKT2_PKS4_PKS6_PS6_lPiSC_PS4_21rocsparse_index_base_20rocsparse_fill_mode_20rocsparse_diag_type_b,"axG",@progbits,_ZN9rocsparseL5csrsmILj128ELj64ELb1Ell21rocsparse_complex_numIfEEEv20rocsparse_operation_T3_S4_NS_24const_host_device_scalarIT4_EEPKT2_PKS4_PKS6_PS6_lPiSC_PS4_21rocsparse_index_base_20rocsparse_fill_mode_20rocsparse_diag_type_b,comdat
.Lfunc_end106:
	.size	_ZN9rocsparseL5csrsmILj128ELj64ELb1Ell21rocsparse_complex_numIfEEEv20rocsparse_operation_T3_S4_NS_24const_host_device_scalarIT4_EEPKT2_PKS4_PKS6_PS6_lPiSC_PS4_21rocsparse_index_base_20rocsparse_fill_mode_20rocsparse_diag_type_b, .Lfunc_end106-_ZN9rocsparseL5csrsmILj128ELj64ELb1Ell21rocsparse_complex_numIfEEEv20rocsparse_operation_T3_S4_NS_24const_host_device_scalarIT4_EEPKT2_PKS4_PKS6_PS6_lPiSC_PS4_21rocsparse_index_base_20rocsparse_fill_mode_20rocsparse_diag_type_b
                                        ; -- End function
	.section	.AMDGPU.csdata,"",@progbits
; Kernel info:
; codeLenInByte = 2852
; NumSgprs: 34
; NumVgprs: 25
; ScratchSize: 0
; MemoryBound: 0
; FloatMode: 240
; IeeeMode: 1
; LDSByteSize: 2048 bytes/workgroup (compile time only)
; SGPRBlocks: 4
; VGPRBlocks: 3
; NumSGPRsForWavesPerEU: 34
; NumVGPRsForWavesPerEU: 25
; Occupancy: 16
; WaveLimiterHint : 1
; COMPUTE_PGM_RSRC2:SCRATCH_EN: 0
; COMPUTE_PGM_RSRC2:USER_SGPR: 15
; COMPUTE_PGM_RSRC2:TRAP_HANDLER: 0
; COMPUTE_PGM_RSRC2:TGID_X_EN: 1
; COMPUTE_PGM_RSRC2:TGID_Y_EN: 0
; COMPUTE_PGM_RSRC2:TGID_Z_EN: 0
; COMPUTE_PGM_RSRC2:TIDIG_COMP_CNT: 0
	.section	.text._ZN9rocsparseL5csrsmILj128ELj64ELb0Ell21rocsparse_complex_numIfEEEv20rocsparse_operation_T3_S4_NS_24const_host_device_scalarIT4_EEPKT2_PKS4_PKS6_PS6_lPiSC_PS4_21rocsparse_index_base_20rocsparse_fill_mode_20rocsparse_diag_type_b,"axG",@progbits,_ZN9rocsparseL5csrsmILj128ELj64ELb0Ell21rocsparse_complex_numIfEEEv20rocsparse_operation_T3_S4_NS_24const_host_device_scalarIT4_EEPKT2_PKS4_PKS6_PS6_lPiSC_PS4_21rocsparse_index_base_20rocsparse_fill_mode_20rocsparse_diag_type_b,comdat
	.globl	_ZN9rocsparseL5csrsmILj128ELj64ELb0Ell21rocsparse_complex_numIfEEEv20rocsparse_operation_T3_S4_NS_24const_host_device_scalarIT4_EEPKT2_PKS4_PKS6_PS6_lPiSC_PS4_21rocsparse_index_base_20rocsparse_fill_mode_20rocsparse_diag_type_b ; -- Begin function _ZN9rocsparseL5csrsmILj128ELj64ELb0Ell21rocsparse_complex_numIfEEEv20rocsparse_operation_T3_S4_NS_24const_host_device_scalarIT4_EEPKT2_PKS4_PKS6_PS6_lPiSC_PS4_21rocsparse_index_base_20rocsparse_fill_mode_20rocsparse_diag_type_b
	.p2align	8
	.type	_ZN9rocsparseL5csrsmILj128ELj64ELb0Ell21rocsparse_complex_numIfEEEv20rocsparse_operation_T3_S4_NS_24const_host_device_scalarIT4_EEPKT2_PKS4_PKS6_PS6_lPiSC_PS4_21rocsparse_index_base_20rocsparse_fill_mode_20rocsparse_diag_type_b,@function
_ZN9rocsparseL5csrsmILj128ELj64ELb0Ell21rocsparse_complex_numIfEEEv20rocsparse_operation_T3_S4_NS_24const_host_device_scalarIT4_EEPKT2_PKS4_PKS6_PS6_lPiSC_PS4_21rocsparse_index_base_20rocsparse_fill_mode_20rocsparse_diag_type_b: ; @_ZN9rocsparseL5csrsmILj128ELj64ELb0Ell21rocsparse_complex_numIfEEEv20rocsparse_operation_T3_S4_NS_24const_host_device_scalarIT4_EEPKT2_PKS4_PKS6_PS6_lPiSC_PS4_21rocsparse_index_base_20rocsparse_fill_mode_20rocsparse_diag_type_b
; %bb.0:
	s_clause 0x2
	s_load_b128 s[4:7], s[0:1], 0x60
	s_load_b64 s[2:3], s[0:1], 0x18
	s_load_b128 s[8:11], s[0:1], 0x8
	s_waitcnt lgkmcnt(0)
	s_bitcmp1_b32 s7, 0
	s_cselect_b32 s7, -1, 0
	s_delay_alu instid0(SALU_CYCLE_1)
	s_xor_b32 s12, s7, -1
	s_and_b32 vcc_lo, exec_lo, s7
	s_mov_b32 s7, s2
	s_cbranch_vccnz .LBB107_2
; %bb.1:
	s_load_b32 s7, s[2:3], 0x0
.LBB107_2:
	s_and_not1_b32 vcc_lo, exec_lo, s12
	s_cbranch_vccnz .LBB107_4
; %bb.3:
	s_load_b32 s3, s[2:3], 0x4
.LBB107_4:
	s_clause 0x1
	s_load_b64 s[16:17], s[0:1], 0x50
	s_load_b64 s[12:13], s[0:1], 0x20
	s_mov_b32 s18, 0
	s_mov_b32 s19, s9
	s_delay_alu instid0(SALU_CYCLE_1)
	s_cmp_lg_u64 s[18:19], 0
	s_cbranch_scc0 .LBB107_63
; %bb.5:
	s_ashr_i32 s20, s9, 31
	s_delay_alu instid0(SALU_CYCLE_1) | instskip(SKIP_2) | instid1(SALU_CYCLE_1)
	s_add_u32 s22, s8, s20
	s_mov_b32 s21, s20
	s_addc_u32 s23, s9, s20
	s_xor_b64 s[22:23], s[22:23], s[20:21]
	s_delay_alu instid0(SALU_CYCLE_1) | instskip(SKIP_3) | instid1(VALU_DEP_1)
	v_cvt_f32_u32_e32 v1, s22
	v_cvt_f32_u32_e32 v2, s23
	s_sub_u32 s19, 0, s22
	s_subb_u32 s24, 0, s23
	v_fmamk_f32 v1, v2, 0x4f800000, v1
	s_delay_alu instid0(VALU_DEP_1) | instskip(SKIP_2) | instid1(VALU_DEP_1)
	v_rcp_f32_e32 v1, v1
	s_waitcnt_depctr 0xfff
	v_mul_f32_e32 v1, 0x5f7ffffc, v1
	v_mul_f32_e32 v2, 0x2f800000, v1
	s_delay_alu instid0(VALU_DEP_1) | instskip(NEXT) | instid1(VALU_DEP_1)
	v_trunc_f32_e32 v2, v2
	v_fmamk_f32 v1, v2, 0xcf800000, v1
	v_cvt_u32_f32_e32 v2, v2
	s_delay_alu instid0(VALU_DEP_2) | instskip(NEXT) | instid1(VALU_DEP_2)
	v_cvt_u32_f32_e32 v1, v1
	v_readfirstlane_b32 s2, v2
	s_delay_alu instid0(VALU_DEP_2) | instskip(NEXT) | instid1(VALU_DEP_2)
	v_readfirstlane_b32 s14, v1
	s_mul_i32 s25, s19, s2
	s_delay_alu instid0(VALU_DEP_1)
	s_mul_hi_u32 s27, s19, s14
	s_mul_i32 s26, s24, s14
	s_add_i32 s25, s27, s25
	s_mul_i32 s28, s19, s14
	s_add_i32 s25, s25, s26
	s_mul_hi_u32 s27, s14, s28
	s_mul_hi_u32 s29, s2, s28
	s_mul_i32 s26, s2, s28
	s_mul_hi_u32 s28, s14, s25
	s_mul_i32 s14, s14, s25
	s_mul_hi_u32 s30, s2, s25
	s_add_u32 s14, s27, s14
	s_addc_u32 s27, 0, s28
	s_add_u32 s14, s14, s26
	s_mul_i32 s25, s2, s25
	s_addc_u32 s14, s27, s29
	s_addc_u32 s26, s30, 0
	s_add_u32 s14, s14, s25
	s_addc_u32 s25, 0, s26
	v_add_co_u32 v1, s14, v1, s14
	s_delay_alu instid0(VALU_DEP_1) | instskip(SKIP_1) | instid1(VALU_DEP_1)
	s_cmp_lg_u32 s14, 0
	s_addc_u32 s2, s2, s25
	v_readfirstlane_b32 s14, v1
	s_mul_i32 s25, s19, s2
	s_delay_alu instid0(VALU_DEP_1)
	s_mul_hi_u32 s26, s19, s14
	s_mul_i32 s24, s24, s14
	s_add_i32 s25, s26, s25
	s_mul_i32 s19, s19, s14
	s_add_i32 s25, s25, s24
	s_mul_hi_u32 s26, s2, s19
	s_mul_i32 s27, s2, s19
	s_mul_hi_u32 s19, s14, s19
	s_mul_hi_u32 s28, s14, s25
	s_mul_i32 s14, s14, s25
	s_mul_hi_u32 s24, s2, s25
	s_add_u32 s14, s19, s14
	s_addc_u32 s19, 0, s28
	s_add_u32 s14, s14, s27
	s_mul_i32 s25, s2, s25
	s_addc_u32 s14, s19, s26
	s_addc_u32 s19, s24, 0
	s_add_u32 s14, s14, s25
	s_addc_u32 s19, 0, s19
	v_add_co_u32 v1, s14, v1, s14
	s_delay_alu instid0(VALU_DEP_1) | instskip(SKIP_1) | instid1(VALU_DEP_1)
	s_cmp_lg_u32 s14, 0
	s_addc_u32 s2, s2, s19
	v_readfirstlane_b32 s14, v1
	s_mul_i32 s19, s15, s2
	s_mul_hi_u32 s2, s15, s2
	s_delay_alu instid0(VALU_DEP_1) | instskip(NEXT) | instid1(SALU_CYCLE_1)
	s_mul_hi_u32 s14, s15, s14
	s_add_u32 s14, s14, s19
	s_addc_u32 s2, 0, s2
	s_add_u32 s14, s14, 0
	s_addc_u32 s2, s2, 0
	s_addc_u32 s14, 0, 0
	s_add_u32 s2, s2, 0
	s_addc_u32 s14, 0, s14
	s_mul_hi_u32 s19, s22, s2
	s_mul_i32 s25, s22, s14
	s_mul_i32 s26, s22, s2
	s_add_i32 s19, s19, s25
	v_sub_co_u32 v1, s25, s15, s26
	s_mul_i32 s24, s23, s2
	s_delay_alu instid0(SALU_CYCLE_1) | instskip(NEXT) | instid1(VALU_DEP_1)
	s_add_i32 s19, s19, s24
	v_sub_co_u32 v2, s26, v1, s22
	s_sub_i32 s24, 0, s19
	s_cmp_lg_u32 s25, 0
	s_subb_u32 s24, s24, s23
	s_cmp_lg_u32 s26, 0
	v_readfirstlane_b32 s26, v2
	s_subb_u32 s24, s24, 0
	s_delay_alu instid0(SALU_CYCLE_1) | instskip(SKIP_1) | instid1(VALU_DEP_1)
	s_cmp_ge_u32 s24, s23
	s_cselect_b32 s27, -1, 0
	s_cmp_ge_u32 s26, s22
	s_cselect_b32 s26, -1, 0
	s_cmp_eq_u32 s24, s23
	s_cselect_b32 s24, s26, s27
	s_add_u32 s26, s2, 1
	s_addc_u32 s27, s14, 0
	s_add_u32 s28, s2, 2
	s_addc_u32 s29, s14, 0
	s_cmp_lg_u32 s24, 0
	s_cselect_b32 s24, s28, s26
	s_cselect_b32 s26, s29, s27
	s_cmp_lg_u32 s25, 0
	v_readfirstlane_b32 s25, v1
	s_subb_u32 s19, 0, s19
	s_delay_alu instid0(SALU_CYCLE_1) | instskip(SKIP_1) | instid1(VALU_DEP_1)
	s_cmp_ge_u32 s19, s23
	s_cselect_b32 s27, -1, 0
	s_cmp_ge_u32 s25, s22
	s_cselect_b32 s22, -1, 0
	s_cmp_eq_u32 s19, s23
	s_cselect_b32 s19, s22, s27
	s_delay_alu instid0(SALU_CYCLE_1) | instskip(SKIP_2) | instid1(SALU_CYCLE_1)
	s_cmp_lg_u32 s19, 0
	s_cselect_b32 s23, s26, s14
	s_cselect_b32 s22, s24, s2
	s_xor_b64 s[22:23], s[22:23], s[20:21]
	s_delay_alu instid0(SALU_CYCLE_1)
	s_sub_u32 s24, s22, s20
	s_subb_u32 s25, s23, s20
	s_load_b64 s[22:23], s[0:1], 0x38
	s_and_not1_b32 vcc_lo, exec_lo, s18
	s_cbranch_vccnz .LBB107_7
.LBB107_6:
	v_cvt_f32_u32_e32 v1, s8
	s_sub_i32 s14, 0, s8
	s_mov_b32 s25, 0
	s_delay_alu instid0(VALU_DEP_1) | instskip(SKIP_2) | instid1(VALU_DEP_1)
	v_rcp_iflag_f32_e32 v1, v1
	s_waitcnt_depctr 0xfff
	v_mul_f32_e32 v1, 0x4f7ffffe, v1
	v_cvt_u32_f32_e32 v1, v1
	s_delay_alu instid0(VALU_DEP_1) | instskip(NEXT) | instid1(VALU_DEP_1)
	v_readfirstlane_b32 s2, v1
	s_mul_i32 s14, s14, s2
	s_delay_alu instid0(SALU_CYCLE_1) | instskip(NEXT) | instid1(SALU_CYCLE_1)
	s_mul_hi_u32 s14, s2, s14
	s_add_i32 s2, s2, s14
	s_delay_alu instid0(SALU_CYCLE_1) | instskip(NEXT) | instid1(SALU_CYCLE_1)
	s_mul_hi_u32 s2, s15, s2
	s_mul_i32 s14, s2, s8
	s_add_i32 s18, s2, 1
	s_sub_i32 s14, s15, s14
	s_delay_alu instid0(SALU_CYCLE_1)
	s_sub_i32 s19, s14, s8
	s_cmp_ge_u32 s14, s8
	s_cselect_b32 s2, s18, s2
	s_cselect_b32 s14, s19, s14
	s_add_i32 s18, s2, 1
	s_cmp_ge_u32 s14, s8
	s_cselect_b32 s24, s18, s2
.LBB107_7:
	s_delay_alu instid0(SALU_CYCLE_1)
	s_mul_i32 s2, s24, s9
	s_mul_hi_u32 s9, s24, s8
	s_load_b32 s26, s[0:1], 0x0
	s_add_i32 s2, s9, s2
	s_mul_i32 s9, s25, s8
	s_mul_i32 s8, s24, s8
	s_add_i32 s9, s2, s9
	s_sub_u32 s14, s15, s8
	s_subb_u32 s15, 0, s9
	v_mov_b32_e32 v1, 0
	s_lshl_b64 s[14:15], s[14:15], 3
	s_waitcnt lgkmcnt(0)
	s_add_u32 s14, s16, s14
	s_addc_u32 s15, s17, s15
	s_load_b64 s[16:17], s[14:15], 0x0
	s_load_b64 s[20:21], s[0:1], 0x40
	s_waitcnt lgkmcnt(0)
	s_lshl_b64 s[14:15], s[16:17], 3
	s_mul_i32 s2, s16, s21
	s_add_u32 s12, s12, s14
	s_addc_u32 s13, s13, s15
	s_lshl_b64 s[24:25], s[24:25], 7
	s_load_b128 s[12:15], s[12:13], 0x0
	s_mul_hi_u32 s18, s16, s20
	v_or_b32_e32 v2, s24, v0
	v_mov_b32_e32 v3, s25
	s_add_i32 s2, s18, s2
	s_mul_i32 s18, s17, s20
	v_mov_b32_e32 v5, s25
	s_add_i32 s19, s2, s18
	s_mul_i32 s18, s16, s20
	v_cmp_gt_i64_e64 s2, s[10:11], v[2:3]
	v_add_co_u32 v4, vcc_lo, v2, s18
	v_add_co_ci_u32_e32 v5, vcc_lo, s19, v5, vcc_lo
	s_cmpk_lg_i32 s26, 0x71
	s_cbranch_scc0 .LBB107_11
; %bb.8:
	v_mov_b32_e32 v8, v1
	v_mov_b32_e32 v9, v1
	s_mov_b32 s24, 0
	s_and_saveexec_b32 s10, s2
	s_cbranch_execz .LBB107_10
; %bb.9:
	v_lshlrev_b64 v[6:7], 3, v[4:5]
	s_delay_alu instid0(VALU_DEP_1) | instskip(NEXT) | instid1(VALU_DEP_2)
	v_add_co_u32 v6, vcc_lo, s22, v6
	v_add_co_ci_u32_e32 v7, vcc_lo, s23, v7, vcc_lo
	global_load_b64 v[6:7], v[6:7], off
	s_waitcnt vmcnt(0)
	v_mul_f32_e64 v9, v7, -s3
	s_delay_alu instid0(VALU_DEP_1) | instskip(NEXT) | instid1(VALU_DEP_1)
	v_dual_mul_f32 v8, s7, v7 :: v_dual_fmac_f32 v9, s7, v6
	v_fmac_f32_e32 v8, s3, v6
.LBB107_10:
	s_or_b32 exec_lo, exec_lo, s10
	s_load_b64 s[10:11], s[0:1], 0x48
	s_and_not1_b32 vcc_lo, exec_lo, s24
	s_cbranch_vccz .LBB107_12
	s_branch .LBB107_15
.LBB107_11:
                                        ; implicit-def: $vgpr8
                                        ; implicit-def: $vgpr9
	s_load_b64 s[10:11], s[0:1], 0x48
.LBB107_12:
	v_dual_mov_b32 v8, 0 :: v_dual_mov_b32 v9, 0
	s_and_saveexec_b32 s24, s2
	s_cbranch_execz .LBB107_14
; %bb.13:
	v_lshlrev_b64 v[4:5], 3, v[4:5]
	s_delay_alu instid0(VALU_DEP_1) | instskip(NEXT) | instid1(VALU_DEP_2)
	v_add_co_u32 v4, vcc_lo, s22, v4
	v_add_co_ci_u32_e32 v5, vcc_lo, s23, v5, vcc_lo
	global_load_b64 v[4:5], v[4:5], off
	s_waitcnt vmcnt(0)
	v_mul_f32_e64 v8, s7, -v5
	s_delay_alu instid0(VALU_DEP_1) | instskip(NEXT) | instid1(VALU_DEP_1)
	v_dual_mul_f32 v9, s3, v5 :: v_dual_fmac_f32 v8, s3, v4
	v_fmac_f32_e32 v9, s7, v4
.LBB107_14:
	s_or_b32 exec_lo, exec_lo, s24
.LBB107_15:
	v_lshlrev_b64 v[2:3], 3, v[2:3]
	s_waitcnt lgkmcnt(0)
	v_cmp_ge_i64_e64 s3, s[12:13], s[14:15]
	s_delay_alu instid0(VALU_DEP_2) | instskip(NEXT) | instid1(VALU_DEP_3)
	v_add_co_u32 v6, vcc_lo, s22, v2
	v_add_co_ci_u32_e32 v7, vcc_lo, s23, v3, vcc_lo
	s_delay_alu instid0(VALU_DEP_3)
	s_and_b32 vcc_lo, exec_lo, s3
	v_cmp_eq_u32_e64 s3, 0, v0
	s_cbranch_vccnz .LBB107_57
; %bb.16:
	s_clause 0x1
	s_load_b128 s[24:27], s[0:1], 0x28
	s_load_b64 s[22:23], s[0:1], 0x58
	v_dual_mov_b32 v11, 0 :: v_dual_lshlrev_b32 v10, 3, v0
	s_lshl_b64 s[0:1], s[8:9], 2
	v_dual_mov_b32 v17, 1.0 :: v_dual_mov_b32 v18, 0
	s_add_u32 s7, s10, s0
	s_addc_u32 s28, s11, s1
	s_sub_u32 s12, s12, s4
	s_subb_u32 s13, s13, 0
	s_sub_u32 s14, s14, s4
	s_subb_u32 s15, s15, 0
	v_or_b32_e32 v12, 0x400, v10
	s_cmp_eq_u32 s6, 0
	s_cselect_b32 s29, -1, 0
	s_waitcnt lgkmcnt(0)
	v_add_co_u32 v13, s0, s24, v10
	s_delay_alu instid0(VALU_DEP_1) | instskip(SKIP_1) | instid1(VALU_DEP_1)
	v_add_co_ci_u32_e64 v14, null, s25, 0, s0
	v_add_co_u32 v15, s0, s26, v10
	v_add_co_ci_u32_e64 v16, null, s27, 0, s0
	s_add_u32 s24, s16, s4
	s_addc_u32 s25, s17, 0
	s_mov_b64 s[26:27], s[12:13]
	s_branch .LBB107_19
.LBB107_17:                             ;   in Loop: Header=BB107_19 Depth=1
	s_add_u32 s26, s26, 1
	s_addc_u32 s27, s27, 0
	s_delay_alu instid0(SALU_CYCLE_1)
	v_cmp_ge_i64_e64 s1, s[26:27], s[14:15]
.LBB107_18:                             ;   in Loop: Header=BB107_19 Depth=1
	v_dual_mov_b32 v8, v21 :: v_dual_mov_b32 v9, v22
	v_dual_mov_b32 v18, v4 :: v_dual_mov_b32 v17, v5
	s_delay_alu instid0(VALU_DEP_3)
	s_and_not1_b32 vcc_lo, exec_lo, s1
	s_cbranch_vccz .LBB107_58
.LBB107_19:                             ; =>This Loop Header: Depth=1
                                        ;     Child Loop BB107_48 Depth 2
	s_sub_i32 s0, s26, s12
	s_delay_alu instid0(SALU_CYCLE_1) | instskip(NEXT) | instid1(SALU_CYCLE_1)
	s_and_b32 s0, s0, 0x7f
	s_cmp_lg_u32 s0, 0
	s_cbranch_scc1 .LBB107_23
; %bb.20:                               ;   in Loop: Header=BB107_19 Depth=1
	v_dual_mov_b32 v4, -1 :: v_dual_mov_b32 v3, 0
	v_dual_mov_b32 v5, -1 :: v_dual_mov_b32 v2, -1.0
	s_sub_u32 s30, s14, s26
	s_subb_u32 s31, s15, s27
	s_mov_b32 s1, exec_lo
	v_cmpx_gt_i64_e64 s[30:31], v[0:1]
	s_cbranch_execz .LBB107_22
; %bb.21:                               ;   in Loop: Header=BB107_19 Depth=1
	s_lshl_b64 s[30:31], s[26:27], 3
	s_delay_alu instid0(SALU_CYCLE_1)
	v_add_co_u32 v2, vcc_lo, v13, s30
	v_add_co_ci_u32_e32 v3, vcc_lo, s31, v14, vcc_lo
	global_load_b64 v[4:5], v[2:3], off
	v_add_co_u32 v2, vcc_lo, v15, s30
	v_add_co_ci_u32_e32 v3, vcc_lo, s31, v16, vcc_lo
	global_load_b64 v[2:3], v[2:3], off
	s_waitcnt vmcnt(1)
	v_sub_co_u32 v4, vcc_lo, v4, s4
	v_subrev_co_ci_u32_e32 v5, vcc_lo, 0, v5, vcc_lo
.LBB107_22:                             ;   in Loop: Header=BB107_19 Depth=1
	s_or_b32 exec_lo, exec_lo, s1
	ds_store_b64 v10, v[4:5]
	s_waitcnt vmcnt(0)
	ds_store_b64 v12, v[2:3]
.LBB107_23:                             ;   in Loop: Header=BB107_19 Depth=1
	s_lshl_b32 s0, s0, 3
	s_waitcnt lgkmcnt(0)
	v_mov_b32_e32 v2, s0
	s_waitcnt_vscnt null, 0x0
	s_barrier
	buffer_gl0_inv
	ds_load_2addr_stride64_b64 v[2:5], v2 offset1:2
	s_waitcnt lgkmcnt(0)
	v_cmp_eq_f32_e32 vcc_lo, 0, v4
	v_cmp_eq_f32_e64 s1, 0, v5
	v_cmp_eq_u64_e64 s0, s[16:17], v[2:3]
	v_cmp_ne_u64_e64 s13, s[16:17], v[2:3]
	s_delay_alu instid0(VALU_DEP_3)
	s_and_b32 s1, vcc_lo, s1
	s_delay_alu instid0(VALU_DEP_2) | instid1(SALU_CYCLE_1)
	s_and_b32 s1, s1, s0
	s_delay_alu instid0(SALU_CYCLE_1) | instskip(NEXT) | instid1(SALU_CYCLE_1)
	s_and_b32 s1, s29, s1
	v_cndmask_b32_e64 v19, v5, 0, s1
	v_cndmask_b32_e64 v20, v4, 1.0, s1
	s_and_b32 s30, s3, s1
	s_delay_alu instid0(SALU_CYCLE_1)
	s_and_saveexec_b32 s1, s30
	s_cbranch_execz .LBB107_27
; %bb.24:                               ;   in Loop: Header=BB107_19 Depth=1
	v_mbcnt_lo_u32_b32 v4, exec_lo, 0
	s_mov_b32 s30, exec_lo
	s_delay_alu instid0(VALU_DEP_1)
	v_cmpx_eq_u32_e32 0, v4
	s_cbranch_execz .LBB107_26
; %bb.25:                               ;   in Loop: Header=BB107_19 Depth=1
	v_dual_mov_b32 v4, s24 :: v_dual_mov_b32 v5, s25
	global_atomic_min_u64 v11, v[4:5], s[22:23]
.LBB107_26:                             ;   in Loop: Header=BB107_19 Depth=1
	s_or_b32 exec_lo, exec_lo, s30
	v_dual_mov_b32 v19, 0 :: v_dual_mov_b32 v20, 1.0
.LBB107_27:                             ;   in Loop: Header=BB107_19 Depth=1
	s_or_b32 exec_lo, exec_lo, s1
	s_cmp_lt_i32 s5, 1
	s_mov_b32 s1, 0
	s_cbranch_scc1 .LBB107_33
; %bb.28:                               ;   in Loop: Header=BB107_19 Depth=1
	s_cmp_eq_u32 s5, 1
	s_cbranch_scc0 .LBB107_34
; %bb.29:                               ;   in Loop: Header=BB107_19 Depth=1
	v_cmp_le_i64_e32 vcc_lo, s[16:17], v[2:3]
	v_dual_mov_b32 v4, v18 :: v_dual_mov_b32 v5, v17
	s_mov_b32 s30, 0
	s_cbranch_vccz .LBB107_36
; %bb.30:                               ;   in Loop: Header=BB107_19 Depth=1
	s_and_b32 vcc_lo, exec_lo, s0
	s_cbranch_vccz .LBB107_35
; %bb.31:                               ;   in Loop: Header=BB107_19 Depth=1
	v_dual_mov_b32 v4, v18 :: v_dual_mov_b32 v5, v17
	s_and_not1_b32 vcc_lo, exec_lo, s29
	s_cbranch_vccnz .LBB107_36
; %bb.32:                               ;   in Loop: Header=BB107_19 Depth=1
	v_mul_f32_e32 v4, v19, v19
	s_delay_alu instid0(VALU_DEP_1) | instskip(NEXT) | instid1(VALU_DEP_1)
	v_fmac_f32_e32 v4, v20, v20
	v_div_scale_f32 v5, null, v4, v4, 1.0
	v_div_scale_f32 v23, vcc_lo, 1.0, v4, 1.0
	s_delay_alu instid0(VALU_DEP_2) | instskip(SKIP_2) | instid1(VALU_DEP_1)
	v_rcp_f32_e32 v21, v5
	s_waitcnt_depctr 0xfff
	v_fma_f32 v22, -v5, v21, 1.0
	v_fmac_f32_e32 v21, v22, v21
	s_delay_alu instid0(VALU_DEP_1) | instskip(NEXT) | instid1(VALU_DEP_1)
	v_mul_f32_e32 v22, v23, v21
	v_fma_f32 v24, -v5, v22, v23
	s_delay_alu instid0(VALU_DEP_1) | instskip(NEXT) | instid1(VALU_DEP_1)
	v_fmac_f32_e32 v22, v24, v21
	v_fma_f32 v5, -v5, v22, v23
	s_delay_alu instid0(VALU_DEP_1) | instskip(SKIP_2) | instid1(VALU_DEP_3)
	v_div_fmas_f32 v5, v5, v21, v22
	v_fma_f32 v21, 0, v19, v20
	v_fma_f32 v22, v20, 0, -v19
	v_div_fixup_f32 v4, v5, v4, 1.0
	s_delay_alu instid0(VALU_DEP_1) | instskip(NEXT) | instid1(VALU_DEP_3)
	v_mul_f32_e32 v5, v21, v4
	v_mul_f32_e32 v4, v22, v4
	s_branch .LBB107_36
.LBB107_33:                             ;   in Loop: Header=BB107_19 Depth=1
	s_mov_b32 s30, 0
                                        ; implicit-def: $sgpr0
                                        ; implicit-def: $vgpr21
                                        ; implicit-def: $vgpr22
                                        ; implicit-def: $vgpr4
                                        ; implicit-def: $vgpr5
	s_cbranch_execnz .LBB107_37
	s_branch .LBB107_39
.LBB107_34:                             ;   in Loop: Header=BB107_19 Depth=1
	s_mov_b32 s30, -1
                                        ; implicit-def: $sgpr0
                                        ; implicit-def: $vgpr21
                                        ; implicit-def: $vgpr22
                                        ; implicit-def: $vgpr4
                                        ; implicit-def: $vgpr5
	s_branch .LBB107_39
.LBB107_35:                             ;   in Loop: Header=BB107_19 Depth=1
	s_mov_b32 s30, -1
                                        ; implicit-def: $vgpr4
                                        ; implicit-def: $vgpr5
.LBB107_36:                             ;   in Loop: Header=BB107_19 Depth=1
	v_dual_mov_b32 v21, v8 :: v_dual_mov_b32 v22, v9
	s_mov_b32 s0, 4
	s_branch .LBB107_39
.LBB107_37:                             ;   in Loop: Header=BB107_19 Depth=1
	s_cmp_eq_u32 s5, 0
	s_cbranch_scc1 .LBB107_43
; %bb.38:                               ;   in Loop: Header=BB107_19 Depth=1
	s_mov_b32 s30, -1
                                        ; implicit-def: $sgpr0
                                        ; implicit-def: $vgpr21
                                        ; implicit-def: $vgpr22
                                        ; implicit-def: $vgpr4
                                        ; implicit-def: $vgpr5
.LBB107_39:                             ;   in Loop: Header=BB107_19 Depth=1
	s_delay_alu instid0(SALU_CYCLE_1)
	s_and_b32 vcc_lo, exec_lo, s30
	s_cbranch_vccnz .LBB107_46
.LBB107_40:                             ;   in Loop: Header=BB107_19 Depth=1
	s_and_b32 vcc_lo, exec_lo, s1
	s_cbranch_vccnz .LBB107_52
.LBB107_41:                             ;   in Loop: Header=BB107_19 Depth=1
	s_cmp_gt_i32 s0, 3
	s_mov_b32 s1, -1
	s_cbranch_scc1 .LBB107_55
.LBB107_42:                             ;   in Loop: Header=BB107_19 Depth=1
	s_cmp_eq_u32 s0, 0
	s_cselect_b32 s0, -1, 0
	s_delay_alu instid0(SALU_CYCLE_1)
	s_and_not1_b32 vcc_lo, exec_lo, s0
	s_cbranch_vccz .LBB107_17
	s_branch .LBB107_56
.LBB107_43:                             ;   in Loop: Header=BB107_19 Depth=1
	v_cmp_ge_i64_e32 vcc_lo, s[16:17], v[2:3]
	s_mov_b32 s30, 0
	s_cbranch_vccz .LBB107_45
; %bb.44:                               ;   in Loop: Header=BB107_19 Depth=1
	s_mov_b32 s1, -1
	s_mov_b32 s30, s13
.LBB107_45:                             ;   in Loop: Header=BB107_19 Depth=1
	v_dual_mov_b32 v21, v8 :: v_dual_mov_b32 v22, v9
	v_dual_mov_b32 v4, v18 :: v_dual_mov_b32 v5, v17
	s_mov_b32 s0, 2
	s_and_b32 vcc_lo, exec_lo, s30
	s_cbranch_vccz .LBB107_40
.LBB107_46:                             ;   in Loop: Header=BB107_19 Depth=1
	s_and_saveexec_b32 s0, s3
	s_cbranch_execz .LBB107_49
; %bb.47:                               ;   in Loop: Header=BB107_19 Depth=1
	v_lshlrev_b64 v[4:5], 2, v[2:3]
	s_delay_alu instid0(VALU_DEP_1) | instskip(NEXT) | instid1(VALU_DEP_2)
	v_add_co_u32 v4, vcc_lo, s7, v4
	v_add_co_ci_u32_e32 v5, vcc_lo, s28, v5, vcc_lo
	global_load_b32 v21, v[4:5], off glc
	s_waitcnt vmcnt(0)
	v_cmp_ne_u32_e32 vcc_lo, 0, v21
	s_cbranch_vccnz .LBB107_49
.LBB107_48:                             ;   Parent Loop BB107_19 Depth=1
                                        ; =>  This Inner Loop Header: Depth=2
	global_load_b32 v21, v[4:5], off glc
	s_waitcnt vmcnt(0)
	v_cmp_eq_u32_e32 vcc_lo, 0, v21
	s_cbranch_vccnz .LBB107_48
.LBB107_49:                             ;   in Loop: Header=BB107_19 Depth=1
	s_or_b32 exec_lo, exec_lo, s0
	v_dual_mov_b32 v21, 0 :: v_dual_mov_b32 v22, 0
	s_mov_b32 s1, 0
	s_waitcnt_vscnt null, 0x0
	s_barrier
	buffer_gl0_inv
	buffer_gl1_inv
	buffer_gl0_inv
	s_and_saveexec_b32 s0, s2
	s_cbranch_execz .LBB107_51
; %bb.50:                               ;   in Loop: Header=BB107_19 Depth=1
	v_mul_lo_u32 v4, v2, s21
	v_mul_hi_u32 v5, v2, s20
	v_mul_lo_u32 v3, v3, s20
	v_mul_lo_u32 v2, v2, s20
	s_delay_alu instid0(VALU_DEP_3) | instskip(NEXT) | instid1(VALU_DEP_1)
	v_add_nc_u32_e32 v4, v5, v4
	v_add_nc_u32_e32 v3, v4, v3
	s_delay_alu instid0(VALU_DEP_1) | instskip(NEXT) | instid1(VALU_DEP_1)
	v_lshlrev_b64 v[2:3], 3, v[2:3]
	v_add_co_u32 v2, vcc_lo, v6, v2
	s_delay_alu instid0(VALU_DEP_2) | instskip(SKIP_4) | instid1(VALU_DEP_2)
	v_add_co_ci_u32_e32 v3, vcc_lo, v7, v3, vcc_lo
	global_load_b64 v[2:3], v[2:3], off
	s_waitcnt vmcnt(0)
	v_fma_f32 v22, -v20, v2, v9
	v_fma_f32 v2, -v19, v2, v8
	v_fmac_f32_e32 v22, v19, v3
	s_delay_alu instid0(VALU_DEP_2)
	v_fma_f32 v21, -v20, v3, v2
.LBB107_51:                             ;   in Loop: Header=BB107_19 Depth=1
	s_or_b32 exec_lo, exec_lo, s0
	v_dual_mov_b32 v4, v18 :: v_dual_mov_b32 v5, v17
	s_mov_b32 s0, 0
	s_and_b32 vcc_lo, exec_lo, s1
	s_cbranch_vccz .LBB107_41
.LBB107_52:                             ;   in Loop: Header=BB107_19 Depth=1
	s_and_not1_b32 vcc_lo, exec_lo, s29
	s_cbranch_vccnz .LBB107_54
; %bb.53:                               ;   in Loop: Header=BB107_19 Depth=1
	v_mul_f32_e32 v2, v19, v19
	s_delay_alu instid0(VALU_DEP_1) | instskip(NEXT) | instid1(VALU_DEP_1)
	v_fmac_f32_e32 v2, v20, v20
	v_div_scale_f32 v3, null, v2, v2, 1.0
	v_div_scale_f32 v17, vcc_lo, 1.0, v2, 1.0
	s_delay_alu instid0(VALU_DEP_2) | instskip(SKIP_2) | instid1(VALU_DEP_1)
	v_rcp_f32_e32 v4, v3
	s_waitcnt_depctr 0xfff
	v_fma_f32 v5, -v3, v4, 1.0
	v_fmac_f32_e32 v4, v5, v4
	s_delay_alu instid0(VALU_DEP_1) | instskip(NEXT) | instid1(VALU_DEP_1)
	v_mul_f32_e32 v5, v17, v4
	v_fma_f32 v18, -v3, v5, v17
	s_delay_alu instid0(VALU_DEP_1) | instskip(NEXT) | instid1(VALU_DEP_1)
	v_fmac_f32_e32 v5, v18, v4
	v_fma_f32 v3, -v3, v5, v17
	s_delay_alu instid0(VALU_DEP_1) | instskip(SKIP_1) | instid1(VALU_DEP_2)
	v_div_fmas_f32 v3, v3, v4, v5
	v_fma_f32 v4, 0, v19, v20
	v_div_fixup_f32 v2, v3, v2, 1.0
	v_fma_f32 v3, v20, 0, -v19
	s_delay_alu instid0(VALU_DEP_2) | instskip(NEXT) | instid1(VALU_DEP_2)
	v_mul_f32_e32 v17, v4, v2
	v_mul_f32_e32 v18, v3, v2
.LBB107_54:                             ;   in Loop: Header=BB107_19 Depth=1
	s_delay_alu instid0(VALU_DEP_1) | instskip(SKIP_2) | instid1(SALU_CYCLE_1)
	v_dual_mov_b32 v5, v17 :: v_dual_mov_b32 v4, v18
	v_dual_mov_b32 v22, v9 :: v_dual_mov_b32 v21, v8
	s_mov_b32 s0, 2
	s_cmp_gt_i32 s0, 3
	s_mov_b32 s1, -1
	s_cbranch_scc0 .LBB107_42
.LBB107_55:                             ;   in Loop: Header=BB107_19 Depth=1
	s_branch .LBB107_17
.LBB107_56:                             ;   in Loop: Header=BB107_19 Depth=1
                                        ; implicit-def: $sgpr26_sgpr27
	s_branch .LBB107_18
.LBB107_57:
	v_dual_mov_b32 v4, 0 :: v_dual_mov_b32 v5, 1.0
	s_and_saveexec_b32 s0, s2
	s_cbranch_execnz .LBB107_59
	s_branch .LBB107_60
.LBB107_58:
	v_dual_mov_b32 v8, v21 :: v_dual_mov_b32 v9, v22
	s_and_saveexec_b32 s0, s2
	s_cbranch_execz .LBB107_60
.LBB107_59:
	s_delay_alu instid0(VALU_DEP_1) | instskip(NEXT) | instid1(VALU_DEP_2)
	v_mul_f32_e32 v3, v4, v9
	v_mul_f32_e64 v10, v4, -v8
	s_lshl_b64 s[2:3], s[18:19], 3
	s_cmp_eq_u32 s6, 0
	v_add_co_u32 v1, vcc_lo, v6, s2
	v_fmac_f32_e32 v3, v8, v5
	v_fmac_f32_e32 v10, v9, v5
	v_add_co_ci_u32_e32 v2, vcc_lo, s3, v7, vcc_lo
	s_cselect_b32 vcc_lo, -1, 0
	s_delay_alu instid0(VALU_DEP_2)
	v_dual_cndmask_b32 v4, v8, v3 :: v_dual_cndmask_b32 v3, v9, v10
	global_store_b64 v[1:2], v[3:4], off
.LBB107_60:
	s_or_b32 exec_lo, exec_lo, s0
	s_waitcnt_vscnt null, 0x0
	buffer_gl1_inv
	buffer_gl0_inv
	s_barrier
	buffer_gl0_inv
	s_mov_b32 s0, exec_lo
	v_cmpx_eq_u32_e32 0, v0
	s_cbranch_execz .LBB107_62
; %bb.61:
	s_lshl_b64 s[0:1], s[16:17], 2
	v_dual_mov_b32 v0, 0 :: v_dual_mov_b32 v1, 1
	s_add_u32 s2, s10, s0
	s_addc_u32 s3, s11, s1
	s_lshl_b64 s[0:1], s[8:9], 2
	s_delay_alu instid0(SALU_CYCLE_1)
	s_add_u32 s0, s2, s0
	s_addc_u32 s1, s3, s1
	global_store_b32 v0, v1, s[0:1]
.LBB107_62:
	s_nop 0
	s_sendmsg sendmsg(MSG_DEALLOC_VGPRS)
	s_endpgm
.LBB107_63:
                                        ; implicit-def: $sgpr24_sgpr25
	s_load_b64 s[22:23], s[0:1], 0x38
	s_branch .LBB107_6
	.section	.rodata,"a",@progbits
	.p2align	6, 0x0
	.amdhsa_kernel _ZN9rocsparseL5csrsmILj128ELj64ELb0Ell21rocsparse_complex_numIfEEEv20rocsparse_operation_T3_S4_NS_24const_host_device_scalarIT4_EEPKT2_PKS4_PKS6_PS6_lPiSC_PS4_21rocsparse_index_base_20rocsparse_fill_mode_20rocsparse_diag_type_b
		.amdhsa_group_segment_fixed_size 2048
		.amdhsa_private_segment_fixed_size 0
		.amdhsa_kernarg_size 112
		.amdhsa_user_sgpr_count 15
		.amdhsa_user_sgpr_dispatch_ptr 0
		.amdhsa_user_sgpr_queue_ptr 0
		.amdhsa_user_sgpr_kernarg_segment_ptr 1
		.amdhsa_user_sgpr_dispatch_id 0
		.amdhsa_user_sgpr_private_segment_size 0
		.amdhsa_wavefront_size32 1
		.amdhsa_uses_dynamic_stack 0
		.amdhsa_enable_private_segment 0
		.amdhsa_system_sgpr_workgroup_id_x 1
		.amdhsa_system_sgpr_workgroup_id_y 0
		.amdhsa_system_sgpr_workgroup_id_z 0
		.amdhsa_system_sgpr_workgroup_info 0
		.amdhsa_system_vgpr_workitem_id 0
		.amdhsa_next_free_vgpr 25
		.amdhsa_next_free_sgpr 32
		.amdhsa_reserve_vcc 1
		.amdhsa_float_round_mode_32 0
		.amdhsa_float_round_mode_16_64 0
		.amdhsa_float_denorm_mode_32 3
		.amdhsa_float_denorm_mode_16_64 3
		.amdhsa_dx10_clamp 1
		.amdhsa_ieee_mode 1
		.amdhsa_fp16_overflow 0
		.amdhsa_workgroup_processor_mode 1
		.amdhsa_memory_ordered 1
		.amdhsa_forward_progress 0
		.amdhsa_shared_vgpr_count 0
		.amdhsa_exception_fp_ieee_invalid_op 0
		.amdhsa_exception_fp_denorm_src 0
		.amdhsa_exception_fp_ieee_div_zero 0
		.amdhsa_exception_fp_ieee_overflow 0
		.amdhsa_exception_fp_ieee_underflow 0
		.amdhsa_exception_fp_ieee_inexact 0
		.amdhsa_exception_int_div_zero 0
	.end_amdhsa_kernel
	.section	.text._ZN9rocsparseL5csrsmILj128ELj64ELb0Ell21rocsparse_complex_numIfEEEv20rocsparse_operation_T3_S4_NS_24const_host_device_scalarIT4_EEPKT2_PKS4_PKS6_PS6_lPiSC_PS4_21rocsparse_index_base_20rocsparse_fill_mode_20rocsparse_diag_type_b,"axG",@progbits,_ZN9rocsparseL5csrsmILj128ELj64ELb0Ell21rocsparse_complex_numIfEEEv20rocsparse_operation_T3_S4_NS_24const_host_device_scalarIT4_EEPKT2_PKS4_PKS6_PS6_lPiSC_PS4_21rocsparse_index_base_20rocsparse_fill_mode_20rocsparse_diag_type_b,comdat
.Lfunc_end107:
	.size	_ZN9rocsparseL5csrsmILj128ELj64ELb0Ell21rocsparse_complex_numIfEEEv20rocsparse_operation_T3_S4_NS_24const_host_device_scalarIT4_EEPKT2_PKS4_PKS6_PS6_lPiSC_PS4_21rocsparse_index_base_20rocsparse_fill_mode_20rocsparse_diag_type_b, .Lfunc_end107-_ZN9rocsparseL5csrsmILj128ELj64ELb0Ell21rocsparse_complex_numIfEEEv20rocsparse_operation_T3_S4_NS_24const_host_device_scalarIT4_EEPKT2_PKS4_PKS6_PS6_lPiSC_PS4_21rocsparse_index_base_20rocsparse_fill_mode_20rocsparse_diag_type_b
                                        ; -- End function
	.section	.AMDGPU.csdata,"",@progbits
; Kernel info:
; codeLenInByte = 2792
; NumSgprs: 34
; NumVgprs: 25
; ScratchSize: 0
; MemoryBound: 0
; FloatMode: 240
; IeeeMode: 1
; LDSByteSize: 2048 bytes/workgroup (compile time only)
; SGPRBlocks: 4
; VGPRBlocks: 3
; NumSGPRsForWavesPerEU: 34
; NumVGPRsForWavesPerEU: 25
; Occupancy: 16
; WaveLimiterHint : 1
; COMPUTE_PGM_RSRC2:SCRATCH_EN: 0
; COMPUTE_PGM_RSRC2:USER_SGPR: 15
; COMPUTE_PGM_RSRC2:TRAP_HANDLER: 0
; COMPUTE_PGM_RSRC2:TGID_X_EN: 1
; COMPUTE_PGM_RSRC2:TGID_Y_EN: 0
; COMPUTE_PGM_RSRC2:TGID_Z_EN: 0
; COMPUTE_PGM_RSRC2:TIDIG_COMP_CNT: 0
	.section	.text._ZN9rocsparseL5csrsmILj256ELj64ELb1Ell21rocsparse_complex_numIfEEEv20rocsparse_operation_T3_S4_NS_24const_host_device_scalarIT4_EEPKT2_PKS4_PKS6_PS6_lPiSC_PS4_21rocsparse_index_base_20rocsparse_fill_mode_20rocsparse_diag_type_b,"axG",@progbits,_ZN9rocsparseL5csrsmILj256ELj64ELb1Ell21rocsparse_complex_numIfEEEv20rocsparse_operation_T3_S4_NS_24const_host_device_scalarIT4_EEPKT2_PKS4_PKS6_PS6_lPiSC_PS4_21rocsparse_index_base_20rocsparse_fill_mode_20rocsparse_diag_type_b,comdat
	.globl	_ZN9rocsparseL5csrsmILj256ELj64ELb1Ell21rocsparse_complex_numIfEEEv20rocsparse_operation_T3_S4_NS_24const_host_device_scalarIT4_EEPKT2_PKS4_PKS6_PS6_lPiSC_PS4_21rocsparse_index_base_20rocsparse_fill_mode_20rocsparse_diag_type_b ; -- Begin function _ZN9rocsparseL5csrsmILj256ELj64ELb1Ell21rocsparse_complex_numIfEEEv20rocsparse_operation_T3_S4_NS_24const_host_device_scalarIT4_EEPKT2_PKS4_PKS6_PS6_lPiSC_PS4_21rocsparse_index_base_20rocsparse_fill_mode_20rocsparse_diag_type_b
	.p2align	8
	.type	_ZN9rocsparseL5csrsmILj256ELj64ELb1Ell21rocsparse_complex_numIfEEEv20rocsparse_operation_T3_S4_NS_24const_host_device_scalarIT4_EEPKT2_PKS4_PKS6_PS6_lPiSC_PS4_21rocsparse_index_base_20rocsparse_fill_mode_20rocsparse_diag_type_b,@function
_ZN9rocsparseL5csrsmILj256ELj64ELb1Ell21rocsparse_complex_numIfEEEv20rocsparse_operation_T3_S4_NS_24const_host_device_scalarIT4_EEPKT2_PKS4_PKS6_PS6_lPiSC_PS4_21rocsparse_index_base_20rocsparse_fill_mode_20rocsparse_diag_type_b: ; @_ZN9rocsparseL5csrsmILj256ELj64ELb1Ell21rocsparse_complex_numIfEEEv20rocsparse_operation_T3_S4_NS_24const_host_device_scalarIT4_EEPKT2_PKS4_PKS6_PS6_lPiSC_PS4_21rocsparse_index_base_20rocsparse_fill_mode_20rocsparse_diag_type_b
; %bb.0:
	s_clause 0x2
	s_load_b128 s[4:7], s[0:1], 0x60
	s_load_b64 s[2:3], s[0:1], 0x18
	s_load_b128 s[8:11], s[0:1], 0x8
	s_waitcnt lgkmcnt(0)
	s_bitcmp1_b32 s7, 0
	s_cselect_b32 s7, -1, 0
	s_delay_alu instid0(SALU_CYCLE_1)
	s_xor_b32 s12, s7, -1
	s_and_b32 vcc_lo, exec_lo, s7
	s_mov_b32 s7, s2
	s_cbranch_vccnz .LBB108_2
; %bb.1:
	s_load_b32 s7, s[2:3], 0x0
.LBB108_2:
	s_and_not1_b32 vcc_lo, exec_lo, s12
	s_cbranch_vccnz .LBB108_4
; %bb.3:
	s_load_b32 s3, s[2:3], 0x4
.LBB108_4:
	s_clause 0x1
	s_load_b64 s[16:17], s[0:1], 0x50
	s_load_b64 s[12:13], s[0:1], 0x20
	s_mov_b32 s18, 0
	s_mov_b32 s19, s9
	s_delay_alu instid0(SALU_CYCLE_1)
	s_cmp_lg_u64 s[18:19], 0
	s_cbranch_scc0 .LBB108_66
; %bb.5:
	s_ashr_i32 s20, s9, 31
	s_delay_alu instid0(SALU_CYCLE_1) | instskip(SKIP_2) | instid1(SALU_CYCLE_1)
	s_add_u32 s22, s8, s20
	s_mov_b32 s21, s20
	s_addc_u32 s23, s9, s20
	s_xor_b64 s[22:23], s[22:23], s[20:21]
	s_delay_alu instid0(SALU_CYCLE_1) | instskip(SKIP_3) | instid1(VALU_DEP_1)
	v_cvt_f32_u32_e32 v1, s22
	v_cvt_f32_u32_e32 v2, s23
	s_sub_u32 s19, 0, s22
	s_subb_u32 s24, 0, s23
	v_fmamk_f32 v1, v2, 0x4f800000, v1
	s_delay_alu instid0(VALU_DEP_1) | instskip(SKIP_2) | instid1(VALU_DEP_1)
	v_rcp_f32_e32 v1, v1
	s_waitcnt_depctr 0xfff
	v_mul_f32_e32 v1, 0x5f7ffffc, v1
	v_mul_f32_e32 v2, 0x2f800000, v1
	s_delay_alu instid0(VALU_DEP_1) | instskip(NEXT) | instid1(VALU_DEP_1)
	v_trunc_f32_e32 v2, v2
	v_fmamk_f32 v1, v2, 0xcf800000, v1
	v_cvt_u32_f32_e32 v2, v2
	s_delay_alu instid0(VALU_DEP_2) | instskip(NEXT) | instid1(VALU_DEP_2)
	v_cvt_u32_f32_e32 v1, v1
	v_readfirstlane_b32 s2, v2
	s_delay_alu instid0(VALU_DEP_2) | instskip(NEXT) | instid1(VALU_DEP_2)
	v_readfirstlane_b32 s14, v1
	s_mul_i32 s25, s19, s2
	s_delay_alu instid0(VALU_DEP_1)
	s_mul_hi_u32 s27, s19, s14
	s_mul_i32 s26, s24, s14
	s_add_i32 s25, s27, s25
	s_mul_i32 s28, s19, s14
	s_add_i32 s25, s25, s26
	s_mul_hi_u32 s27, s14, s28
	s_mul_hi_u32 s29, s2, s28
	s_mul_i32 s26, s2, s28
	s_mul_hi_u32 s28, s14, s25
	s_mul_i32 s14, s14, s25
	s_mul_hi_u32 s30, s2, s25
	s_add_u32 s14, s27, s14
	s_addc_u32 s27, 0, s28
	s_add_u32 s14, s14, s26
	s_mul_i32 s25, s2, s25
	s_addc_u32 s14, s27, s29
	s_addc_u32 s26, s30, 0
	s_add_u32 s14, s14, s25
	s_addc_u32 s25, 0, s26
	v_add_co_u32 v1, s14, v1, s14
	s_delay_alu instid0(VALU_DEP_1) | instskip(SKIP_1) | instid1(VALU_DEP_1)
	s_cmp_lg_u32 s14, 0
	s_addc_u32 s2, s2, s25
	v_readfirstlane_b32 s14, v1
	s_mul_i32 s25, s19, s2
	s_delay_alu instid0(VALU_DEP_1)
	s_mul_hi_u32 s26, s19, s14
	s_mul_i32 s24, s24, s14
	s_add_i32 s25, s26, s25
	s_mul_i32 s19, s19, s14
	s_add_i32 s25, s25, s24
	s_mul_hi_u32 s26, s2, s19
	s_mul_i32 s27, s2, s19
	s_mul_hi_u32 s19, s14, s19
	s_mul_hi_u32 s28, s14, s25
	s_mul_i32 s14, s14, s25
	s_mul_hi_u32 s24, s2, s25
	s_add_u32 s14, s19, s14
	s_addc_u32 s19, 0, s28
	s_add_u32 s14, s14, s27
	s_mul_i32 s25, s2, s25
	s_addc_u32 s14, s19, s26
	s_addc_u32 s19, s24, 0
	s_add_u32 s14, s14, s25
	s_addc_u32 s19, 0, s19
	v_add_co_u32 v1, s14, v1, s14
	s_delay_alu instid0(VALU_DEP_1) | instskip(SKIP_1) | instid1(VALU_DEP_1)
	s_cmp_lg_u32 s14, 0
	s_addc_u32 s2, s2, s19
	v_readfirstlane_b32 s14, v1
	s_mul_i32 s19, s15, s2
	s_mul_hi_u32 s2, s15, s2
	s_delay_alu instid0(VALU_DEP_1) | instskip(NEXT) | instid1(SALU_CYCLE_1)
	s_mul_hi_u32 s14, s15, s14
	s_add_u32 s14, s14, s19
	s_addc_u32 s2, 0, s2
	s_add_u32 s14, s14, 0
	s_addc_u32 s2, s2, 0
	s_addc_u32 s14, 0, 0
	s_add_u32 s2, s2, 0
	s_addc_u32 s14, 0, s14
	s_mul_hi_u32 s19, s22, s2
	s_mul_i32 s25, s22, s14
	s_mul_i32 s26, s22, s2
	s_add_i32 s19, s19, s25
	v_sub_co_u32 v1, s25, s15, s26
	s_mul_i32 s24, s23, s2
	s_delay_alu instid0(SALU_CYCLE_1) | instskip(NEXT) | instid1(VALU_DEP_1)
	s_add_i32 s19, s19, s24
	v_sub_co_u32 v2, s26, v1, s22
	s_sub_i32 s24, 0, s19
	s_cmp_lg_u32 s25, 0
	s_subb_u32 s24, s24, s23
	s_cmp_lg_u32 s26, 0
	v_readfirstlane_b32 s26, v2
	s_subb_u32 s24, s24, 0
	s_delay_alu instid0(SALU_CYCLE_1) | instskip(SKIP_1) | instid1(VALU_DEP_1)
	s_cmp_ge_u32 s24, s23
	s_cselect_b32 s27, -1, 0
	s_cmp_ge_u32 s26, s22
	s_cselect_b32 s26, -1, 0
	s_cmp_eq_u32 s24, s23
	s_cselect_b32 s24, s26, s27
	s_add_u32 s26, s2, 1
	s_addc_u32 s27, s14, 0
	s_add_u32 s28, s2, 2
	s_addc_u32 s29, s14, 0
	s_cmp_lg_u32 s24, 0
	s_cselect_b32 s24, s28, s26
	s_cselect_b32 s26, s29, s27
	s_cmp_lg_u32 s25, 0
	v_readfirstlane_b32 s25, v1
	s_subb_u32 s19, 0, s19
	s_delay_alu instid0(SALU_CYCLE_1) | instskip(SKIP_1) | instid1(VALU_DEP_1)
	s_cmp_ge_u32 s19, s23
	s_cselect_b32 s27, -1, 0
	s_cmp_ge_u32 s25, s22
	s_cselect_b32 s22, -1, 0
	s_cmp_eq_u32 s19, s23
	s_cselect_b32 s19, s22, s27
	s_delay_alu instid0(SALU_CYCLE_1) | instskip(SKIP_2) | instid1(SALU_CYCLE_1)
	s_cmp_lg_u32 s19, 0
	s_cselect_b32 s23, s26, s14
	s_cselect_b32 s22, s24, s2
	s_xor_b64 s[22:23], s[22:23], s[20:21]
	s_delay_alu instid0(SALU_CYCLE_1)
	s_sub_u32 s24, s22, s20
	s_subb_u32 s25, s23, s20
	s_load_b64 s[22:23], s[0:1], 0x38
	s_and_not1_b32 vcc_lo, exec_lo, s18
	s_cbranch_vccnz .LBB108_7
.LBB108_6:
	v_cvt_f32_u32_e32 v1, s8
	s_sub_i32 s14, 0, s8
	s_mov_b32 s25, 0
	s_delay_alu instid0(VALU_DEP_1) | instskip(SKIP_2) | instid1(VALU_DEP_1)
	v_rcp_iflag_f32_e32 v1, v1
	s_waitcnt_depctr 0xfff
	v_mul_f32_e32 v1, 0x4f7ffffe, v1
	v_cvt_u32_f32_e32 v1, v1
	s_delay_alu instid0(VALU_DEP_1) | instskip(NEXT) | instid1(VALU_DEP_1)
	v_readfirstlane_b32 s2, v1
	s_mul_i32 s14, s14, s2
	s_delay_alu instid0(SALU_CYCLE_1) | instskip(NEXT) | instid1(SALU_CYCLE_1)
	s_mul_hi_u32 s14, s2, s14
	s_add_i32 s2, s2, s14
	s_delay_alu instid0(SALU_CYCLE_1) | instskip(NEXT) | instid1(SALU_CYCLE_1)
	s_mul_hi_u32 s2, s15, s2
	s_mul_i32 s14, s2, s8
	s_add_i32 s18, s2, 1
	s_sub_i32 s14, s15, s14
	s_delay_alu instid0(SALU_CYCLE_1)
	s_sub_i32 s19, s14, s8
	s_cmp_ge_u32 s14, s8
	s_cselect_b32 s2, s18, s2
	s_cselect_b32 s14, s19, s14
	s_add_i32 s18, s2, 1
	s_cmp_ge_u32 s14, s8
	s_cselect_b32 s24, s18, s2
.LBB108_7:
	s_delay_alu instid0(SALU_CYCLE_1)
	s_mul_i32 s2, s24, s9
	s_mul_hi_u32 s9, s24, s8
	s_load_b32 s26, s[0:1], 0x0
	s_add_i32 s2, s9, s2
	s_mul_i32 s9, s25, s8
	s_mul_i32 s8, s24, s8
	s_add_i32 s9, s2, s9
	s_sub_u32 s14, s15, s8
	s_subb_u32 s15, 0, s9
	v_mov_b32_e32 v1, 0
	s_lshl_b64 s[14:15], s[14:15], 3
	s_waitcnt lgkmcnt(0)
	s_add_u32 s14, s16, s14
	s_addc_u32 s15, s17, s15
	s_load_b64 s[16:17], s[14:15], 0x0
	s_load_b64 s[20:21], s[0:1], 0x40
	s_waitcnt lgkmcnt(0)
	s_lshl_b64 s[14:15], s[16:17], 3
	s_mul_i32 s2, s16, s21
	s_add_u32 s12, s12, s14
	s_addc_u32 s13, s13, s15
	s_lshl_b64 s[24:25], s[24:25], 8
	s_load_b128 s[12:15], s[12:13], 0x0
	s_mul_hi_u32 s18, s16, s20
	v_or_b32_e32 v2, s24, v0
	v_mov_b32_e32 v3, s25
	s_add_i32 s2, s18, s2
	s_mul_i32 s18, s17, s20
	v_mov_b32_e32 v5, s25
	s_add_i32 s19, s2, s18
	s_mul_i32 s18, s16, s20
	v_cmp_gt_i64_e64 s2, s[10:11], v[2:3]
	v_add_co_u32 v4, vcc_lo, v2, s18
	v_add_co_ci_u32_e32 v5, vcc_lo, s19, v5, vcc_lo
	s_cmpk_lg_i32 s26, 0x71
	s_cbranch_scc0 .LBB108_11
; %bb.8:
	v_mov_b32_e32 v8, v1
	v_mov_b32_e32 v9, v1
	s_mov_b32 s24, 0
	s_and_saveexec_b32 s10, s2
	s_cbranch_execz .LBB108_10
; %bb.9:
	v_lshlrev_b64 v[6:7], 3, v[4:5]
	s_delay_alu instid0(VALU_DEP_1) | instskip(NEXT) | instid1(VALU_DEP_2)
	v_add_co_u32 v6, vcc_lo, s22, v6
	v_add_co_ci_u32_e32 v7, vcc_lo, s23, v7, vcc_lo
	global_load_b64 v[6:7], v[6:7], off
	s_waitcnt vmcnt(0)
	v_mul_f32_e64 v9, v7, -s3
	s_delay_alu instid0(VALU_DEP_1) | instskip(NEXT) | instid1(VALU_DEP_1)
	v_dual_mul_f32 v8, s7, v7 :: v_dual_fmac_f32 v9, s7, v6
	v_fmac_f32_e32 v8, s3, v6
.LBB108_10:
	s_or_b32 exec_lo, exec_lo, s10
	s_load_b64 s[10:11], s[0:1], 0x48
	s_and_not1_b32 vcc_lo, exec_lo, s24
	s_cbranch_vccz .LBB108_12
	s_branch .LBB108_15
.LBB108_11:
                                        ; implicit-def: $vgpr8
                                        ; implicit-def: $vgpr9
	s_load_b64 s[10:11], s[0:1], 0x48
.LBB108_12:
	v_dual_mov_b32 v8, 0 :: v_dual_mov_b32 v9, 0
	s_and_saveexec_b32 s24, s2
	s_cbranch_execz .LBB108_14
; %bb.13:
	v_lshlrev_b64 v[4:5], 3, v[4:5]
	s_delay_alu instid0(VALU_DEP_1) | instskip(NEXT) | instid1(VALU_DEP_2)
	v_add_co_u32 v4, vcc_lo, s22, v4
	v_add_co_ci_u32_e32 v5, vcc_lo, s23, v5, vcc_lo
	global_load_b64 v[4:5], v[4:5], off
	s_waitcnt vmcnt(0)
	v_mul_f32_e64 v8, s7, -v5
	s_delay_alu instid0(VALU_DEP_1) | instskip(NEXT) | instid1(VALU_DEP_1)
	v_dual_mul_f32 v9, s3, v5 :: v_dual_fmac_f32 v8, s3, v4
	v_fmac_f32_e32 v9, s7, v4
.LBB108_14:
	s_or_b32 exec_lo, exec_lo, s24
.LBB108_15:
	v_lshlrev_b64 v[2:3], 3, v[2:3]
	s_waitcnt lgkmcnt(0)
	v_cmp_ge_i64_e64 s3, s[12:13], s[14:15]
	s_delay_alu instid0(VALU_DEP_2) | instskip(NEXT) | instid1(VALU_DEP_3)
	v_add_co_u32 v6, vcc_lo, s22, v2
	v_add_co_ci_u32_e32 v7, vcc_lo, s23, v3, vcc_lo
	s_delay_alu instid0(VALU_DEP_3)
	s_and_b32 vcc_lo, exec_lo, s3
	v_cmp_eq_u32_e64 s3, 0, v0
	s_cbranch_vccnz .LBB108_60
; %bb.16:
	s_clause 0x1
	s_load_b128 s[24:27], s[0:1], 0x28
	s_load_b64 s[22:23], s[0:1], 0x58
	v_dual_mov_b32 v11, 0 :: v_dual_lshlrev_b32 v10, 3, v0
	s_lshl_b64 s[0:1], s[8:9], 2
	v_dual_mov_b32 v17, 1.0 :: v_dual_mov_b32 v18, 0
	s_add_u32 s7, s10, s0
	s_addc_u32 s28, s11, s1
	s_sub_u32 s12, s12, s4
	s_subb_u32 s13, s13, 0
	s_sub_u32 s14, s14, s4
	s_subb_u32 s15, s15, 0
	v_or_b32_e32 v12, 0x800, v10
	s_cmp_eq_u32 s6, 0
	s_cselect_b32 s29, -1, 0
	s_waitcnt lgkmcnt(0)
	v_add_co_u32 v13, s0, s24, v10
	s_delay_alu instid0(VALU_DEP_1) | instskip(SKIP_1) | instid1(VALU_DEP_1)
	v_add_co_ci_u32_e64 v14, null, s25, 0, s0
	v_add_co_u32 v15, s0, s26, v10
	v_add_co_ci_u32_e64 v16, null, s27, 0, s0
	s_add_u32 s24, s16, s4
	s_addc_u32 s25, s17, 0
	s_mov_b64 s[26:27], s[12:13]
	s_branch .LBB108_19
.LBB108_17:                             ;   in Loop: Header=BB108_19 Depth=1
	s_add_u32 s26, s26, 1
	s_addc_u32 s27, s27, 0
	s_delay_alu instid0(SALU_CYCLE_1)
	v_cmp_ge_i64_e64 s1, s[26:27], s[14:15]
.LBB108_18:                             ;   in Loop: Header=BB108_19 Depth=1
	v_dual_mov_b32 v8, v21 :: v_dual_mov_b32 v9, v22
	v_dual_mov_b32 v18, v4 :: v_dual_mov_b32 v17, v5
	s_delay_alu instid0(VALU_DEP_3)
	s_and_not1_b32 vcc_lo, exec_lo, s1
	s_cbranch_vccz .LBB108_61
.LBB108_19:                             ; =>This Loop Header: Depth=1
                                        ;     Child Loop BB108_58 Depth 2
                                        ;       Child Loop BB108_59 Depth 3
	s_sub_i32 s0, s26, s12
	s_delay_alu instid0(SALU_CYCLE_1) | instskip(NEXT) | instid1(SALU_CYCLE_1)
	s_and_b32 s0, s0, 0xff
	s_cmp_lg_u32 s0, 0
	s_cbranch_scc1 .LBB108_23
; %bb.20:                               ;   in Loop: Header=BB108_19 Depth=1
	v_dual_mov_b32 v4, -1 :: v_dual_mov_b32 v3, 0
	v_dual_mov_b32 v5, -1 :: v_dual_mov_b32 v2, -1.0
	s_sub_u32 s30, s14, s26
	s_subb_u32 s31, s15, s27
	s_mov_b32 s1, exec_lo
	v_cmpx_gt_i64_e64 s[30:31], v[0:1]
	s_cbranch_execz .LBB108_22
; %bb.21:                               ;   in Loop: Header=BB108_19 Depth=1
	s_lshl_b64 s[30:31], s[26:27], 3
	s_delay_alu instid0(SALU_CYCLE_1)
	v_add_co_u32 v2, vcc_lo, v13, s30
	v_add_co_ci_u32_e32 v3, vcc_lo, s31, v14, vcc_lo
	global_load_b64 v[4:5], v[2:3], off
	v_add_co_u32 v2, vcc_lo, v15, s30
	v_add_co_ci_u32_e32 v3, vcc_lo, s31, v16, vcc_lo
	global_load_b64 v[2:3], v[2:3], off
	s_waitcnt vmcnt(1)
	v_sub_co_u32 v4, vcc_lo, v4, s4
	v_subrev_co_ci_u32_e32 v5, vcc_lo, 0, v5, vcc_lo
.LBB108_22:                             ;   in Loop: Header=BB108_19 Depth=1
	s_or_b32 exec_lo, exec_lo, s1
	ds_store_b64 v10, v[4:5]
	s_waitcnt vmcnt(0)
	ds_store_b64 v12, v[2:3]
.LBB108_23:                             ;   in Loop: Header=BB108_19 Depth=1
	s_lshl_b32 s0, s0, 3
	s_waitcnt lgkmcnt(0)
	v_mov_b32_e32 v2, s0
	s_waitcnt_vscnt null, 0x0
	s_barrier
	buffer_gl0_inv
	ds_load_2addr_stride64_b64 v[2:5], v2 offset1:4
	s_waitcnt lgkmcnt(0)
	v_cmp_eq_f32_e32 vcc_lo, 0, v4
	v_cmp_eq_f32_e64 s1, 0, v5
	v_cmp_eq_u64_e64 s0, s[16:17], v[2:3]
	v_cmp_ne_u64_e64 s13, s[16:17], v[2:3]
	s_delay_alu instid0(VALU_DEP_3)
	s_and_b32 s1, vcc_lo, s1
	s_delay_alu instid0(VALU_DEP_2) | instid1(SALU_CYCLE_1)
	s_and_b32 s1, s1, s0
	s_delay_alu instid0(SALU_CYCLE_1) | instskip(NEXT) | instid1(SALU_CYCLE_1)
	s_and_b32 s1, s29, s1
	v_cndmask_b32_e64 v19, v5, 0, s1
	v_cndmask_b32_e64 v20, v4, 1.0, s1
	s_and_b32 s30, s3, s1
	s_delay_alu instid0(SALU_CYCLE_1)
	s_and_saveexec_b32 s1, s30
	s_cbranch_execz .LBB108_27
; %bb.24:                               ;   in Loop: Header=BB108_19 Depth=1
	v_mbcnt_lo_u32_b32 v4, exec_lo, 0
	s_mov_b32 s30, exec_lo
	s_delay_alu instid0(VALU_DEP_1)
	v_cmpx_eq_u32_e32 0, v4
	s_cbranch_execz .LBB108_26
; %bb.25:                               ;   in Loop: Header=BB108_19 Depth=1
	v_dual_mov_b32 v4, s24 :: v_dual_mov_b32 v5, s25
	global_atomic_min_u64 v11, v[4:5], s[22:23]
.LBB108_26:                             ;   in Loop: Header=BB108_19 Depth=1
	s_or_b32 exec_lo, exec_lo, s30
	v_dual_mov_b32 v19, 0 :: v_dual_mov_b32 v20, 1.0
.LBB108_27:                             ;   in Loop: Header=BB108_19 Depth=1
	s_or_b32 exec_lo, exec_lo, s1
	s_cmp_lt_i32 s5, 1
	s_mov_b32 s1, 0
	s_cbranch_scc1 .LBB108_33
; %bb.28:                               ;   in Loop: Header=BB108_19 Depth=1
	s_cmp_eq_u32 s5, 1
	s_cbranch_scc0 .LBB108_34
; %bb.29:                               ;   in Loop: Header=BB108_19 Depth=1
	v_cmp_le_i64_e32 vcc_lo, s[16:17], v[2:3]
	v_dual_mov_b32 v4, v18 :: v_dual_mov_b32 v5, v17
	s_mov_b32 s30, 0
	s_cbranch_vccz .LBB108_36
; %bb.30:                               ;   in Loop: Header=BB108_19 Depth=1
	s_and_b32 vcc_lo, exec_lo, s0
	s_cbranch_vccz .LBB108_35
; %bb.31:                               ;   in Loop: Header=BB108_19 Depth=1
	v_dual_mov_b32 v4, v18 :: v_dual_mov_b32 v5, v17
	s_and_not1_b32 vcc_lo, exec_lo, s29
	s_cbranch_vccnz .LBB108_36
; %bb.32:                               ;   in Loop: Header=BB108_19 Depth=1
	v_mul_f32_e32 v4, v19, v19
	s_delay_alu instid0(VALU_DEP_1) | instskip(NEXT) | instid1(VALU_DEP_1)
	v_fmac_f32_e32 v4, v20, v20
	v_div_scale_f32 v5, null, v4, v4, 1.0
	v_div_scale_f32 v23, vcc_lo, 1.0, v4, 1.0
	s_delay_alu instid0(VALU_DEP_2) | instskip(SKIP_2) | instid1(VALU_DEP_1)
	v_rcp_f32_e32 v21, v5
	s_waitcnt_depctr 0xfff
	v_fma_f32 v22, -v5, v21, 1.0
	v_fmac_f32_e32 v21, v22, v21
	s_delay_alu instid0(VALU_DEP_1) | instskip(NEXT) | instid1(VALU_DEP_1)
	v_mul_f32_e32 v22, v23, v21
	v_fma_f32 v24, -v5, v22, v23
	s_delay_alu instid0(VALU_DEP_1) | instskip(NEXT) | instid1(VALU_DEP_1)
	v_fmac_f32_e32 v22, v24, v21
	v_fma_f32 v5, -v5, v22, v23
	s_delay_alu instid0(VALU_DEP_1) | instskip(SKIP_2) | instid1(VALU_DEP_3)
	v_div_fmas_f32 v5, v5, v21, v22
	v_fma_f32 v21, 0, v19, v20
	v_fma_f32 v22, v20, 0, -v19
	v_div_fixup_f32 v4, v5, v4, 1.0
	s_delay_alu instid0(VALU_DEP_1) | instskip(NEXT) | instid1(VALU_DEP_3)
	v_mul_f32_e32 v5, v21, v4
	v_mul_f32_e32 v4, v22, v4
	s_branch .LBB108_36
.LBB108_33:                             ;   in Loop: Header=BB108_19 Depth=1
	s_mov_b32 s30, 0
                                        ; implicit-def: $sgpr0
                                        ; implicit-def: $vgpr21
                                        ; implicit-def: $vgpr22
                                        ; implicit-def: $vgpr4
                                        ; implicit-def: $vgpr5
	s_cbranch_execnz .LBB108_37
	s_branch .LBB108_39
.LBB108_34:                             ;   in Loop: Header=BB108_19 Depth=1
	s_mov_b32 s30, -1
                                        ; implicit-def: $sgpr0
                                        ; implicit-def: $vgpr21
                                        ; implicit-def: $vgpr22
                                        ; implicit-def: $vgpr4
                                        ; implicit-def: $vgpr5
	s_branch .LBB108_39
.LBB108_35:                             ;   in Loop: Header=BB108_19 Depth=1
	s_mov_b32 s30, -1
                                        ; implicit-def: $vgpr4
                                        ; implicit-def: $vgpr5
.LBB108_36:                             ;   in Loop: Header=BB108_19 Depth=1
	v_dual_mov_b32 v21, v8 :: v_dual_mov_b32 v22, v9
	s_mov_b32 s0, 4
	s_branch .LBB108_39
.LBB108_37:                             ;   in Loop: Header=BB108_19 Depth=1
	s_cmp_eq_u32 s5, 0
	s_cbranch_scc1 .LBB108_43
; %bb.38:                               ;   in Loop: Header=BB108_19 Depth=1
	s_mov_b32 s30, -1
                                        ; implicit-def: $sgpr0
                                        ; implicit-def: $vgpr21
                                        ; implicit-def: $vgpr22
                                        ; implicit-def: $vgpr4
                                        ; implicit-def: $vgpr5
.LBB108_39:                             ;   in Loop: Header=BB108_19 Depth=1
	s_delay_alu instid0(SALU_CYCLE_1)
	s_and_b32 vcc_lo, exec_lo, s30
	s_cbranch_vccnz .LBB108_46
.LBB108_40:                             ;   in Loop: Header=BB108_19 Depth=1
	s_and_b32 vcc_lo, exec_lo, s1
	s_cbranch_vccnz .LBB108_51
.LBB108_41:                             ;   in Loop: Header=BB108_19 Depth=1
	s_cmp_gt_i32 s0, 3
	s_mov_b32 s1, -1
	s_cbranch_scc1 .LBB108_54
.LBB108_42:                             ;   in Loop: Header=BB108_19 Depth=1
	s_cmp_eq_u32 s0, 0
	s_cselect_b32 s0, -1, 0
	s_delay_alu instid0(SALU_CYCLE_1)
	s_and_not1_b32 vcc_lo, exec_lo, s0
	s_cbranch_vccz .LBB108_17
	s_branch .LBB108_55
.LBB108_43:                             ;   in Loop: Header=BB108_19 Depth=1
	v_cmp_ge_i64_e32 vcc_lo, s[16:17], v[2:3]
	s_mov_b32 s30, 0
	s_cbranch_vccz .LBB108_45
; %bb.44:                               ;   in Loop: Header=BB108_19 Depth=1
	s_mov_b32 s1, -1
	s_mov_b32 s30, s13
.LBB108_45:                             ;   in Loop: Header=BB108_19 Depth=1
	v_dual_mov_b32 v21, v8 :: v_dual_mov_b32 v22, v9
	v_dual_mov_b32 v4, v18 :: v_dual_mov_b32 v5, v17
	s_mov_b32 s0, 2
	s_and_b32 vcc_lo, exec_lo, s30
	s_cbranch_vccz .LBB108_40
.LBB108_46:                             ;   in Loop: Header=BB108_19 Depth=1
	s_and_saveexec_b32 s0, s3
	s_cbranch_execz .LBB108_48
; %bb.47:                               ;   in Loop: Header=BB108_19 Depth=1
	v_lshlrev_b64 v[4:5], 2, v[2:3]
	s_delay_alu instid0(VALU_DEP_1) | instskip(NEXT) | instid1(VALU_DEP_2)
	v_add_co_u32 v4, vcc_lo, s7, v4
	v_add_co_ci_u32_e32 v5, vcc_lo, s28, v5, vcc_lo
	global_load_b32 v21, v[4:5], off glc
	s_waitcnt vmcnt(0)
	v_cmp_ne_u32_e32 vcc_lo, 0, v21
	s_cbranch_vccz .LBB108_56
.LBB108_48:                             ;   in Loop: Header=BB108_19 Depth=1
	s_or_b32 exec_lo, exec_lo, s0
	v_dual_mov_b32 v21, 0 :: v_dual_mov_b32 v22, 0
	s_mov_b32 s1, 0
	s_waitcnt_vscnt null, 0x0
	s_barrier
	buffer_gl0_inv
	buffer_gl1_inv
	buffer_gl0_inv
	s_and_saveexec_b32 s0, s2
	s_cbranch_execz .LBB108_50
; %bb.49:                               ;   in Loop: Header=BB108_19 Depth=1
	v_mul_lo_u32 v4, v2, s21
	v_mul_hi_u32 v5, v2, s20
	v_mul_lo_u32 v3, v3, s20
	v_mul_lo_u32 v2, v2, s20
	s_delay_alu instid0(VALU_DEP_3) | instskip(NEXT) | instid1(VALU_DEP_1)
	v_add_nc_u32_e32 v4, v5, v4
	v_add_nc_u32_e32 v3, v4, v3
	s_delay_alu instid0(VALU_DEP_1) | instskip(NEXT) | instid1(VALU_DEP_1)
	v_lshlrev_b64 v[2:3], 3, v[2:3]
	v_add_co_u32 v2, vcc_lo, v6, v2
	s_delay_alu instid0(VALU_DEP_2) | instskip(SKIP_4) | instid1(VALU_DEP_2)
	v_add_co_ci_u32_e32 v3, vcc_lo, v7, v3, vcc_lo
	global_load_b64 v[2:3], v[2:3], off
	s_waitcnt vmcnt(0)
	v_fma_f32 v22, -v20, v2, v9
	v_fma_f32 v2, -v19, v2, v8
	v_fmac_f32_e32 v22, v19, v3
	s_delay_alu instid0(VALU_DEP_2)
	v_fma_f32 v21, -v20, v3, v2
.LBB108_50:                             ;   in Loop: Header=BB108_19 Depth=1
	s_or_b32 exec_lo, exec_lo, s0
	v_dual_mov_b32 v4, v18 :: v_dual_mov_b32 v5, v17
	s_mov_b32 s0, 0
	s_and_b32 vcc_lo, exec_lo, s1
	s_cbranch_vccz .LBB108_41
.LBB108_51:                             ;   in Loop: Header=BB108_19 Depth=1
	s_and_not1_b32 vcc_lo, exec_lo, s29
	s_cbranch_vccnz .LBB108_53
; %bb.52:                               ;   in Loop: Header=BB108_19 Depth=1
	v_mul_f32_e32 v2, v19, v19
	s_delay_alu instid0(VALU_DEP_1) | instskip(NEXT) | instid1(VALU_DEP_1)
	v_fmac_f32_e32 v2, v20, v20
	v_div_scale_f32 v3, null, v2, v2, 1.0
	v_div_scale_f32 v17, vcc_lo, 1.0, v2, 1.0
	s_delay_alu instid0(VALU_DEP_2) | instskip(SKIP_2) | instid1(VALU_DEP_1)
	v_rcp_f32_e32 v4, v3
	s_waitcnt_depctr 0xfff
	v_fma_f32 v5, -v3, v4, 1.0
	v_fmac_f32_e32 v4, v5, v4
	s_delay_alu instid0(VALU_DEP_1) | instskip(NEXT) | instid1(VALU_DEP_1)
	v_mul_f32_e32 v5, v17, v4
	v_fma_f32 v18, -v3, v5, v17
	s_delay_alu instid0(VALU_DEP_1) | instskip(NEXT) | instid1(VALU_DEP_1)
	v_fmac_f32_e32 v5, v18, v4
	v_fma_f32 v3, -v3, v5, v17
	s_delay_alu instid0(VALU_DEP_1) | instskip(SKIP_1) | instid1(VALU_DEP_2)
	v_div_fmas_f32 v3, v3, v4, v5
	v_fma_f32 v4, 0, v19, v20
	v_div_fixup_f32 v2, v3, v2, 1.0
	v_fma_f32 v3, v20, 0, -v19
	s_delay_alu instid0(VALU_DEP_2) | instskip(NEXT) | instid1(VALU_DEP_2)
	v_mul_f32_e32 v17, v4, v2
	v_mul_f32_e32 v18, v3, v2
.LBB108_53:                             ;   in Loop: Header=BB108_19 Depth=1
	s_delay_alu instid0(VALU_DEP_1) | instskip(SKIP_2) | instid1(SALU_CYCLE_1)
	v_dual_mov_b32 v5, v17 :: v_dual_mov_b32 v4, v18
	v_dual_mov_b32 v22, v9 :: v_dual_mov_b32 v21, v8
	s_mov_b32 s0, 2
	s_cmp_gt_i32 s0, 3
	s_mov_b32 s1, -1
	s_cbranch_scc0 .LBB108_42
.LBB108_54:                             ;   in Loop: Header=BB108_19 Depth=1
	s_branch .LBB108_17
.LBB108_55:                             ;   in Loop: Header=BB108_19 Depth=1
                                        ; implicit-def: $sgpr26_sgpr27
	s_branch .LBB108_18
.LBB108_56:                             ;   in Loop: Header=BB108_19 Depth=1
	s_mov_b32 s1, 0
	s_branch .LBB108_58
	.p2align	6
.LBB108_57:                             ;   in Loop: Header=BB108_58 Depth=2
	global_load_b32 v21, v[4:5], off glc
	s_cmpk_lt_u32 s1, 0xf43
	s_cselect_b32 s13, -1, 0
	s_delay_alu instid0(SALU_CYCLE_1)
	s_cmp_lg_u32 s13, 0
	s_addc_u32 s1, s1, 0
	s_waitcnt vmcnt(0)
	v_cmp_ne_u32_e32 vcc_lo, 0, v21
	s_cbranch_vccnz .LBB108_48
.LBB108_58:                             ;   Parent Loop BB108_19 Depth=1
                                        ; =>  This Loop Header: Depth=2
                                        ;       Child Loop BB108_59 Depth 3
	s_cmp_eq_u32 s1, 0
	s_mov_b32 s13, s1
	s_cbranch_scc1 .LBB108_57
.LBB108_59:                             ;   Parent Loop BB108_19 Depth=1
                                        ;     Parent Loop BB108_58 Depth=2
                                        ; =>    This Inner Loop Header: Depth=3
	s_add_i32 s13, s13, -1
	s_sleep 1
	s_cmp_eq_u32 s13, 0
	s_cbranch_scc0 .LBB108_59
	s_branch .LBB108_57
.LBB108_60:
	v_dual_mov_b32 v4, 0 :: v_dual_mov_b32 v5, 1.0
	s_and_saveexec_b32 s0, s2
	s_cbranch_execnz .LBB108_62
	s_branch .LBB108_63
.LBB108_61:
	v_dual_mov_b32 v8, v21 :: v_dual_mov_b32 v9, v22
	s_and_saveexec_b32 s0, s2
	s_cbranch_execz .LBB108_63
.LBB108_62:
	s_delay_alu instid0(VALU_DEP_1) | instskip(NEXT) | instid1(VALU_DEP_2)
	v_mul_f32_e32 v3, v4, v9
	v_mul_f32_e64 v10, v4, -v8
	s_lshl_b64 s[2:3], s[18:19], 3
	s_cmp_eq_u32 s6, 0
	v_add_co_u32 v1, vcc_lo, v6, s2
	v_fmac_f32_e32 v3, v8, v5
	v_fmac_f32_e32 v10, v9, v5
	v_add_co_ci_u32_e32 v2, vcc_lo, s3, v7, vcc_lo
	s_cselect_b32 vcc_lo, -1, 0
	s_delay_alu instid0(VALU_DEP_2)
	v_dual_cndmask_b32 v4, v8, v3 :: v_dual_cndmask_b32 v3, v9, v10
	global_store_b64 v[1:2], v[3:4], off
.LBB108_63:
	s_or_b32 exec_lo, exec_lo, s0
	s_waitcnt_vscnt null, 0x0
	buffer_gl1_inv
	buffer_gl0_inv
	s_barrier
	buffer_gl0_inv
	s_mov_b32 s0, exec_lo
	v_cmpx_eq_u32_e32 0, v0
	s_cbranch_execz .LBB108_65
; %bb.64:
	s_lshl_b64 s[0:1], s[16:17], 2
	v_dual_mov_b32 v0, 0 :: v_dual_mov_b32 v1, 1
	s_add_u32 s2, s10, s0
	s_addc_u32 s3, s11, s1
	s_lshl_b64 s[0:1], s[8:9], 2
	s_delay_alu instid0(SALU_CYCLE_1)
	s_add_u32 s0, s2, s0
	s_addc_u32 s1, s3, s1
	global_store_b32 v0, v1, s[0:1]
.LBB108_65:
	s_nop 0
	s_sendmsg sendmsg(MSG_DEALLOC_VGPRS)
	s_endpgm
.LBB108_66:
                                        ; implicit-def: $sgpr24_sgpr25
	s_load_b64 s[22:23], s[0:1], 0x38
	s_branch .LBB108_6
	.section	.rodata,"a",@progbits
	.p2align	6, 0x0
	.amdhsa_kernel _ZN9rocsparseL5csrsmILj256ELj64ELb1Ell21rocsparse_complex_numIfEEEv20rocsparse_operation_T3_S4_NS_24const_host_device_scalarIT4_EEPKT2_PKS4_PKS6_PS6_lPiSC_PS4_21rocsparse_index_base_20rocsparse_fill_mode_20rocsparse_diag_type_b
		.amdhsa_group_segment_fixed_size 4096
		.amdhsa_private_segment_fixed_size 0
		.amdhsa_kernarg_size 112
		.amdhsa_user_sgpr_count 15
		.amdhsa_user_sgpr_dispatch_ptr 0
		.amdhsa_user_sgpr_queue_ptr 0
		.amdhsa_user_sgpr_kernarg_segment_ptr 1
		.amdhsa_user_sgpr_dispatch_id 0
		.amdhsa_user_sgpr_private_segment_size 0
		.amdhsa_wavefront_size32 1
		.amdhsa_uses_dynamic_stack 0
		.amdhsa_enable_private_segment 0
		.amdhsa_system_sgpr_workgroup_id_x 1
		.amdhsa_system_sgpr_workgroup_id_y 0
		.amdhsa_system_sgpr_workgroup_id_z 0
		.amdhsa_system_sgpr_workgroup_info 0
		.amdhsa_system_vgpr_workitem_id 0
		.amdhsa_next_free_vgpr 25
		.amdhsa_next_free_sgpr 32
		.amdhsa_reserve_vcc 1
		.amdhsa_float_round_mode_32 0
		.amdhsa_float_round_mode_16_64 0
		.amdhsa_float_denorm_mode_32 3
		.amdhsa_float_denorm_mode_16_64 3
		.amdhsa_dx10_clamp 1
		.amdhsa_ieee_mode 1
		.amdhsa_fp16_overflow 0
		.amdhsa_workgroup_processor_mode 1
		.amdhsa_memory_ordered 1
		.amdhsa_forward_progress 0
		.amdhsa_shared_vgpr_count 0
		.amdhsa_exception_fp_ieee_invalid_op 0
		.amdhsa_exception_fp_denorm_src 0
		.amdhsa_exception_fp_ieee_div_zero 0
		.amdhsa_exception_fp_ieee_overflow 0
		.amdhsa_exception_fp_ieee_underflow 0
		.amdhsa_exception_fp_ieee_inexact 0
		.amdhsa_exception_int_div_zero 0
	.end_amdhsa_kernel
	.section	.text._ZN9rocsparseL5csrsmILj256ELj64ELb1Ell21rocsparse_complex_numIfEEEv20rocsparse_operation_T3_S4_NS_24const_host_device_scalarIT4_EEPKT2_PKS4_PKS6_PS6_lPiSC_PS4_21rocsparse_index_base_20rocsparse_fill_mode_20rocsparse_diag_type_b,"axG",@progbits,_ZN9rocsparseL5csrsmILj256ELj64ELb1Ell21rocsparse_complex_numIfEEEv20rocsparse_operation_T3_S4_NS_24const_host_device_scalarIT4_EEPKT2_PKS4_PKS6_PS6_lPiSC_PS4_21rocsparse_index_base_20rocsparse_fill_mode_20rocsparse_diag_type_b,comdat
.Lfunc_end108:
	.size	_ZN9rocsparseL5csrsmILj256ELj64ELb1Ell21rocsparse_complex_numIfEEEv20rocsparse_operation_T3_S4_NS_24const_host_device_scalarIT4_EEPKT2_PKS4_PKS6_PS6_lPiSC_PS4_21rocsparse_index_base_20rocsparse_fill_mode_20rocsparse_diag_type_b, .Lfunc_end108-_ZN9rocsparseL5csrsmILj256ELj64ELb1Ell21rocsparse_complex_numIfEEEv20rocsparse_operation_T3_S4_NS_24const_host_device_scalarIT4_EEPKT2_PKS4_PKS6_PS6_lPiSC_PS4_21rocsparse_index_base_20rocsparse_fill_mode_20rocsparse_diag_type_b
                                        ; -- End function
	.section	.AMDGPU.csdata,"",@progbits
; Kernel info:
; codeLenInByte = 2852
; NumSgprs: 34
; NumVgprs: 25
; ScratchSize: 0
; MemoryBound: 0
; FloatMode: 240
; IeeeMode: 1
; LDSByteSize: 4096 bytes/workgroup (compile time only)
; SGPRBlocks: 4
; VGPRBlocks: 3
; NumSGPRsForWavesPerEU: 34
; NumVGPRsForWavesPerEU: 25
; Occupancy: 16
; WaveLimiterHint : 1
; COMPUTE_PGM_RSRC2:SCRATCH_EN: 0
; COMPUTE_PGM_RSRC2:USER_SGPR: 15
; COMPUTE_PGM_RSRC2:TRAP_HANDLER: 0
; COMPUTE_PGM_RSRC2:TGID_X_EN: 1
; COMPUTE_PGM_RSRC2:TGID_Y_EN: 0
; COMPUTE_PGM_RSRC2:TGID_Z_EN: 0
; COMPUTE_PGM_RSRC2:TIDIG_COMP_CNT: 0
	.section	.text._ZN9rocsparseL5csrsmILj256ELj64ELb0Ell21rocsparse_complex_numIfEEEv20rocsparse_operation_T3_S4_NS_24const_host_device_scalarIT4_EEPKT2_PKS4_PKS6_PS6_lPiSC_PS4_21rocsparse_index_base_20rocsparse_fill_mode_20rocsparse_diag_type_b,"axG",@progbits,_ZN9rocsparseL5csrsmILj256ELj64ELb0Ell21rocsparse_complex_numIfEEEv20rocsparse_operation_T3_S4_NS_24const_host_device_scalarIT4_EEPKT2_PKS4_PKS6_PS6_lPiSC_PS4_21rocsparse_index_base_20rocsparse_fill_mode_20rocsparse_diag_type_b,comdat
	.globl	_ZN9rocsparseL5csrsmILj256ELj64ELb0Ell21rocsparse_complex_numIfEEEv20rocsparse_operation_T3_S4_NS_24const_host_device_scalarIT4_EEPKT2_PKS4_PKS6_PS6_lPiSC_PS4_21rocsparse_index_base_20rocsparse_fill_mode_20rocsparse_diag_type_b ; -- Begin function _ZN9rocsparseL5csrsmILj256ELj64ELb0Ell21rocsparse_complex_numIfEEEv20rocsparse_operation_T3_S4_NS_24const_host_device_scalarIT4_EEPKT2_PKS4_PKS6_PS6_lPiSC_PS4_21rocsparse_index_base_20rocsparse_fill_mode_20rocsparse_diag_type_b
	.p2align	8
	.type	_ZN9rocsparseL5csrsmILj256ELj64ELb0Ell21rocsparse_complex_numIfEEEv20rocsparse_operation_T3_S4_NS_24const_host_device_scalarIT4_EEPKT2_PKS4_PKS6_PS6_lPiSC_PS4_21rocsparse_index_base_20rocsparse_fill_mode_20rocsparse_diag_type_b,@function
_ZN9rocsparseL5csrsmILj256ELj64ELb0Ell21rocsparse_complex_numIfEEEv20rocsparse_operation_T3_S4_NS_24const_host_device_scalarIT4_EEPKT2_PKS4_PKS6_PS6_lPiSC_PS4_21rocsparse_index_base_20rocsparse_fill_mode_20rocsparse_diag_type_b: ; @_ZN9rocsparseL5csrsmILj256ELj64ELb0Ell21rocsparse_complex_numIfEEEv20rocsparse_operation_T3_S4_NS_24const_host_device_scalarIT4_EEPKT2_PKS4_PKS6_PS6_lPiSC_PS4_21rocsparse_index_base_20rocsparse_fill_mode_20rocsparse_diag_type_b
; %bb.0:
	s_clause 0x2
	s_load_b128 s[4:7], s[0:1], 0x60
	s_load_b64 s[2:3], s[0:1], 0x18
	s_load_b128 s[8:11], s[0:1], 0x8
	s_waitcnt lgkmcnt(0)
	s_bitcmp1_b32 s7, 0
	s_cselect_b32 s7, -1, 0
	s_delay_alu instid0(SALU_CYCLE_1)
	s_xor_b32 s12, s7, -1
	s_and_b32 vcc_lo, exec_lo, s7
	s_mov_b32 s7, s2
	s_cbranch_vccnz .LBB109_2
; %bb.1:
	s_load_b32 s7, s[2:3], 0x0
.LBB109_2:
	s_and_not1_b32 vcc_lo, exec_lo, s12
	s_cbranch_vccnz .LBB109_4
; %bb.3:
	s_load_b32 s3, s[2:3], 0x4
.LBB109_4:
	s_clause 0x1
	s_load_b64 s[16:17], s[0:1], 0x50
	s_load_b64 s[12:13], s[0:1], 0x20
	s_mov_b32 s18, 0
	s_mov_b32 s19, s9
	s_delay_alu instid0(SALU_CYCLE_1)
	s_cmp_lg_u64 s[18:19], 0
	s_cbranch_scc0 .LBB109_63
; %bb.5:
	s_ashr_i32 s20, s9, 31
	s_delay_alu instid0(SALU_CYCLE_1) | instskip(SKIP_2) | instid1(SALU_CYCLE_1)
	s_add_u32 s22, s8, s20
	s_mov_b32 s21, s20
	s_addc_u32 s23, s9, s20
	s_xor_b64 s[22:23], s[22:23], s[20:21]
	s_delay_alu instid0(SALU_CYCLE_1) | instskip(SKIP_3) | instid1(VALU_DEP_1)
	v_cvt_f32_u32_e32 v1, s22
	v_cvt_f32_u32_e32 v2, s23
	s_sub_u32 s19, 0, s22
	s_subb_u32 s24, 0, s23
	v_fmamk_f32 v1, v2, 0x4f800000, v1
	s_delay_alu instid0(VALU_DEP_1) | instskip(SKIP_2) | instid1(VALU_DEP_1)
	v_rcp_f32_e32 v1, v1
	s_waitcnt_depctr 0xfff
	v_mul_f32_e32 v1, 0x5f7ffffc, v1
	v_mul_f32_e32 v2, 0x2f800000, v1
	s_delay_alu instid0(VALU_DEP_1) | instskip(NEXT) | instid1(VALU_DEP_1)
	v_trunc_f32_e32 v2, v2
	v_fmamk_f32 v1, v2, 0xcf800000, v1
	v_cvt_u32_f32_e32 v2, v2
	s_delay_alu instid0(VALU_DEP_2) | instskip(NEXT) | instid1(VALU_DEP_2)
	v_cvt_u32_f32_e32 v1, v1
	v_readfirstlane_b32 s2, v2
	s_delay_alu instid0(VALU_DEP_2) | instskip(NEXT) | instid1(VALU_DEP_2)
	v_readfirstlane_b32 s14, v1
	s_mul_i32 s25, s19, s2
	s_delay_alu instid0(VALU_DEP_1)
	s_mul_hi_u32 s27, s19, s14
	s_mul_i32 s26, s24, s14
	s_add_i32 s25, s27, s25
	s_mul_i32 s28, s19, s14
	s_add_i32 s25, s25, s26
	s_mul_hi_u32 s27, s14, s28
	s_mul_hi_u32 s29, s2, s28
	s_mul_i32 s26, s2, s28
	s_mul_hi_u32 s28, s14, s25
	s_mul_i32 s14, s14, s25
	s_mul_hi_u32 s30, s2, s25
	s_add_u32 s14, s27, s14
	s_addc_u32 s27, 0, s28
	s_add_u32 s14, s14, s26
	s_mul_i32 s25, s2, s25
	s_addc_u32 s14, s27, s29
	s_addc_u32 s26, s30, 0
	s_add_u32 s14, s14, s25
	s_addc_u32 s25, 0, s26
	v_add_co_u32 v1, s14, v1, s14
	s_delay_alu instid0(VALU_DEP_1) | instskip(SKIP_1) | instid1(VALU_DEP_1)
	s_cmp_lg_u32 s14, 0
	s_addc_u32 s2, s2, s25
	v_readfirstlane_b32 s14, v1
	s_mul_i32 s25, s19, s2
	s_delay_alu instid0(VALU_DEP_1)
	s_mul_hi_u32 s26, s19, s14
	s_mul_i32 s24, s24, s14
	s_add_i32 s25, s26, s25
	s_mul_i32 s19, s19, s14
	s_add_i32 s25, s25, s24
	s_mul_hi_u32 s26, s2, s19
	s_mul_i32 s27, s2, s19
	s_mul_hi_u32 s19, s14, s19
	s_mul_hi_u32 s28, s14, s25
	s_mul_i32 s14, s14, s25
	s_mul_hi_u32 s24, s2, s25
	s_add_u32 s14, s19, s14
	s_addc_u32 s19, 0, s28
	s_add_u32 s14, s14, s27
	s_mul_i32 s25, s2, s25
	s_addc_u32 s14, s19, s26
	s_addc_u32 s19, s24, 0
	s_add_u32 s14, s14, s25
	s_addc_u32 s19, 0, s19
	v_add_co_u32 v1, s14, v1, s14
	s_delay_alu instid0(VALU_DEP_1) | instskip(SKIP_1) | instid1(VALU_DEP_1)
	s_cmp_lg_u32 s14, 0
	s_addc_u32 s2, s2, s19
	v_readfirstlane_b32 s14, v1
	s_mul_i32 s19, s15, s2
	s_mul_hi_u32 s2, s15, s2
	s_delay_alu instid0(VALU_DEP_1) | instskip(NEXT) | instid1(SALU_CYCLE_1)
	s_mul_hi_u32 s14, s15, s14
	s_add_u32 s14, s14, s19
	s_addc_u32 s2, 0, s2
	s_add_u32 s14, s14, 0
	s_addc_u32 s2, s2, 0
	s_addc_u32 s14, 0, 0
	s_add_u32 s2, s2, 0
	s_addc_u32 s14, 0, s14
	s_mul_hi_u32 s19, s22, s2
	s_mul_i32 s25, s22, s14
	s_mul_i32 s26, s22, s2
	s_add_i32 s19, s19, s25
	v_sub_co_u32 v1, s25, s15, s26
	s_mul_i32 s24, s23, s2
	s_delay_alu instid0(SALU_CYCLE_1) | instskip(NEXT) | instid1(VALU_DEP_1)
	s_add_i32 s19, s19, s24
	v_sub_co_u32 v2, s26, v1, s22
	s_sub_i32 s24, 0, s19
	s_cmp_lg_u32 s25, 0
	s_subb_u32 s24, s24, s23
	s_cmp_lg_u32 s26, 0
	v_readfirstlane_b32 s26, v2
	s_subb_u32 s24, s24, 0
	s_delay_alu instid0(SALU_CYCLE_1) | instskip(SKIP_1) | instid1(VALU_DEP_1)
	s_cmp_ge_u32 s24, s23
	s_cselect_b32 s27, -1, 0
	s_cmp_ge_u32 s26, s22
	s_cselect_b32 s26, -1, 0
	s_cmp_eq_u32 s24, s23
	s_cselect_b32 s24, s26, s27
	s_add_u32 s26, s2, 1
	s_addc_u32 s27, s14, 0
	s_add_u32 s28, s2, 2
	s_addc_u32 s29, s14, 0
	s_cmp_lg_u32 s24, 0
	s_cselect_b32 s24, s28, s26
	s_cselect_b32 s26, s29, s27
	s_cmp_lg_u32 s25, 0
	v_readfirstlane_b32 s25, v1
	s_subb_u32 s19, 0, s19
	s_delay_alu instid0(SALU_CYCLE_1) | instskip(SKIP_1) | instid1(VALU_DEP_1)
	s_cmp_ge_u32 s19, s23
	s_cselect_b32 s27, -1, 0
	s_cmp_ge_u32 s25, s22
	s_cselect_b32 s22, -1, 0
	s_cmp_eq_u32 s19, s23
	s_cselect_b32 s19, s22, s27
	s_delay_alu instid0(SALU_CYCLE_1) | instskip(SKIP_2) | instid1(SALU_CYCLE_1)
	s_cmp_lg_u32 s19, 0
	s_cselect_b32 s23, s26, s14
	s_cselect_b32 s22, s24, s2
	s_xor_b64 s[22:23], s[22:23], s[20:21]
	s_delay_alu instid0(SALU_CYCLE_1)
	s_sub_u32 s24, s22, s20
	s_subb_u32 s25, s23, s20
	s_load_b64 s[22:23], s[0:1], 0x38
	s_and_not1_b32 vcc_lo, exec_lo, s18
	s_cbranch_vccnz .LBB109_7
.LBB109_6:
	v_cvt_f32_u32_e32 v1, s8
	s_sub_i32 s14, 0, s8
	s_mov_b32 s25, 0
	s_delay_alu instid0(VALU_DEP_1) | instskip(SKIP_2) | instid1(VALU_DEP_1)
	v_rcp_iflag_f32_e32 v1, v1
	s_waitcnt_depctr 0xfff
	v_mul_f32_e32 v1, 0x4f7ffffe, v1
	v_cvt_u32_f32_e32 v1, v1
	s_delay_alu instid0(VALU_DEP_1) | instskip(NEXT) | instid1(VALU_DEP_1)
	v_readfirstlane_b32 s2, v1
	s_mul_i32 s14, s14, s2
	s_delay_alu instid0(SALU_CYCLE_1) | instskip(NEXT) | instid1(SALU_CYCLE_1)
	s_mul_hi_u32 s14, s2, s14
	s_add_i32 s2, s2, s14
	s_delay_alu instid0(SALU_CYCLE_1) | instskip(NEXT) | instid1(SALU_CYCLE_1)
	s_mul_hi_u32 s2, s15, s2
	s_mul_i32 s14, s2, s8
	s_add_i32 s18, s2, 1
	s_sub_i32 s14, s15, s14
	s_delay_alu instid0(SALU_CYCLE_1)
	s_sub_i32 s19, s14, s8
	s_cmp_ge_u32 s14, s8
	s_cselect_b32 s2, s18, s2
	s_cselect_b32 s14, s19, s14
	s_add_i32 s18, s2, 1
	s_cmp_ge_u32 s14, s8
	s_cselect_b32 s24, s18, s2
.LBB109_7:
	s_delay_alu instid0(SALU_CYCLE_1)
	s_mul_i32 s2, s24, s9
	s_mul_hi_u32 s9, s24, s8
	s_load_b32 s26, s[0:1], 0x0
	s_add_i32 s2, s9, s2
	s_mul_i32 s9, s25, s8
	s_mul_i32 s8, s24, s8
	s_add_i32 s9, s2, s9
	s_sub_u32 s14, s15, s8
	s_subb_u32 s15, 0, s9
	v_mov_b32_e32 v1, 0
	s_lshl_b64 s[14:15], s[14:15], 3
	s_waitcnt lgkmcnt(0)
	s_add_u32 s14, s16, s14
	s_addc_u32 s15, s17, s15
	s_load_b64 s[16:17], s[14:15], 0x0
	s_load_b64 s[20:21], s[0:1], 0x40
	s_waitcnt lgkmcnt(0)
	s_lshl_b64 s[14:15], s[16:17], 3
	s_mul_i32 s2, s16, s21
	s_add_u32 s12, s12, s14
	s_addc_u32 s13, s13, s15
	s_lshl_b64 s[24:25], s[24:25], 8
	s_load_b128 s[12:15], s[12:13], 0x0
	s_mul_hi_u32 s18, s16, s20
	v_or_b32_e32 v2, s24, v0
	v_mov_b32_e32 v3, s25
	s_add_i32 s2, s18, s2
	s_mul_i32 s18, s17, s20
	v_mov_b32_e32 v5, s25
	s_add_i32 s19, s2, s18
	s_mul_i32 s18, s16, s20
	v_cmp_gt_i64_e64 s2, s[10:11], v[2:3]
	v_add_co_u32 v4, vcc_lo, v2, s18
	v_add_co_ci_u32_e32 v5, vcc_lo, s19, v5, vcc_lo
	s_cmpk_lg_i32 s26, 0x71
	s_cbranch_scc0 .LBB109_11
; %bb.8:
	v_mov_b32_e32 v8, v1
	v_mov_b32_e32 v9, v1
	s_mov_b32 s24, 0
	s_and_saveexec_b32 s10, s2
	s_cbranch_execz .LBB109_10
; %bb.9:
	v_lshlrev_b64 v[6:7], 3, v[4:5]
	s_delay_alu instid0(VALU_DEP_1) | instskip(NEXT) | instid1(VALU_DEP_2)
	v_add_co_u32 v6, vcc_lo, s22, v6
	v_add_co_ci_u32_e32 v7, vcc_lo, s23, v7, vcc_lo
	global_load_b64 v[6:7], v[6:7], off
	s_waitcnt vmcnt(0)
	v_mul_f32_e64 v9, v7, -s3
	s_delay_alu instid0(VALU_DEP_1) | instskip(NEXT) | instid1(VALU_DEP_1)
	v_dual_mul_f32 v8, s7, v7 :: v_dual_fmac_f32 v9, s7, v6
	v_fmac_f32_e32 v8, s3, v6
.LBB109_10:
	s_or_b32 exec_lo, exec_lo, s10
	s_load_b64 s[10:11], s[0:1], 0x48
	s_and_not1_b32 vcc_lo, exec_lo, s24
	s_cbranch_vccz .LBB109_12
	s_branch .LBB109_15
.LBB109_11:
                                        ; implicit-def: $vgpr8
                                        ; implicit-def: $vgpr9
	s_load_b64 s[10:11], s[0:1], 0x48
.LBB109_12:
	v_dual_mov_b32 v8, 0 :: v_dual_mov_b32 v9, 0
	s_and_saveexec_b32 s24, s2
	s_cbranch_execz .LBB109_14
; %bb.13:
	v_lshlrev_b64 v[4:5], 3, v[4:5]
	s_delay_alu instid0(VALU_DEP_1) | instskip(NEXT) | instid1(VALU_DEP_2)
	v_add_co_u32 v4, vcc_lo, s22, v4
	v_add_co_ci_u32_e32 v5, vcc_lo, s23, v5, vcc_lo
	global_load_b64 v[4:5], v[4:5], off
	s_waitcnt vmcnt(0)
	v_mul_f32_e64 v8, s7, -v5
	s_delay_alu instid0(VALU_DEP_1) | instskip(NEXT) | instid1(VALU_DEP_1)
	v_dual_mul_f32 v9, s3, v5 :: v_dual_fmac_f32 v8, s3, v4
	v_fmac_f32_e32 v9, s7, v4
.LBB109_14:
	s_or_b32 exec_lo, exec_lo, s24
.LBB109_15:
	v_lshlrev_b64 v[2:3], 3, v[2:3]
	s_waitcnt lgkmcnt(0)
	v_cmp_ge_i64_e64 s3, s[12:13], s[14:15]
	s_delay_alu instid0(VALU_DEP_2) | instskip(NEXT) | instid1(VALU_DEP_3)
	v_add_co_u32 v6, vcc_lo, s22, v2
	v_add_co_ci_u32_e32 v7, vcc_lo, s23, v3, vcc_lo
	s_delay_alu instid0(VALU_DEP_3)
	s_and_b32 vcc_lo, exec_lo, s3
	v_cmp_eq_u32_e64 s3, 0, v0
	s_cbranch_vccnz .LBB109_57
; %bb.16:
	s_clause 0x1
	s_load_b128 s[24:27], s[0:1], 0x28
	s_load_b64 s[22:23], s[0:1], 0x58
	v_dual_mov_b32 v11, 0 :: v_dual_lshlrev_b32 v10, 3, v0
	s_lshl_b64 s[0:1], s[8:9], 2
	v_dual_mov_b32 v17, 1.0 :: v_dual_mov_b32 v18, 0
	s_add_u32 s7, s10, s0
	s_addc_u32 s28, s11, s1
	s_sub_u32 s12, s12, s4
	s_subb_u32 s13, s13, 0
	s_sub_u32 s14, s14, s4
	s_subb_u32 s15, s15, 0
	v_or_b32_e32 v12, 0x800, v10
	s_cmp_eq_u32 s6, 0
	s_cselect_b32 s29, -1, 0
	s_waitcnt lgkmcnt(0)
	v_add_co_u32 v13, s0, s24, v10
	s_delay_alu instid0(VALU_DEP_1) | instskip(SKIP_1) | instid1(VALU_DEP_1)
	v_add_co_ci_u32_e64 v14, null, s25, 0, s0
	v_add_co_u32 v15, s0, s26, v10
	v_add_co_ci_u32_e64 v16, null, s27, 0, s0
	s_add_u32 s24, s16, s4
	s_addc_u32 s25, s17, 0
	s_mov_b64 s[26:27], s[12:13]
	s_branch .LBB109_19
.LBB109_17:                             ;   in Loop: Header=BB109_19 Depth=1
	s_add_u32 s26, s26, 1
	s_addc_u32 s27, s27, 0
	s_delay_alu instid0(SALU_CYCLE_1)
	v_cmp_ge_i64_e64 s1, s[26:27], s[14:15]
.LBB109_18:                             ;   in Loop: Header=BB109_19 Depth=1
	v_dual_mov_b32 v8, v21 :: v_dual_mov_b32 v9, v22
	v_dual_mov_b32 v18, v4 :: v_dual_mov_b32 v17, v5
	s_delay_alu instid0(VALU_DEP_3)
	s_and_not1_b32 vcc_lo, exec_lo, s1
	s_cbranch_vccz .LBB109_58
.LBB109_19:                             ; =>This Loop Header: Depth=1
                                        ;     Child Loop BB109_48 Depth 2
	s_sub_i32 s0, s26, s12
	s_delay_alu instid0(SALU_CYCLE_1) | instskip(NEXT) | instid1(SALU_CYCLE_1)
	s_and_b32 s0, s0, 0xff
	s_cmp_lg_u32 s0, 0
	s_cbranch_scc1 .LBB109_23
; %bb.20:                               ;   in Loop: Header=BB109_19 Depth=1
	v_dual_mov_b32 v4, -1 :: v_dual_mov_b32 v3, 0
	v_dual_mov_b32 v5, -1 :: v_dual_mov_b32 v2, -1.0
	s_sub_u32 s30, s14, s26
	s_subb_u32 s31, s15, s27
	s_mov_b32 s1, exec_lo
	v_cmpx_gt_i64_e64 s[30:31], v[0:1]
	s_cbranch_execz .LBB109_22
; %bb.21:                               ;   in Loop: Header=BB109_19 Depth=1
	s_lshl_b64 s[30:31], s[26:27], 3
	s_delay_alu instid0(SALU_CYCLE_1)
	v_add_co_u32 v2, vcc_lo, v13, s30
	v_add_co_ci_u32_e32 v3, vcc_lo, s31, v14, vcc_lo
	global_load_b64 v[4:5], v[2:3], off
	v_add_co_u32 v2, vcc_lo, v15, s30
	v_add_co_ci_u32_e32 v3, vcc_lo, s31, v16, vcc_lo
	global_load_b64 v[2:3], v[2:3], off
	s_waitcnt vmcnt(1)
	v_sub_co_u32 v4, vcc_lo, v4, s4
	v_subrev_co_ci_u32_e32 v5, vcc_lo, 0, v5, vcc_lo
.LBB109_22:                             ;   in Loop: Header=BB109_19 Depth=1
	s_or_b32 exec_lo, exec_lo, s1
	ds_store_b64 v10, v[4:5]
	s_waitcnt vmcnt(0)
	ds_store_b64 v12, v[2:3]
.LBB109_23:                             ;   in Loop: Header=BB109_19 Depth=1
	s_lshl_b32 s0, s0, 3
	s_waitcnt lgkmcnt(0)
	v_mov_b32_e32 v2, s0
	s_waitcnt_vscnt null, 0x0
	s_barrier
	buffer_gl0_inv
	ds_load_2addr_stride64_b64 v[2:5], v2 offset1:4
	s_waitcnt lgkmcnt(0)
	v_cmp_eq_f32_e32 vcc_lo, 0, v4
	v_cmp_eq_f32_e64 s1, 0, v5
	v_cmp_eq_u64_e64 s0, s[16:17], v[2:3]
	v_cmp_ne_u64_e64 s13, s[16:17], v[2:3]
	s_delay_alu instid0(VALU_DEP_3)
	s_and_b32 s1, vcc_lo, s1
	s_delay_alu instid0(VALU_DEP_2) | instid1(SALU_CYCLE_1)
	s_and_b32 s1, s1, s0
	s_delay_alu instid0(SALU_CYCLE_1) | instskip(NEXT) | instid1(SALU_CYCLE_1)
	s_and_b32 s1, s29, s1
	v_cndmask_b32_e64 v19, v5, 0, s1
	v_cndmask_b32_e64 v20, v4, 1.0, s1
	s_and_b32 s30, s3, s1
	s_delay_alu instid0(SALU_CYCLE_1)
	s_and_saveexec_b32 s1, s30
	s_cbranch_execz .LBB109_27
; %bb.24:                               ;   in Loop: Header=BB109_19 Depth=1
	v_mbcnt_lo_u32_b32 v4, exec_lo, 0
	s_mov_b32 s30, exec_lo
	s_delay_alu instid0(VALU_DEP_1)
	v_cmpx_eq_u32_e32 0, v4
	s_cbranch_execz .LBB109_26
; %bb.25:                               ;   in Loop: Header=BB109_19 Depth=1
	v_dual_mov_b32 v4, s24 :: v_dual_mov_b32 v5, s25
	global_atomic_min_u64 v11, v[4:5], s[22:23]
.LBB109_26:                             ;   in Loop: Header=BB109_19 Depth=1
	s_or_b32 exec_lo, exec_lo, s30
	v_dual_mov_b32 v19, 0 :: v_dual_mov_b32 v20, 1.0
.LBB109_27:                             ;   in Loop: Header=BB109_19 Depth=1
	s_or_b32 exec_lo, exec_lo, s1
	s_cmp_lt_i32 s5, 1
	s_mov_b32 s1, 0
	s_cbranch_scc1 .LBB109_33
; %bb.28:                               ;   in Loop: Header=BB109_19 Depth=1
	s_cmp_eq_u32 s5, 1
	s_cbranch_scc0 .LBB109_34
; %bb.29:                               ;   in Loop: Header=BB109_19 Depth=1
	v_cmp_le_i64_e32 vcc_lo, s[16:17], v[2:3]
	v_dual_mov_b32 v4, v18 :: v_dual_mov_b32 v5, v17
	s_mov_b32 s30, 0
	s_cbranch_vccz .LBB109_36
; %bb.30:                               ;   in Loop: Header=BB109_19 Depth=1
	s_and_b32 vcc_lo, exec_lo, s0
	s_cbranch_vccz .LBB109_35
; %bb.31:                               ;   in Loop: Header=BB109_19 Depth=1
	v_dual_mov_b32 v4, v18 :: v_dual_mov_b32 v5, v17
	s_and_not1_b32 vcc_lo, exec_lo, s29
	s_cbranch_vccnz .LBB109_36
; %bb.32:                               ;   in Loop: Header=BB109_19 Depth=1
	v_mul_f32_e32 v4, v19, v19
	s_delay_alu instid0(VALU_DEP_1) | instskip(NEXT) | instid1(VALU_DEP_1)
	v_fmac_f32_e32 v4, v20, v20
	v_div_scale_f32 v5, null, v4, v4, 1.0
	v_div_scale_f32 v23, vcc_lo, 1.0, v4, 1.0
	s_delay_alu instid0(VALU_DEP_2) | instskip(SKIP_2) | instid1(VALU_DEP_1)
	v_rcp_f32_e32 v21, v5
	s_waitcnt_depctr 0xfff
	v_fma_f32 v22, -v5, v21, 1.0
	v_fmac_f32_e32 v21, v22, v21
	s_delay_alu instid0(VALU_DEP_1) | instskip(NEXT) | instid1(VALU_DEP_1)
	v_mul_f32_e32 v22, v23, v21
	v_fma_f32 v24, -v5, v22, v23
	s_delay_alu instid0(VALU_DEP_1) | instskip(NEXT) | instid1(VALU_DEP_1)
	v_fmac_f32_e32 v22, v24, v21
	v_fma_f32 v5, -v5, v22, v23
	s_delay_alu instid0(VALU_DEP_1) | instskip(SKIP_2) | instid1(VALU_DEP_3)
	v_div_fmas_f32 v5, v5, v21, v22
	v_fma_f32 v21, 0, v19, v20
	v_fma_f32 v22, v20, 0, -v19
	v_div_fixup_f32 v4, v5, v4, 1.0
	s_delay_alu instid0(VALU_DEP_1) | instskip(NEXT) | instid1(VALU_DEP_3)
	v_mul_f32_e32 v5, v21, v4
	v_mul_f32_e32 v4, v22, v4
	s_branch .LBB109_36
.LBB109_33:                             ;   in Loop: Header=BB109_19 Depth=1
	s_mov_b32 s30, 0
                                        ; implicit-def: $sgpr0
                                        ; implicit-def: $vgpr21
                                        ; implicit-def: $vgpr22
                                        ; implicit-def: $vgpr4
                                        ; implicit-def: $vgpr5
	s_cbranch_execnz .LBB109_37
	s_branch .LBB109_39
.LBB109_34:                             ;   in Loop: Header=BB109_19 Depth=1
	s_mov_b32 s30, -1
                                        ; implicit-def: $sgpr0
                                        ; implicit-def: $vgpr21
                                        ; implicit-def: $vgpr22
                                        ; implicit-def: $vgpr4
                                        ; implicit-def: $vgpr5
	s_branch .LBB109_39
.LBB109_35:                             ;   in Loop: Header=BB109_19 Depth=1
	s_mov_b32 s30, -1
                                        ; implicit-def: $vgpr4
                                        ; implicit-def: $vgpr5
.LBB109_36:                             ;   in Loop: Header=BB109_19 Depth=1
	v_dual_mov_b32 v21, v8 :: v_dual_mov_b32 v22, v9
	s_mov_b32 s0, 4
	s_branch .LBB109_39
.LBB109_37:                             ;   in Loop: Header=BB109_19 Depth=1
	s_cmp_eq_u32 s5, 0
	s_cbranch_scc1 .LBB109_43
; %bb.38:                               ;   in Loop: Header=BB109_19 Depth=1
	s_mov_b32 s30, -1
                                        ; implicit-def: $sgpr0
                                        ; implicit-def: $vgpr21
                                        ; implicit-def: $vgpr22
                                        ; implicit-def: $vgpr4
                                        ; implicit-def: $vgpr5
.LBB109_39:                             ;   in Loop: Header=BB109_19 Depth=1
	s_delay_alu instid0(SALU_CYCLE_1)
	s_and_b32 vcc_lo, exec_lo, s30
	s_cbranch_vccnz .LBB109_46
.LBB109_40:                             ;   in Loop: Header=BB109_19 Depth=1
	s_and_b32 vcc_lo, exec_lo, s1
	s_cbranch_vccnz .LBB109_52
.LBB109_41:                             ;   in Loop: Header=BB109_19 Depth=1
	s_cmp_gt_i32 s0, 3
	s_mov_b32 s1, -1
	s_cbranch_scc1 .LBB109_55
.LBB109_42:                             ;   in Loop: Header=BB109_19 Depth=1
	s_cmp_eq_u32 s0, 0
	s_cselect_b32 s0, -1, 0
	s_delay_alu instid0(SALU_CYCLE_1)
	s_and_not1_b32 vcc_lo, exec_lo, s0
	s_cbranch_vccz .LBB109_17
	s_branch .LBB109_56
.LBB109_43:                             ;   in Loop: Header=BB109_19 Depth=1
	v_cmp_ge_i64_e32 vcc_lo, s[16:17], v[2:3]
	s_mov_b32 s30, 0
	s_cbranch_vccz .LBB109_45
; %bb.44:                               ;   in Loop: Header=BB109_19 Depth=1
	s_mov_b32 s1, -1
	s_mov_b32 s30, s13
.LBB109_45:                             ;   in Loop: Header=BB109_19 Depth=1
	v_dual_mov_b32 v21, v8 :: v_dual_mov_b32 v22, v9
	v_dual_mov_b32 v4, v18 :: v_dual_mov_b32 v5, v17
	s_mov_b32 s0, 2
	s_and_b32 vcc_lo, exec_lo, s30
	s_cbranch_vccz .LBB109_40
.LBB109_46:                             ;   in Loop: Header=BB109_19 Depth=1
	s_and_saveexec_b32 s0, s3
	s_cbranch_execz .LBB109_49
; %bb.47:                               ;   in Loop: Header=BB109_19 Depth=1
	v_lshlrev_b64 v[4:5], 2, v[2:3]
	s_delay_alu instid0(VALU_DEP_1) | instskip(NEXT) | instid1(VALU_DEP_2)
	v_add_co_u32 v4, vcc_lo, s7, v4
	v_add_co_ci_u32_e32 v5, vcc_lo, s28, v5, vcc_lo
	global_load_b32 v21, v[4:5], off glc
	s_waitcnt vmcnt(0)
	v_cmp_ne_u32_e32 vcc_lo, 0, v21
	s_cbranch_vccnz .LBB109_49
.LBB109_48:                             ;   Parent Loop BB109_19 Depth=1
                                        ; =>  This Inner Loop Header: Depth=2
	global_load_b32 v21, v[4:5], off glc
	s_waitcnt vmcnt(0)
	v_cmp_eq_u32_e32 vcc_lo, 0, v21
	s_cbranch_vccnz .LBB109_48
.LBB109_49:                             ;   in Loop: Header=BB109_19 Depth=1
	s_or_b32 exec_lo, exec_lo, s0
	v_dual_mov_b32 v21, 0 :: v_dual_mov_b32 v22, 0
	s_mov_b32 s1, 0
	s_waitcnt_vscnt null, 0x0
	s_barrier
	buffer_gl0_inv
	buffer_gl1_inv
	buffer_gl0_inv
	s_and_saveexec_b32 s0, s2
	s_cbranch_execz .LBB109_51
; %bb.50:                               ;   in Loop: Header=BB109_19 Depth=1
	v_mul_lo_u32 v4, v2, s21
	v_mul_hi_u32 v5, v2, s20
	v_mul_lo_u32 v3, v3, s20
	v_mul_lo_u32 v2, v2, s20
	s_delay_alu instid0(VALU_DEP_3) | instskip(NEXT) | instid1(VALU_DEP_1)
	v_add_nc_u32_e32 v4, v5, v4
	v_add_nc_u32_e32 v3, v4, v3
	s_delay_alu instid0(VALU_DEP_1) | instskip(NEXT) | instid1(VALU_DEP_1)
	v_lshlrev_b64 v[2:3], 3, v[2:3]
	v_add_co_u32 v2, vcc_lo, v6, v2
	s_delay_alu instid0(VALU_DEP_2) | instskip(SKIP_4) | instid1(VALU_DEP_2)
	v_add_co_ci_u32_e32 v3, vcc_lo, v7, v3, vcc_lo
	global_load_b64 v[2:3], v[2:3], off
	s_waitcnt vmcnt(0)
	v_fma_f32 v22, -v20, v2, v9
	v_fma_f32 v2, -v19, v2, v8
	v_fmac_f32_e32 v22, v19, v3
	s_delay_alu instid0(VALU_DEP_2)
	v_fma_f32 v21, -v20, v3, v2
.LBB109_51:                             ;   in Loop: Header=BB109_19 Depth=1
	s_or_b32 exec_lo, exec_lo, s0
	v_dual_mov_b32 v4, v18 :: v_dual_mov_b32 v5, v17
	s_mov_b32 s0, 0
	s_and_b32 vcc_lo, exec_lo, s1
	s_cbranch_vccz .LBB109_41
.LBB109_52:                             ;   in Loop: Header=BB109_19 Depth=1
	s_and_not1_b32 vcc_lo, exec_lo, s29
	s_cbranch_vccnz .LBB109_54
; %bb.53:                               ;   in Loop: Header=BB109_19 Depth=1
	v_mul_f32_e32 v2, v19, v19
	s_delay_alu instid0(VALU_DEP_1) | instskip(NEXT) | instid1(VALU_DEP_1)
	v_fmac_f32_e32 v2, v20, v20
	v_div_scale_f32 v3, null, v2, v2, 1.0
	v_div_scale_f32 v17, vcc_lo, 1.0, v2, 1.0
	s_delay_alu instid0(VALU_DEP_2) | instskip(SKIP_2) | instid1(VALU_DEP_1)
	v_rcp_f32_e32 v4, v3
	s_waitcnt_depctr 0xfff
	v_fma_f32 v5, -v3, v4, 1.0
	v_fmac_f32_e32 v4, v5, v4
	s_delay_alu instid0(VALU_DEP_1) | instskip(NEXT) | instid1(VALU_DEP_1)
	v_mul_f32_e32 v5, v17, v4
	v_fma_f32 v18, -v3, v5, v17
	s_delay_alu instid0(VALU_DEP_1) | instskip(NEXT) | instid1(VALU_DEP_1)
	v_fmac_f32_e32 v5, v18, v4
	v_fma_f32 v3, -v3, v5, v17
	s_delay_alu instid0(VALU_DEP_1) | instskip(SKIP_1) | instid1(VALU_DEP_2)
	v_div_fmas_f32 v3, v3, v4, v5
	v_fma_f32 v4, 0, v19, v20
	v_div_fixup_f32 v2, v3, v2, 1.0
	v_fma_f32 v3, v20, 0, -v19
	s_delay_alu instid0(VALU_DEP_2) | instskip(NEXT) | instid1(VALU_DEP_2)
	v_mul_f32_e32 v17, v4, v2
	v_mul_f32_e32 v18, v3, v2
.LBB109_54:                             ;   in Loop: Header=BB109_19 Depth=1
	s_delay_alu instid0(VALU_DEP_1) | instskip(SKIP_2) | instid1(SALU_CYCLE_1)
	v_dual_mov_b32 v5, v17 :: v_dual_mov_b32 v4, v18
	v_dual_mov_b32 v22, v9 :: v_dual_mov_b32 v21, v8
	s_mov_b32 s0, 2
	s_cmp_gt_i32 s0, 3
	s_mov_b32 s1, -1
	s_cbranch_scc0 .LBB109_42
.LBB109_55:                             ;   in Loop: Header=BB109_19 Depth=1
	s_branch .LBB109_17
.LBB109_56:                             ;   in Loop: Header=BB109_19 Depth=1
                                        ; implicit-def: $sgpr26_sgpr27
	s_branch .LBB109_18
.LBB109_57:
	v_dual_mov_b32 v4, 0 :: v_dual_mov_b32 v5, 1.0
	s_and_saveexec_b32 s0, s2
	s_cbranch_execnz .LBB109_59
	s_branch .LBB109_60
.LBB109_58:
	v_dual_mov_b32 v8, v21 :: v_dual_mov_b32 v9, v22
	s_and_saveexec_b32 s0, s2
	s_cbranch_execz .LBB109_60
.LBB109_59:
	s_delay_alu instid0(VALU_DEP_1) | instskip(NEXT) | instid1(VALU_DEP_2)
	v_mul_f32_e32 v3, v4, v9
	v_mul_f32_e64 v10, v4, -v8
	s_lshl_b64 s[2:3], s[18:19], 3
	s_cmp_eq_u32 s6, 0
	v_add_co_u32 v1, vcc_lo, v6, s2
	v_fmac_f32_e32 v3, v8, v5
	v_fmac_f32_e32 v10, v9, v5
	v_add_co_ci_u32_e32 v2, vcc_lo, s3, v7, vcc_lo
	s_cselect_b32 vcc_lo, -1, 0
	s_delay_alu instid0(VALU_DEP_2)
	v_dual_cndmask_b32 v4, v8, v3 :: v_dual_cndmask_b32 v3, v9, v10
	global_store_b64 v[1:2], v[3:4], off
.LBB109_60:
	s_or_b32 exec_lo, exec_lo, s0
	s_waitcnt_vscnt null, 0x0
	buffer_gl1_inv
	buffer_gl0_inv
	s_barrier
	buffer_gl0_inv
	s_mov_b32 s0, exec_lo
	v_cmpx_eq_u32_e32 0, v0
	s_cbranch_execz .LBB109_62
; %bb.61:
	s_lshl_b64 s[0:1], s[16:17], 2
	v_dual_mov_b32 v0, 0 :: v_dual_mov_b32 v1, 1
	s_add_u32 s2, s10, s0
	s_addc_u32 s3, s11, s1
	s_lshl_b64 s[0:1], s[8:9], 2
	s_delay_alu instid0(SALU_CYCLE_1)
	s_add_u32 s0, s2, s0
	s_addc_u32 s1, s3, s1
	global_store_b32 v0, v1, s[0:1]
.LBB109_62:
	s_nop 0
	s_sendmsg sendmsg(MSG_DEALLOC_VGPRS)
	s_endpgm
.LBB109_63:
                                        ; implicit-def: $sgpr24_sgpr25
	s_load_b64 s[22:23], s[0:1], 0x38
	s_branch .LBB109_6
	.section	.rodata,"a",@progbits
	.p2align	6, 0x0
	.amdhsa_kernel _ZN9rocsparseL5csrsmILj256ELj64ELb0Ell21rocsparse_complex_numIfEEEv20rocsparse_operation_T3_S4_NS_24const_host_device_scalarIT4_EEPKT2_PKS4_PKS6_PS6_lPiSC_PS4_21rocsparse_index_base_20rocsparse_fill_mode_20rocsparse_diag_type_b
		.amdhsa_group_segment_fixed_size 4096
		.amdhsa_private_segment_fixed_size 0
		.amdhsa_kernarg_size 112
		.amdhsa_user_sgpr_count 15
		.amdhsa_user_sgpr_dispatch_ptr 0
		.amdhsa_user_sgpr_queue_ptr 0
		.amdhsa_user_sgpr_kernarg_segment_ptr 1
		.amdhsa_user_sgpr_dispatch_id 0
		.amdhsa_user_sgpr_private_segment_size 0
		.amdhsa_wavefront_size32 1
		.amdhsa_uses_dynamic_stack 0
		.amdhsa_enable_private_segment 0
		.amdhsa_system_sgpr_workgroup_id_x 1
		.amdhsa_system_sgpr_workgroup_id_y 0
		.amdhsa_system_sgpr_workgroup_id_z 0
		.amdhsa_system_sgpr_workgroup_info 0
		.amdhsa_system_vgpr_workitem_id 0
		.amdhsa_next_free_vgpr 25
		.amdhsa_next_free_sgpr 32
		.amdhsa_reserve_vcc 1
		.amdhsa_float_round_mode_32 0
		.amdhsa_float_round_mode_16_64 0
		.amdhsa_float_denorm_mode_32 3
		.amdhsa_float_denorm_mode_16_64 3
		.amdhsa_dx10_clamp 1
		.amdhsa_ieee_mode 1
		.amdhsa_fp16_overflow 0
		.amdhsa_workgroup_processor_mode 1
		.amdhsa_memory_ordered 1
		.amdhsa_forward_progress 0
		.amdhsa_shared_vgpr_count 0
		.amdhsa_exception_fp_ieee_invalid_op 0
		.amdhsa_exception_fp_denorm_src 0
		.amdhsa_exception_fp_ieee_div_zero 0
		.amdhsa_exception_fp_ieee_overflow 0
		.amdhsa_exception_fp_ieee_underflow 0
		.amdhsa_exception_fp_ieee_inexact 0
		.amdhsa_exception_int_div_zero 0
	.end_amdhsa_kernel
	.section	.text._ZN9rocsparseL5csrsmILj256ELj64ELb0Ell21rocsparse_complex_numIfEEEv20rocsparse_operation_T3_S4_NS_24const_host_device_scalarIT4_EEPKT2_PKS4_PKS6_PS6_lPiSC_PS4_21rocsparse_index_base_20rocsparse_fill_mode_20rocsparse_diag_type_b,"axG",@progbits,_ZN9rocsparseL5csrsmILj256ELj64ELb0Ell21rocsparse_complex_numIfEEEv20rocsparse_operation_T3_S4_NS_24const_host_device_scalarIT4_EEPKT2_PKS4_PKS6_PS6_lPiSC_PS4_21rocsparse_index_base_20rocsparse_fill_mode_20rocsparse_diag_type_b,comdat
.Lfunc_end109:
	.size	_ZN9rocsparseL5csrsmILj256ELj64ELb0Ell21rocsparse_complex_numIfEEEv20rocsparse_operation_T3_S4_NS_24const_host_device_scalarIT4_EEPKT2_PKS4_PKS6_PS6_lPiSC_PS4_21rocsparse_index_base_20rocsparse_fill_mode_20rocsparse_diag_type_b, .Lfunc_end109-_ZN9rocsparseL5csrsmILj256ELj64ELb0Ell21rocsparse_complex_numIfEEEv20rocsparse_operation_T3_S4_NS_24const_host_device_scalarIT4_EEPKT2_PKS4_PKS6_PS6_lPiSC_PS4_21rocsparse_index_base_20rocsparse_fill_mode_20rocsparse_diag_type_b
                                        ; -- End function
	.section	.AMDGPU.csdata,"",@progbits
; Kernel info:
; codeLenInByte = 2792
; NumSgprs: 34
; NumVgprs: 25
; ScratchSize: 0
; MemoryBound: 0
; FloatMode: 240
; IeeeMode: 1
; LDSByteSize: 4096 bytes/workgroup (compile time only)
; SGPRBlocks: 4
; VGPRBlocks: 3
; NumSGPRsForWavesPerEU: 34
; NumVGPRsForWavesPerEU: 25
; Occupancy: 16
; WaveLimiterHint : 1
; COMPUTE_PGM_RSRC2:SCRATCH_EN: 0
; COMPUTE_PGM_RSRC2:USER_SGPR: 15
; COMPUTE_PGM_RSRC2:TRAP_HANDLER: 0
; COMPUTE_PGM_RSRC2:TGID_X_EN: 1
; COMPUTE_PGM_RSRC2:TGID_Y_EN: 0
; COMPUTE_PGM_RSRC2:TGID_Z_EN: 0
; COMPUTE_PGM_RSRC2:TIDIG_COMP_CNT: 0
	.section	.text._ZN9rocsparseL5csrsmILj512ELj64ELb1Ell21rocsparse_complex_numIfEEEv20rocsparse_operation_T3_S4_NS_24const_host_device_scalarIT4_EEPKT2_PKS4_PKS6_PS6_lPiSC_PS4_21rocsparse_index_base_20rocsparse_fill_mode_20rocsparse_diag_type_b,"axG",@progbits,_ZN9rocsparseL5csrsmILj512ELj64ELb1Ell21rocsparse_complex_numIfEEEv20rocsparse_operation_T3_S4_NS_24const_host_device_scalarIT4_EEPKT2_PKS4_PKS6_PS6_lPiSC_PS4_21rocsparse_index_base_20rocsparse_fill_mode_20rocsparse_diag_type_b,comdat
	.globl	_ZN9rocsparseL5csrsmILj512ELj64ELb1Ell21rocsparse_complex_numIfEEEv20rocsparse_operation_T3_S4_NS_24const_host_device_scalarIT4_EEPKT2_PKS4_PKS6_PS6_lPiSC_PS4_21rocsparse_index_base_20rocsparse_fill_mode_20rocsparse_diag_type_b ; -- Begin function _ZN9rocsparseL5csrsmILj512ELj64ELb1Ell21rocsparse_complex_numIfEEEv20rocsparse_operation_T3_S4_NS_24const_host_device_scalarIT4_EEPKT2_PKS4_PKS6_PS6_lPiSC_PS4_21rocsparse_index_base_20rocsparse_fill_mode_20rocsparse_diag_type_b
	.p2align	8
	.type	_ZN9rocsparseL5csrsmILj512ELj64ELb1Ell21rocsparse_complex_numIfEEEv20rocsparse_operation_T3_S4_NS_24const_host_device_scalarIT4_EEPKT2_PKS4_PKS6_PS6_lPiSC_PS4_21rocsparse_index_base_20rocsparse_fill_mode_20rocsparse_diag_type_b,@function
_ZN9rocsparseL5csrsmILj512ELj64ELb1Ell21rocsparse_complex_numIfEEEv20rocsparse_operation_T3_S4_NS_24const_host_device_scalarIT4_EEPKT2_PKS4_PKS6_PS6_lPiSC_PS4_21rocsparse_index_base_20rocsparse_fill_mode_20rocsparse_diag_type_b: ; @_ZN9rocsparseL5csrsmILj512ELj64ELb1Ell21rocsparse_complex_numIfEEEv20rocsparse_operation_T3_S4_NS_24const_host_device_scalarIT4_EEPKT2_PKS4_PKS6_PS6_lPiSC_PS4_21rocsparse_index_base_20rocsparse_fill_mode_20rocsparse_diag_type_b
; %bb.0:
	s_clause 0x2
	s_load_b128 s[4:7], s[0:1], 0x60
	s_load_b64 s[2:3], s[0:1], 0x18
	s_load_b128 s[8:11], s[0:1], 0x8
	s_waitcnt lgkmcnt(0)
	s_bitcmp1_b32 s7, 0
	s_cselect_b32 s7, -1, 0
	s_delay_alu instid0(SALU_CYCLE_1)
	s_xor_b32 s12, s7, -1
	s_and_b32 vcc_lo, exec_lo, s7
	s_mov_b32 s7, s2
	s_cbranch_vccnz .LBB110_2
; %bb.1:
	s_load_b32 s7, s[2:3], 0x0
.LBB110_2:
	s_and_not1_b32 vcc_lo, exec_lo, s12
	s_cbranch_vccnz .LBB110_4
; %bb.3:
	s_load_b32 s3, s[2:3], 0x4
.LBB110_4:
	s_clause 0x1
	s_load_b64 s[16:17], s[0:1], 0x50
	s_load_b64 s[12:13], s[0:1], 0x20
	s_mov_b32 s18, 0
	s_mov_b32 s19, s9
	s_delay_alu instid0(SALU_CYCLE_1)
	s_cmp_lg_u64 s[18:19], 0
	s_cbranch_scc0 .LBB110_66
; %bb.5:
	s_ashr_i32 s20, s9, 31
	s_delay_alu instid0(SALU_CYCLE_1) | instskip(SKIP_2) | instid1(SALU_CYCLE_1)
	s_add_u32 s22, s8, s20
	s_mov_b32 s21, s20
	s_addc_u32 s23, s9, s20
	s_xor_b64 s[22:23], s[22:23], s[20:21]
	s_delay_alu instid0(SALU_CYCLE_1) | instskip(SKIP_3) | instid1(VALU_DEP_1)
	v_cvt_f32_u32_e32 v1, s22
	v_cvt_f32_u32_e32 v2, s23
	s_sub_u32 s19, 0, s22
	s_subb_u32 s24, 0, s23
	v_fmamk_f32 v1, v2, 0x4f800000, v1
	s_delay_alu instid0(VALU_DEP_1) | instskip(SKIP_2) | instid1(VALU_DEP_1)
	v_rcp_f32_e32 v1, v1
	s_waitcnt_depctr 0xfff
	v_mul_f32_e32 v1, 0x5f7ffffc, v1
	v_mul_f32_e32 v2, 0x2f800000, v1
	s_delay_alu instid0(VALU_DEP_1) | instskip(NEXT) | instid1(VALU_DEP_1)
	v_trunc_f32_e32 v2, v2
	v_fmamk_f32 v1, v2, 0xcf800000, v1
	v_cvt_u32_f32_e32 v2, v2
	s_delay_alu instid0(VALU_DEP_2) | instskip(NEXT) | instid1(VALU_DEP_2)
	v_cvt_u32_f32_e32 v1, v1
	v_readfirstlane_b32 s2, v2
	s_delay_alu instid0(VALU_DEP_2) | instskip(NEXT) | instid1(VALU_DEP_2)
	v_readfirstlane_b32 s14, v1
	s_mul_i32 s25, s19, s2
	s_delay_alu instid0(VALU_DEP_1)
	s_mul_hi_u32 s27, s19, s14
	s_mul_i32 s26, s24, s14
	s_add_i32 s25, s27, s25
	s_mul_i32 s28, s19, s14
	s_add_i32 s25, s25, s26
	s_mul_hi_u32 s27, s14, s28
	s_mul_hi_u32 s29, s2, s28
	s_mul_i32 s26, s2, s28
	s_mul_hi_u32 s28, s14, s25
	s_mul_i32 s14, s14, s25
	s_mul_hi_u32 s30, s2, s25
	s_add_u32 s14, s27, s14
	s_addc_u32 s27, 0, s28
	s_add_u32 s14, s14, s26
	s_mul_i32 s25, s2, s25
	s_addc_u32 s14, s27, s29
	s_addc_u32 s26, s30, 0
	s_add_u32 s14, s14, s25
	s_addc_u32 s25, 0, s26
	v_add_co_u32 v1, s14, v1, s14
	s_delay_alu instid0(VALU_DEP_1) | instskip(SKIP_1) | instid1(VALU_DEP_1)
	s_cmp_lg_u32 s14, 0
	s_addc_u32 s2, s2, s25
	v_readfirstlane_b32 s14, v1
	s_mul_i32 s25, s19, s2
	s_delay_alu instid0(VALU_DEP_1)
	s_mul_hi_u32 s26, s19, s14
	s_mul_i32 s24, s24, s14
	s_add_i32 s25, s26, s25
	s_mul_i32 s19, s19, s14
	s_add_i32 s25, s25, s24
	s_mul_hi_u32 s26, s2, s19
	s_mul_i32 s27, s2, s19
	s_mul_hi_u32 s19, s14, s19
	s_mul_hi_u32 s28, s14, s25
	s_mul_i32 s14, s14, s25
	s_mul_hi_u32 s24, s2, s25
	s_add_u32 s14, s19, s14
	s_addc_u32 s19, 0, s28
	s_add_u32 s14, s14, s27
	s_mul_i32 s25, s2, s25
	s_addc_u32 s14, s19, s26
	s_addc_u32 s19, s24, 0
	s_add_u32 s14, s14, s25
	s_addc_u32 s19, 0, s19
	v_add_co_u32 v1, s14, v1, s14
	s_delay_alu instid0(VALU_DEP_1) | instskip(SKIP_1) | instid1(VALU_DEP_1)
	s_cmp_lg_u32 s14, 0
	s_addc_u32 s2, s2, s19
	v_readfirstlane_b32 s14, v1
	s_mul_i32 s19, s15, s2
	s_mul_hi_u32 s2, s15, s2
	s_delay_alu instid0(VALU_DEP_1) | instskip(NEXT) | instid1(SALU_CYCLE_1)
	s_mul_hi_u32 s14, s15, s14
	s_add_u32 s14, s14, s19
	s_addc_u32 s2, 0, s2
	s_add_u32 s14, s14, 0
	s_addc_u32 s2, s2, 0
	s_addc_u32 s14, 0, 0
	s_add_u32 s2, s2, 0
	s_addc_u32 s14, 0, s14
	s_mul_hi_u32 s19, s22, s2
	s_mul_i32 s25, s22, s14
	s_mul_i32 s26, s22, s2
	s_add_i32 s19, s19, s25
	v_sub_co_u32 v1, s25, s15, s26
	s_mul_i32 s24, s23, s2
	s_delay_alu instid0(SALU_CYCLE_1) | instskip(NEXT) | instid1(VALU_DEP_1)
	s_add_i32 s19, s19, s24
	v_sub_co_u32 v2, s26, v1, s22
	s_sub_i32 s24, 0, s19
	s_cmp_lg_u32 s25, 0
	s_subb_u32 s24, s24, s23
	s_cmp_lg_u32 s26, 0
	v_readfirstlane_b32 s26, v2
	s_subb_u32 s24, s24, 0
	s_delay_alu instid0(SALU_CYCLE_1) | instskip(SKIP_1) | instid1(VALU_DEP_1)
	s_cmp_ge_u32 s24, s23
	s_cselect_b32 s27, -1, 0
	s_cmp_ge_u32 s26, s22
	s_cselect_b32 s26, -1, 0
	s_cmp_eq_u32 s24, s23
	s_cselect_b32 s24, s26, s27
	s_add_u32 s26, s2, 1
	s_addc_u32 s27, s14, 0
	s_add_u32 s28, s2, 2
	s_addc_u32 s29, s14, 0
	s_cmp_lg_u32 s24, 0
	s_cselect_b32 s24, s28, s26
	s_cselect_b32 s26, s29, s27
	s_cmp_lg_u32 s25, 0
	v_readfirstlane_b32 s25, v1
	s_subb_u32 s19, 0, s19
	s_delay_alu instid0(SALU_CYCLE_1) | instskip(SKIP_1) | instid1(VALU_DEP_1)
	s_cmp_ge_u32 s19, s23
	s_cselect_b32 s27, -1, 0
	s_cmp_ge_u32 s25, s22
	s_cselect_b32 s22, -1, 0
	s_cmp_eq_u32 s19, s23
	s_cselect_b32 s19, s22, s27
	s_delay_alu instid0(SALU_CYCLE_1) | instskip(SKIP_2) | instid1(SALU_CYCLE_1)
	s_cmp_lg_u32 s19, 0
	s_cselect_b32 s23, s26, s14
	s_cselect_b32 s22, s24, s2
	s_xor_b64 s[22:23], s[22:23], s[20:21]
	s_delay_alu instid0(SALU_CYCLE_1)
	s_sub_u32 s24, s22, s20
	s_subb_u32 s25, s23, s20
	s_load_b64 s[22:23], s[0:1], 0x38
	s_and_not1_b32 vcc_lo, exec_lo, s18
	s_cbranch_vccnz .LBB110_7
.LBB110_6:
	v_cvt_f32_u32_e32 v1, s8
	s_sub_i32 s14, 0, s8
	s_mov_b32 s25, 0
	s_delay_alu instid0(VALU_DEP_1) | instskip(SKIP_2) | instid1(VALU_DEP_1)
	v_rcp_iflag_f32_e32 v1, v1
	s_waitcnt_depctr 0xfff
	v_mul_f32_e32 v1, 0x4f7ffffe, v1
	v_cvt_u32_f32_e32 v1, v1
	s_delay_alu instid0(VALU_DEP_1) | instskip(NEXT) | instid1(VALU_DEP_1)
	v_readfirstlane_b32 s2, v1
	s_mul_i32 s14, s14, s2
	s_delay_alu instid0(SALU_CYCLE_1) | instskip(NEXT) | instid1(SALU_CYCLE_1)
	s_mul_hi_u32 s14, s2, s14
	s_add_i32 s2, s2, s14
	s_delay_alu instid0(SALU_CYCLE_1) | instskip(NEXT) | instid1(SALU_CYCLE_1)
	s_mul_hi_u32 s2, s15, s2
	s_mul_i32 s14, s2, s8
	s_add_i32 s18, s2, 1
	s_sub_i32 s14, s15, s14
	s_delay_alu instid0(SALU_CYCLE_1)
	s_sub_i32 s19, s14, s8
	s_cmp_ge_u32 s14, s8
	s_cselect_b32 s2, s18, s2
	s_cselect_b32 s14, s19, s14
	s_add_i32 s18, s2, 1
	s_cmp_ge_u32 s14, s8
	s_cselect_b32 s24, s18, s2
.LBB110_7:
	s_delay_alu instid0(SALU_CYCLE_1)
	s_mul_i32 s2, s24, s9
	s_mul_hi_u32 s9, s24, s8
	s_load_b32 s26, s[0:1], 0x0
	s_add_i32 s2, s9, s2
	s_mul_i32 s9, s25, s8
	s_mul_i32 s8, s24, s8
	s_add_i32 s9, s2, s9
	s_sub_u32 s14, s15, s8
	s_subb_u32 s15, 0, s9
	v_mov_b32_e32 v1, 0
	s_lshl_b64 s[14:15], s[14:15], 3
	s_waitcnt lgkmcnt(0)
	s_add_u32 s14, s16, s14
	s_addc_u32 s15, s17, s15
	s_load_b64 s[16:17], s[14:15], 0x0
	s_load_b64 s[20:21], s[0:1], 0x40
	s_waitcnt lgkmcnt(0)
	s_lshl_b64 s[14:15], s[16:17], 3
	s_mul_i32 s2, s16, s21
	s_add_u32 s12, s12, s14
	s_addc_u32 s13, s13, s15
	s_lshl_b64 s[24:25], s[24:25], 9
	s_load_b128 s[12:15], s[12:13], 0x0
	s_mul_hi_u32 s18, s16, s20
	v_or_b32_e32 v2, s24, v0
	v_mov_b32_e32 v3, s25
	s_add_i32 s2, s18, s2
	s_mul_i32 s18, s17, s20
	v_mov_b32_e32 v5, s25
	s_add_i32 s19, s2, s18
	s_mul_i32 s18, s16, s20
	v_cmp_gt_i64_e64 s2, s[10:11], v[2:3]
	v_add_co_u32 v4, vcc_lo, v2, s18
	v_add_co_ci_u32_e32 v5, vcc_lo, s19, v5, vcc_lo
	s_cmpk_lg_i32 s26, 0x71
	s_cbranch_scc0 .LBB110_11
; %bb.8:
	v_mov_b32_e32 v8, v1
	v_mov_b32_e32 v9, v1
	s_mov_b32 s24, 0
	s_and_saveexec_b32 s10, s2
	s_cbranch_execz .LBB110_10
; %bb.9:
	v_lshlrev_b64 v[6:7], 3, v[4:5]
	s_delay_alu instid0(VALU_DEP_1) | instskip(NEXT) | instid1(VALU_DEP_2)
	v_add_co_u32 v6, vcc_lo, s22, v6
	v_add_co_ci_u32_e32 v7, vcc_lo, s23, v7, vcc_lo
	global_load_b64 v[6:7], v[6:7], off
	s_waitcnt vmcnt(0)
	v_mul_f32_e64 v9, v7, -s3
	s_delay_alu instid0(VALU_DEP_1) | instskip(NEXT) | instid1(VALU_DEP_1)
	v_dual_mul_f32 v8, s7, v7 :: v_dual_fmac_f32 v9, s7, v6
	v_fmac_f32_e32 v8, s3, v6
.LBB110_10:
	s_or_b32 exec_lo, exec_lo, s10
	s_load_b64 s[10:11], s[0:1], 0x48
	s_and_not1_b32 vcc_lo, exec_lo, s24
	s_cbranch_vccz .LBB110_12
	s_branch .LBB110_15
.LBB110_11:
                                        ; implicit-def: $vgpr8
                                        ; implicit-def: $vgpr9
	s_load_b64 s[10:11], s[0:1], 0x48
.LBB110_12:
	v_dual_mov_b32 v8, 0 :: v_dual_mov_b32 v9, 0
	s_and_saveexec_b32 s24, s2
	s_cbranch_execz .LBB110_14
; %bb.13:
	v_lshlrev_b64 v[4:5], 3, v[4:5]
	s_delay_alu instid0(VALU_DEP_1) | instskip(NEXT) | instid1(VALU_DEP_2)
	v_add_co_u32 v4, vcc_lo, s22, v4
	v_add_co_ci_u32_e32 v5, vcc_lo, s23, v5, vcc_lo
	global_load_b64 v[4:5], v[4:5], off
	s_waitcnt vmcnt(0)
	v_mul_f32_e64 v8, s7, -v5
	s_delay_alu instid0(VALU_DEP_1) | instskip(NEXT) | instid1(VALU_DEP_1)
	v_dual_mul_f32 v9, s3, v5 :: v_dual_fmac_f32 v8, s3, v4
	v_fmac_f32_e32 v9, s7, v4
.LBB110_14:
	s_or_b32 exec_lo, exec_lo, s24
.LBB110_15:
	v_lshlrev_b64 v[2:3], 3, v[2:3]
	s_waitcnt lgkmcnt(0)
	v_cmp_ge_i64_e64 s3, s[12:13], s[14:15]
	s_delay_alu instid0(VALU_DEP_2) | instskip(NEXT) | instid1(VALU_DEP_3)
	v_add_co_u32 v6, vcc_lo, s22, v2
	v_add_co_ci_u32_e32 v7, vcc_lo, s23, v3, vcc_lo
	s_delay_alu instid0(VALU_DEP_3)
	s_and_b32 vcc_lo, exec_lo, s3
	v_cmp_eq_u32_e64 s3, 0, v0
	s_cbranch_vccnz .LBB110_60
; %bb.16:
	s_clause 0x1
	s_load_b128 s[24:27], s[0:1], 0x28
	s_load_b64 s[22:23], s[0:1], 0x58
	v_dual_mov_b32 v11, 0 :: v_dual_lshlrev_b32 v10, 3, v0
	s_lshl_b64 s[0:1], s[8:9], 2
	v_dual_mov_b32 v17, 1.0 :: v_dual_mov_b32 v18, 0
	s_add_u32 s7, s10, s0
	s_addc_u32 s28, s11, s1
	s_sub_u32 s12, s12, s4
	s_subb_u32 s13, s13, 0
	s_sub_u32 s14, s14, s4
	s_subb_u32 s15, s15, 0
	v_or_b32_e32 v12, 0x1000, v10
	s_cmp_eq_u32 s6, 0
	s_cselect_b32 s29, -1, 0
	s_waitcnt lgkmcnt(0)
	v_add_co_u32 v13, s0, s24, v10
	s_delay_alu instid0(VALU_DEP_1) | instskip(SKIP_1) | instid1(VALU_DEP_1)
	v_add_co_ci_u32_e64 v14, null, s25, 0, s0
	v_add_co_u32 v15, s0, s26, v10
	v_add_co_ci_u32_e64 v16, null, s27, 0, s0
	s_add_u32 s24, s16, s4
	s_addc_u32 s25, s17, 0
	s_mov_b64 s[26:27], s[12:13]
	s_branch .LBB110_19
.LBB110_17:                             ;   in Loop: Header=BB110_19 Depth=1
	s_add_u32 s26, s26, 1
	s_addc_u32 s27, s27, 0
	s_delay_alu instid0(SALU_CYCLE_1)
	v_cmp_ge_i64_e64 s1, s[26:27], s[14:15]
.LBB110_18:                             ;   in Loop: Header=BB110_19 Depth=1
	v_dual_mov_b32 v8, v21 :: v_dual_mov_b32 v9, v22
	v_dual_mov_b32 v18, v4 :: v_dual_mov_b32 v17, v5
	s_delay_alu instid0(VALU_DEP_3)
	s_and_not1_b32 vcc_lo, exec_lo, s1
	s_cbranch_vccz .LBB110_61
.LBB110_19:                             ; =>This Loop Header: Depth=1
                                        ;     Child Loop BB110_58 Depth 2
                                        ;       Child Loop BB110_59 Depth 3
	s_sub_i32 s0, s26, s12
	s_delay_alu instid0(SALU_CYCLE_1) | instskip(NEXT) | instid1(SALU_CYCLE_1)
	s_and_b32 s0, s0, 0x1ff
	s_cmp_lg_u32 s0, 0
	s_cbranch_scc1 .LBB110_23
; %bb.20:                               ;   in Loop: Header=BB110_19 Depth=1
	v_dual_mov_b32 v4, -1 :: v_dual_mov_b32 v3, 0
	v_dual_mov_b32 v5, -1 :: v_dual_mov_b32 v2, -1.0
	s_sub_u32 s30, s14, s26
	s_subb_u32 s31, s15, s27
	s_mov_b32 s1, exec_lo
	v_cmpx_gt_i64_e64 s[30:31], v[0:1]
	s_cbranch_execz .LBB110_22
; %bb.21:                               ;   in Loop: Header=BB110_19 Depth=1
	s_lshl_b64 s[30:31], s[26:27], 3
	s_delay_alu instid0(SALU_CYCLE_1)
	v_add_co_u32 v2, vcc_lo, v13, s30
	v_add_co_ci_u32_e32 v3, vcc_lo, s31, v14, vcc_lo
	global_load_b64 v[4:5], v[2:3], off
	v_add_co_u32 v2, vcc_lo, v15, s30
	v_add_co_ci_u32_e32 v3, vcc_lo, s31, v16, vcc_lo
	global_load_b64 v[2:3], v[2:3], off
	s_waitcnt vmcnt(1)
	v_sub_co_u32 v4, vcc_lo, v4, s4
	v_subrev_co_ci_u32_e32 v5, vcc_lo, 0, v5, vcc_lo
.LBB110_22:                             ;   in Loop: Header=BB110_19 Depth=1
	s_or_b32 exec_lo, exec_lo, s1
	ds_store_b64 v10, v[4:5]
	s_waitcnt vmcnt(0)
	ds_store_b64 v12, v[2:3]
.LBB110_23:                             ;   in Loop: Header=BB110_19 Depth=1
	s_lshl_b32 s0, s0, 3
	s_waitcnt lgkmcnt(0)
	v_mov_b32_e32 v2, s0
	s_waitcnt_vscnt null, 0x0
	s_barrier
	buffer_gl0_inv
	ds_load_2addr_stride64_b64 v[2:5], v2 offset1:8
	s_waitcnt lgkmcnt(0)
	v_cmp_eq_f32_e32 vcc_lo, 0, v4
	v_cmp_eq_f32_e64 s1, 0, v5
	v_cmp_eq_u64_e64 s0, s[16:17], v[2:3]
	v_cmp_ne_u64_e64 s13, s[16:17], v[2:3]
	s_delay_alu instid0(VALU_DEP_3)
	s_and_b32 s1, vcc_lo, s1
	s_delay_alu instid0(VALU_DEP_2) | instid1(SALU_CYCLE_1)
	s_and_b32 s1, s1, s0
	s_delay_alu instid0(SALU_CYCLE_1) | instskip(NEXT) | instid1(SALU_CYCLE_1)
	s_and_b32 s1, s29, s1
	v_cndmask_b32_e64 v19, v5, 0, s1
	v_cndmask_b32_e64 v20, v4, 1.0, s1
	s_and_b32 s30, s3, s1
	s_delay_alu instid0(SALU_CYCLE_1)
	s_and_saveexec_b32 s1, s30
	s_cbranch_execz .LBB110_27
; %bb.24:                               ;   in Loop: Header=BB110_19 Depth=1
	v_mbcnt_lo_u32_b32 v4, exec_lo, 0
	s_mov_b32 s30, exec_lo
	s_delay_alu instid0(VALU_DEP_1)
	v_cmpx_eq_u32_e32 0, v4
	s_cbranch_execz .LBB110_26
; %bb.25:                               ;   in Loop: Header=BB110_19 Depth=1
	v_dual_mov_b32 v4, s24 :: v_dual_mov_b32 v5, s25
	global_atomic_min_u64 v11, v[4:5], s[22:23]
.LBB110_26:                             ;   in Loop: Header=BB110_19 Depth=1
	s_or_b32 exec_lo, exec_lo, s30
	v_dual_mov_b32 v19, 0 :: v_dual_mov_b32 v20, 1.0
.LBB110_27:                             ;   in Loop: Header=BB110_19 Depth=1
	s_or_b32 exec_lo, exec_lo, s1
	s_cmp_lt_i32 s5, 1
	s_mov_b32 s1, 0
	s_cbranch_scc1 .LBB110_33
; %bb.28:                               ;   in Loop: Header=BB110_19 Depth=1
	s_cmp_eq_u32 s5, 1
	s_cbranch_scc0 .LBB110_34
; %bb.29:                               ;   in Loop: Header=BB110_19 Depth=1
	v_cmp_le_i64_e32 vcc_lo, s[16:17], v[2:3]
	v_dual_mov_b32 v4, v18 :: v_dual_mov_b32 v5, v17
	s_mov_b32 s30, 0
	s_cbranch_vccz .LBB110_36
; %bb.30:                               ;   in Loop: Header=BB110_19 Depth=1
	s_and_b32 vcc_lo, exec_lo, s0
	s_cbranch_vccz .LBB110_35
; %bb.31:                               ;   in Loop: Header=BB110_19 Depth=1
	v_dual_mov_b32 v4, v18 :: v_dual_mov_b32 v5, v17
	s_and_not1_b32 vcc_lo, exec_lo, s29
	s_cbranch_vccnz .LBB110_36
; %bb.32:                               ;   in Loop: Header=BB110_19 Depth=1
	v_mul_f32_e32 v4, v19, v19
	s_delay_alu instid0(VALU_DEP_1) | instskip(NEXT) | instid1(VALU_DEP_1)
	v_fmac_f32_e32 v4, v20, v20
	v_div_scale_f32 v5, null, v4, v4, 1.0
	v_div_scale_f32 v23, vcc_lo, 1.0, v4, 1.0
	s_delay_alu instid0(VALU_DEP_2) | instskip(SKIP_2) | instid1(VALU_DEP_1)
	v_rcp_f32_e32 v21, v5
	s_waitcnt_depctr 0xfff
	v_fma_f32 v22, -v5, v21, 1.0
	v_fmac_f32_e32 v21, v22, v21
	s_delay_alu instid0(VALU_DEP_1) | instskip(NEXT) | instid1(VALU_DEP_1)
	v_mul_f32_e32 v22, v23, v21
	v_fma_f32 v24, -v5, v22, v23
	s_delay_alu instid0(VALU_DEP_1) | instskip(NEXT) | instid1(VALU_DEP_1)
	v_fmac_f32_e32 v22, v24, v21
	v_fma_f32 v5, -v5, v22, v23
	s_delay_alu instid0(VALU_DEP_1) | instskip(SKIP_2) | instid1(VALU_DEP_3)
	v_div_fmas_f32 v5, v5, v21, v22
	v_fma_f32 v21, 0, v19, v20
	v_fma_f32 v22, v20, 0, -v19
	v_div_fixup_f32 v4, v5, v4, 1.0
	s_delay_alu instid0(VALU_DEP_1) | instskip(NEXT) | instid1(VALU_DEP_3)
	v_mul_f32_e32 v5, v21, v4
	v_mul_f32_e32 v4, v22, v4
	s_branch .LBB110_36
.LBB110_33:                             ;   in Loop: Header=BB110_19 Depth=1
	s_mov_b32 s30, 0
                                        ; implicit-def: $sgpr0
                                        ; implicit-def: $vgpr21
                                        ; implicit-def: $vgpr22
                                        ; implicit-def: $vgpr4
                                        ; implicit-def: $vgpr5
	s_cbranch_execnz .LBB110_37
	s_branch .LBB110_39
.LBB110_34:                             ;   in Loop: Header=BB110_19 Depth=1
	s_mov_b32 s30, -1
                                        ; implicit-def: $sgpr0
                                        ; implicit-def: $vgpr21
                                        ; implicit-def: $vgpr22
                                        ; implicit-def: $vgpr4
                                        ; implicit-def: $vgpr5
	s_branch .LBB110_39
.LBB110_35:                             ;   in Loop: Header=BB110_19 Depth=1
	s_mov_b32 s30, -1
                                        ; implicit-def: $vgpr4
                                        ; implicit-def: $vgpr5
.LBB110_36:                             ;   in Loop: Header=BB110_19 Depth=1
	v_dual_mov_b32 v21, v8 :: v_dual_mov_b32 v22, v9
	s_mov_b32 s0, 4
	s_branch .LBB110_39
.LBB110_37:                             ;   in Loop: Header=BB110_19 Depth=1
	s_cmp_eq_u32 s5, 0
	s_cbranch_scc1 .LBB110_43
; %bb.38:                               ;   in Loop: Header=BB110_19 Depth=1
	s_mov_b32 s30, -1
                                        ; implicit-def: $sgpr0
                                        ; implicit-def: $vgpr21
                                        ; implicit-def: $vgpr22
                                        ; implicit-def: $vgpr4
                                        ; implicit-def: $vgpr5
.LBB110_39:                             ;   in Loop: Header=BB110_19 Depth=1
	s_delay_alu instid0(SALU_CYCLE_1)
	s_and_b32 vcc_lo, exec_lo, s30
	s_cbranch_vccnz .LBB110_46
.LBB110_40:                             ;   in Loop: Header=BB110_19 Depth=1
	s_and_b32 vcc_lo, exec_lo, s1
	s_cbranch_vccnz .LBB110_51
.LBB110_41:                             ;   in Loop: Header=BB110_19 Depth=1
	s_cmp_gt_i32 s0, 3
	s_mov_b32 s1, -1
	s_cbranch_scc1 .LBB110_54
.LBB110_42:                             ;   in Loop: Header=BB110_19 Depth=1
	s_cmp_eq_u32 s0, 0
	s_cselect_b32 s0, -1, 0
	s_delay_alu instid0(SALU_CYCLE_1)
	s_and_not1_b32 vcc_lo, exec_lo, s0
	s_cbranch_vccz .LBB110_17
	s_branch .LBB110_55
.LBB110_43:                             ;   in Loop: Header=BB110_19 Depth=1
	v_cmp_ge_i64_e32 vcc_lo, s[16:17], v[2:3]
	s_mov_b32 s30, 0
	s_cbranch_vccz .LBB110_45
; %bb.44:                               ;   in Loop: Header=BB110_19 Depth=1
	s_mov_b32 s1, -1
	s_mov_b32 s30, s13
.LBB110_45:                             ;   in Loop: Header=BB110_19 Depth=1
	v_dual_mov_b32 v21, v8 :: v_dual_mov_b32 v22, v9
	v_dual_mov_b32 v4, v18 :: v_dual_mov_b32 v5, v17
	s_mov_b32 s0, 2
	s_and_b32 vcc_lo, exec_lo, s30
	s_cbranch_vccz .LBB110_40
.LBB110_46:                             ;   in Loop: Header=BB110_19 Depth=1
	s_and_saveexec_b32 s0, s3
	s_cbranch_execz .LBB110_48
; %bb.47:                               ;   in Loop: Header=BB110_19 Depth=1
	v_lshlrev_b64 v[4:5], 2, v[2:3]
	s_delay_alu instid0(VALU_DEP_1) | instskip(NEXT) | instid1(VALU_DEP_2)
	v_add_co_u32 v4, vcc_lo, s7, v4
	v_add_co_ci_u32_e32 v5, vcc_lo, s28, v5, vcc_lo
	global_load_b32 v21, v[4:5], off glc
	s_waitcnt vmcnt(0)
	v_cmp_ne_u32_e32 vcc_lo, 0, v21
	s_cbranch_vccz .LBB110_56
.LBB110_48:                             ;   in Loop: Header=BB110_19 Depth=1
	s_or_b32 exec_lo, exec_lo, s0
	v_dual_mov_b32 v21, 0 :: v_dual_mov_b32 v22, 0
	s_mov_b32 s1, 0
	s_waitcnt_vscnt null, 0x0
	s_barrier
	buffer_gl0_inv
	buffer_gl1_inv
	buffer_gl0_inv
	s_and_saveexec_b32 s0, s2
	s_cbranch_execz .LBB110_50
; %bb.49:                               ;   in Loop: Header=BB110_19 Depth=1
	v_mul_lo_u32 v4, v2, s21
	v_mul_hi_u32 v5, v2, s20
	v_mul_lo_u32 v3, v3, s20
	v_mul_lo_u32 v2, v2, s20
	s_delay_alu instid0(VALU_DEP_3) | instskip(NEXT) | instid1(VALU_DEP_1)
	v_add_nc_u32_e32 v4, v5, v4
	v_add_nc_u32_e32 v3, v4, v3
	s_delay_alu instid0(VALU_DEP_1) | instskip(NEXT) | instid1(VALU_DEP_1)
	v_lshlrev_b64 v[2:3], 3, v[2:3]
	v_add_co_u32 v2, vcc_lo, v6, v2
	s_delay_alu instid0(VALU_DEP_2) | instskip(SKIP_4) | instid1(VALU_DEP_2)
	v_add_co_ci_u32_e32 v3, vcc_lo, v7, v3, vcc_lo
	global_load_b64 v[2:3], v[2:3], off
	s_waitcnt vmcnt(0)
	v_fma_f32 v22, -v20, v2, v9
	v_fma_f32 v2, -v19, v2, v8
	v_fmac_f32_e32 v22, v19, v3
	s_delay_alu instid0(VALU_DEP_2)
	v_fma_f32 v21, -v20, v3, v2
.LBB110_50:                             ;   in Loop: Header=BB110_19 Depth=1
	s_or_b32 exec_lo, exec_lo, s0
	v_dual_mov_b32 v4, v18 :: v_dual_mov_b32 v5, v17
	s_mov_b32 s0, 0
	s_and_b32 vcc_lo, exec_lo, s1
	s_cbranch_vccz .LBB110_41
.LBB110_51:                             ;   in Loop: Header=BB110_19 Depth=1
	s_and_not1_b32 vcc_lo, exec_lo, s29
	s_cbranch_vccnz .LBB110_53
; %bb.52:                               ;   in Loop: Header=BB110_19 Depth=1
	v_mul_f32_e32 v2, v19, v19
	s_delay_alu instid0(VALU_DEP_1) | instskip(NEXT) | instid1(VALU_DEP_1)
	v_fmac_f32_e32 v2, v20, v20
	v_div_scale_f32 v3, null, v2, v2, 1.0
	v_div_scale_f32 v17, vcc_lo, 1.0, v2, 1.0
	s_delay_alu instid0(VALU_DEP_2) | instskip(SKIP_2) | instid1(VALU_DEP_1)
	v_rcp_f32_e32 v4, v3
	s_waitcnt_depctr 0xfff
	v_fma_f32 v5, -v3, v4, 1.0
	v_fmac_f32_e32 v4, v5, v4
	s_delay_alu instid0(VALU_DEP_1) | instskip(NEXT) | instid1(VALU_DEP_1)
	v_mul_f32_e32 v5, v17, v4
	v_fma_f32 v18, -v3, v5, v17
	s_delay_alu instid0(VALU_DEP_1) | instskip(NEXT) | instid1(VALU_DEP_1)
	v_fmac_f32_e32 v5, v18, v4
	v_fma_f32 v3, -v3, v5, v17
	s_delay_alu instid0(VALU_DEP_1) | instskip(SKIP_1) | instid1(VALU_DEP_2)
	v_div_fmas_f32 v3, v3, v4, v5
	v_fma_f32 v4, 0, v19, v20
	v_div_fixup_f32 v2, v3, v2, 1.0
	v_fma_f32 v3, v20, 0, -v19
	s_delay_alu instid0(VALU_DEP_2) | instskip(NEXT) | instid1(VALU_DEP_2)
	v_mul_f32_e32 v17, v4, v2
	v_mul_f32_e32 v18, v3, v2
.LBB110_53:                             ;   in Loop: Header=BB110_19 Depth=1
	s_delay_alu instid0(VALU_DEP_1) | instskip(SKIP_2) | instid1(SALU_CYCLE_1)
	v_dual_mov_b32 v5, v17 :: v_dual_mov_b32 v4, v18
	v_dual_mov_b32 v22, v9 :: v_dual_mov_b32 v21, v8
	s_mov_b32 s0, 2
	s_cmp_gt_i32 s0, 3
	s_mov_b32 s1, -1
	s_cbranch_scc0 .LBB110_42
.LBB110_54:                             ;   in Loop: Header=BB110_19 Depth=1
	s_branch .LBB110_17
.LBB110_55:                             ;   in Loop: Header=BB110_19 Depth=1
                                        ; implicit-def: $sgpr26_sgpr27
	s_branch .LBB110_18
.LBB110_56:                             ;   in Loop: Header=BB110_19 Depth=1
	s_mov_b32 s1, 0
	s_branch .LBB110_58
	.p2align	6
.LBB110_57:                             ;   in Loop: Header=BB110_58 Depth=2
	global_load_b32 v21, v[4:5], off glc
	s_cmpk_lt_u32 s1, 0xf43
	s_cselect_b32 s13, -1, 0
	s_delay_alu instid0(SALU_CYCLE_1)
	s_cmp_lg_u32 s13, 0
	s_addc_u32 s1, s1, 0
	s_waitcnt vmcnt(0)
	v_cmp_ne_u32_e32 vcc_lo, 0, v21
	s_cbranch_vccnz .LBB110_48
.LBB110_58:                             ;   Parent Loop BB110_19 Depth=1
                                        ; =>  This Loop Header: Depth=2
                                        ;       Child Loop BB110_59 Depth 3
	s_cmp_eq_u32 s1, 0
	s_mov_b32 s13, s1
	s_cbranch_scc1 .LBB110_57
.LBB110_59:                             ;   Parent Loop BB110_19 Depth=1
                                        ;     Parent Loop BB110_58 Depth=2
                                        ; =>    This Inner Loop Header: Depth=3
	s_add_i32 s13, s13, -1
	s_sleep 1
	s_cmp_eq_u32 s13, 0
	s_cbranch_scc0 .LBB110_59
	s_branch .LBB110_57
.LBB110_60:
	v_dual_mov_b32 v4, 0 :: v_dual_mov_b32 v5, 1.0
	s_and_saveexec_b32 s0, s2
	s_cbranch_execnz .LBB110_62
	s_branch .LBB110_63
.LBB110_61:
	v_dual_mov_b32 v8, v21 :: v_dual_mov_b32 v9, v22
	s_and_saveexec_b32 s0, s2
	s_cbranch_execz .LBB110_63
.LBB110_62:
	s_delay_alu instid0(VALU_DEP_1) | instskip(NEXT) | instid1(VALU_DEP_2)
	v_mul_f32_e32 v3, v4, v9
	v_mul_f32_e64 v10, v4, -v8
	s_lshl_b64 s[2:3], s[18:19], 3
	s_cmp_eq_u32 s6, 0
	v_add_co_u32 v1, vcc_lo, v6, s2
	v_fmac_f32_e32 v3, v8, v5
	v_fmac_f32_e32 v10, v9, v5
	v_add_co_ci_u32_e32 v2, vcc_lo, s3, v7, vcc_lo
	s_cselect_b32 vcc_lo, -1, 0
	s_delay_alu instid0(VALU_DEP_2)
	v_dual_cndmask_b32 v4, v8, v3 :: v_dual_cndmask_b32 v3, v9, v10
	global_store_b64 v[1:2], v[3:4], off
.LBB110_63:
	s_or_b32 exec_lo, exec_lo, s0
	s_waitcnt_vscnt null, 0x0
	buffer_gl1_inv
	buffer_gl0_inv
	s_barrier
	buffer_gl0_inv
	s_mov_b32 s0, exec_lo
	v_cmpx_eq_u32_e32 0, v0
	s_cbranch_execz .LBB110_65
; %bb.64:
	s_lshl_b64 s[0:1], s[16:17], 2
	v_dual_mov_b32 v0, 0 :: v_dual_mov_b32 v1, 1
	s_add_u32 s2, s10, s0
	s_addc_u32 s3, s11, s1
	s_lshl_b64 s[0:1], s[8:9], 2
	s_delay_alu instid0(SALU_CYCLE_1)
	s_add_u32 s0, s2, s0
	s_addc_u32 s1, s3, s1
	global_store_b32 v0, v1, s[0:1]
.LBB110_65:
	s_nop 0
	s_sendmsg sendmsg(MSG_DEALLOC_VGPRS)
	s_endpgm
.LBB110_66:
                                        ; implicit-def: $sgpr24_sgpr25
	s_load_b64 s[22:23], s[0:1], 0x38
	s_branch .LBB110_6
	.section	.rodata,"a",@progbits
	.p2align	6, 0x0
	.amdhsa_kernel _ZN9rocsparseL5csrsmILj512ELj64ELb1Ell21rocsparse_complex_numIfEEEv20rocsparse_operation_T3_S4_NS_24const_host_device_scalarIT4_EEPKT2_PKS4_PKS6_PS6_lPiSC_PS4_21rocsparse_index_base_20rocsparse_fill_mode_20rocsparse_diag_type_b
		.amdhsa_group_segment_fixed_size 8192
		.amdhsa_private_segment_fixed_size 0
		.amdhsa_kernarg_size 112
		.amdhsa_user_sgpr_count 15
		.amdhsa_user_sgpr_dispatch_ptr 0
		.amdhsa_user_sgpr_queue_ptr 0
		.amdhsa_user_sgpr_kernarg_segment_ptr 1
		.amdhsa_user_sgpr_dispatch_id 0
		.amdhsa_user_sgpr_private_segment_size 0
		.amdhsa_wavefront_size32 1
		.amdhsa_uses_dynamic_stack 0
		.amdhsa_enable_private_segment 0
		.amdhsa_system_sgpr_workgroup_id_x 1
		.amdhsa_system_sgpr_workgroup_id_y 0
		.amdhsa_system_sgpr_workgroup_id_z 0
		.amdhsa_system_sgpr_workgroup_info 0
		.amdhsa_system_vgpr_workitem_id 0
		.amdhsa_next_free_vgpr 25
		.amdhsa_next_free_sgpr 32
		.amdhsa_reserve_vcc 1
		.amdhsa_float_round_mode_32 0
		.amdhsa_float_round_mode_16_64 0
		.amdhsa_float_denorm_mode_32 3
		.amdhsa_float_denorm_mode_16_64 3
		.amdhsa_dx10_clamp 1
		.amdhsa_ieee_mode 1
		.amdhsa_fp16_overflow 0
		.amdhsa_workgroup_processor_mode 1
		.amdhsa_memory_ordered 1
		.amdhsa_forward_progress 0
		.amdhsa_shared_vgpr_count 0
		.amdhsa_exception_fp_ieee_invalid_op 0
		.amdhsa_exception_fp_denorm_src 0
		.amdhsa_exception_fp_ieee_div_zero 0
		.amdhsa_exception_fp_ieee_overflow 0
		.amdhsa_exception_fp_ieee_underflow 0
		.amdhsa_exception_fp_ieee_inexact 0
		.amdhsa_exception_int_div_zero 0
	.end_amdhsa_kernel
	.section	.text._ZN9rocsparseL5csrsmILj512ELj64ELb1Ell21rocsparse_complex_numIfEEEv20rocsparse_operation_T3_S4_NS_24const_host_device_scalarIT4_EEPKT2_PKS4_PKS6_PS6_lPiSC_PS4_21rocsparse_index_base_20rocsparse_fill_mode_20rocsparse_diag_type_b,"axG",@progbits,_ZN9rocsparseL5csrsmILj512ELj64ELb1Ell21rocsparse_complex_numIfEEEv20rocsparse_operation_T3_S4_NS_24const_host_device_scalarIT4_EEPKT2_PKS4_PKS6_PS6_lPiSC_PS4_21rocsparse_index_base_20rocsparse_fill_mode_20rocsparse_diag_type_b,comdat
.Lfunc_end110:
	.size	_ZN9rocsparseL5csrsmILj512ELj64ELb1Ell21rocsparse_complex_numIfEEEv20rocsparse_operation_T3_S4_NS_24const_host_device_scalarIT4_EEPKT2_PKS4_PKS6_PS6_lPiSC_PS4_21rocsparse_index_base_20rocsparse_fill_mode_20rocsparse_diag_type_b, .Lfunc_end110-_ZN9rocsparseL5csrsmILj512ELj64ELb1Ell21rocsparse_complex_numIfEEEv20rocsparse_operation_T3_S4_NS_24const_host_device_scalarIT4_EEPKT2_PKS4_PKS6_PS6_lPiSC_PS4_21rocsparse_index_base_20rocsparse_fill_mode_20rocsparse_diag_type_b
                                        ; -- End function
	.section	.AMDGPU.csdata,"",@progbits
; Kernel info:
; codeLenInByte = 2852
; NumSgprs: 34
; NumVgprs: 25
; ScratchSize: 0
; MemoryBound: 0
; FloatMode: 240
; IeeeMode: 1
; LDSByteSize: 8192 bytes/workgroup (compile time only)
; SGPRBlocks: 4
; VGPRBlocks: 3
; NumSGPRsForWavesPerEU: 34
; NumVGPRsForWavesPerEU: 25
; Occupancy: 16
; WaveLimiterHint : 1
; COMPUTE_PGM_RSRC2:SCRATCH_EN: 0
; COMPUTE_PGM_RSRC2:USER_SGPR: 15
; COMPUTE_PGM_RSRC2:TRAP_HANDLER: 0
; COMPUTE_PGM_RSRC2:TGID_X_EN: 1
; COMPUTE_PGM_RSRC2:TGID_Y_EN: 0
; COMPUTE_PGM_RSRC2:TGID_Z_EN: 0
; COMPUTE_PGM_RSRC2:TIDIG_COMP_CNT: 0
	.section	.text._ZN9rocsparseL5csrsmILj512ELj64ELb0Ell21rocsparse_complex_numIfEEEv20rocsparse_operation_T3_S4_NS_24const_host_device_scalarIT4_EEPKT2_PKS4_PKS6_PS6_lPiSC_PS4_21rocsparse_index_base_20rocsparse_fill_mode_20rocsparse_diag_type_b,"axG",@progbits,_ZN9rocsparseL5csrsmILj512ELj64ELb0Ell21rocsparse_complex_numIfEEEv20rocsparse_operation_T3_S4_NS_24const_host_device_scalarIT4_EEPKT2_PKS4_PKS6_PS6_lPiSC_PS4_21rocsparse_index_base_20rocsparse_fill_mode_20rocsparse_diag_type_b,comdat
	.globl	_ZN9rocsparseL5csrsmILj512ELj64ELb0Ell21rocsparse_complex_numIfEEEv20rocsparse_operation_T3_S4_NS_24const_host_device_scalarIT4_EEPKT2_PKS4_PKS6_PS6_lPiSC_PS4_21rocsparse_index_base_20rocsparse_fill_mode_20rocsparse_diag_type_b ; -- Begin function _ZN9rocsparseL5csrsmILj512ELj64ELb0Ell21rocsparse_complex_numIfEEEv20rocsparse_operation_T3_S4_NS_24const_host_device_scalarIT4_EEPKT2_PKS4_PKS6_PS6_lPiSC_PS4_21rocsparse_index_base_20rocsparse_fill_mode_20rocsparse_diag_type_b
	.p2align	8
	.type	_ZN9rocsparseL5csrsmILj512ELj64ELb0Ell21rocsparse_complex_numIfEEEv20rocsparse_operation_T3_S4_NS_24const_host_device_scalarIT4_EEPKT2_PKS4_PKS6_PS6_lPiSC_PS4_21rocsparse_index_base_20rocsparse_fill_mode_20rocsparse_diag_type_b,@function
_ZN9rocsparseL5csrsmILj512ELj64ELb0Ell21rocsparse_complex_numIfEEEv20rocsparse_operation_T3_S4_NS_24const_host_device_scalarIT4_EEPKT2_PKS4_PKS6_PS6_lPiSC_PS4_21rocsparse_index_base_20rocsparse_fill_mode_20rocsparse_diag_type_b: ; @_ZN9rocsparseL5csrsmILj512ELj64ELb0Ell21rocsparse_complex_numIfEEEv20rocsparse_operation_T3_S4_NS_24const_host_device_scalarIT4_EEPKT2_PKS4_PKS6_PS6_lPiSC_PS4_21rocsparse_index_base_20rocsparse_fill_mode_20rocsparse_diag_type_b
; %bb.0:
	s_clause 0x2
	s_load_b128 s[4:7], s[0:1], 0x60
	s_load_b64 s[2:3], s[0:1], 0x18
	s_load_b128 s[8:11], s[0:1], 0x8
	s_waitcnt lgkmcnt(0)
	s_bitcmp1_b32 s7, 0
	s_cselect_b32 s7, -1, 0
	s_delay_alu instid0(SALU_CYCLE_1)
	s_xor_b32 s12, s7, -1
	s_and_b32 vcc_lo, exec_lo, s7
	s_mov_b32 s7, s2
	s_cbranch_vccnz .LBB111_2
; %bb.1:
	s_load_b32 s7, s[2:3], 0x0
.LBB111_2:
	s_and_not1_b32 vcc_lo, exec_lo, s12
	s_cbranch_vccnz .LBB111_4
; %bb.3:
	s_load_b32 s3, s[2:3], 0x4
.LBB111_4:
	s_clause 0x1
	s_load_b64 s[16:17], s[0:1], 0x50
	s_load_b64 s[12:13], s[0:1], 0x20
	s_mov_b32 s18, 0
	s_mov_b32 s19, s9
	s_delay_alu instid0(SALU_CYCLE_1)
	s_cmp_lg_u64 s[18:19], 0
	s_cbranch_scc0 .LBB111_63
; %bb.5:
	s_ashr_i32 s20, s9, 31
	s_delay_alu instid0(SALU_CYCLE_1) | instskip(SKIP_2) | instid1(SALU_CYCLE_1)
	s_add_u32 s22, s8, s20
	s_mov_b32 s21, s20
	s_addc_u32 s23, s9, s20
	s_xor_b64 s[22:23], s[22:23], s[20:21]
	s_delay_alu instid0(SALU_CYCLE_1) | instskip(SKIP_3) | instid1(VALU_DEP_1)
	v_cvt_f32_u32_e32 v1, s22
	v_cvt_f32_u32_e32 v2, s23
	s_sub_u32 s19, 0, s22
	s_subb_u32 s24, 0, s23
	v_fmamk_f32 v1, v2, 0x4f800000, v1
	s_delay_alu instid0(VALU_DEP_1) | instskip(SKIP_2) | instid1(VALU_DEP_1)
	v_rcp_f32_e32 v1, v1
	s_waitcnt_depctr 0xfff
	v_mul_f32_e32 v1, 0x5f7ffffc, v1
	v_mul_f32_e32 v2, 0x2f800000, v1
	s_delay_alu instid0(VALU_DEP_1) | instskip(NEXT) | instid1(VALU_DEP_1)
	v_trunc_f32_e32 v2, v2
	v_fmamk_f32 v1, v2, 0xcf800000, v1
	v_cvt_u32_f32_e32 v2, v2
	s_delay_alu instid0(VALU_DEP_2) | instskip(NEXT) | instid1(VALU_DEP_2)
	v_cvt_u32_f32_e32 v1, v1
	v_readfirstlane_b32 s2, v2
	s_delay_alu instid0(VALU_DEP_2) | instskip(NEXT) | instid1(VALU_DEP_2)
	v_readfirstlane_b32 s14, v1
	s_mul_i32 s25, s19, s2
	s_delay_alu instid0(VALU_DEP_1)
	s_mul_hi_u32 s27, s19, s14
	s_mul_i32 s26, s24, s14
	s_add_i32 s25, s27, s25
	s_mul_i32 s28, s19, s14
	s_add_i32 s25, s25, s26
	s_mul_hi_u32 s27, s14, s28
	s_mul_hi_u32 s29, s2, s28
	s_mul_i32 s26, s2, s28
	s_mul_hi_u32 s28, s14, s25
	s_mul_i32 s14, s14, s25
	s_mul_hi_u32 s30, s2, s25
	s_add_u32 s14, s27, s14
	s_addc_u32 s27, 0, s28
	s_add_u32 s14, s14, s26
	s_mul_i32 s25, s2, s25
	s_addc_u32 s14, s27, s29
	s_addc_u32 s26, s30, 0
	s_add_u32 s14, s14, s25
	s_addc_u32 s25, 0, s26
	v_add_co_u32 v1, s14, v1, s14
	s_delay_alu instid0(VALU_DEP_1) | instskip(SKIP_1) | instid1(VALU_DEP_1)
	s_cmp_lg_u32 s14, 0
	s_addc_u32 s2, s2, s25
	v_readfirstlane_b32 s14, v1
	s_mul_i32 s25, s19, s2
	s_delay_alu instid0(VALU_DEP_1)
	s_mul_hi_u32 s26, s19, s14
	s_mul_i32 s24, s24, s14
	s_add_i32 s25, s26, s25
	s_mul_i32 s19, s19, s14
	s_add_i32 s25, s25, s24
	s_mul_hi_u32 s26, s2, s19
	s_mul_i32 s27, s2, s19
	s_mul_hi_u32 s19, s14, s19
	s_mul_hi_u32 s28, s14, s25
	s_mul_i32 s14, s14, s25
	s_mul_hi_u32 s24, s2, s25
	s_add_u32 s14, s19, s14
	s_addc_u32 s19, 0, s28
	s_add_u32 s14, s14, s27
	s_mul_i32 s25, s2, s25
	s_addc_u32 s14, s19, s26
	s_addc_u32 s19, s24, 0
	s_add_u32 s14, s14, s25
	s_addc_u32 s19, 0, s19
	v_add_co_u32 v1, s14, v1, s14
	s_delay_alu instid0(VALU_DEP_1) | instskip(SKIP_1) | instid1(VALU_DEP_1)
	s_cmp_lg_u32 s14, 0
	s_addc_u32 s2, s2, s19
	v_readfirstlane_b32 s14, v1
	s_mul_i32 s19, s15, s2
	s_mul_hi_u32 s2, s15, s2
	s_delay_alu instid0(VALU_DEP_1) | instskip(NEXT) | instid1(SALU_CYCLE_1)
	s_mul_hi_u32 s14, s15, s14
	s_add_u32 s14, s14, s19
	s_addc_u32 s2, 0, s2
	s_add_u32 s14, s14, 0
	s_addc_u32 s2, s2, 0
	s_addc_u32 s14, 0, 0
	s_add_u32 s2, s2, 0
	s_addc_u32 s14, 0, s14
	s_mul_hi_u32 s19, s22, s2
	s_mul_i32 s25, s22, s14
	s_mul_i32 s26, s22, s2
	s_add_i32 s19, s19, s25
	v_sub_co_u32 v1, s25, s15, s26
	s_mul_i32 s24, s23, s2
	s_delay_alu instid0(SALU_CYCLE_1) | instskip(NEXT) | instid1(VALU_DEP_1)
	s_add_i32 s19, s19, s24
	v_sub_co_u32 v2, s26, v1, s22
	s_sub_i32 s24, 0, s19
	s_cmp_lg_u32 s25, 0
	s_subb_u32 s24, s24, s23
	s_cmp_lg_u32 s26, 0
	v_readfirstlane_b32 s26, v2
	s_subb_u32 s24, s24, 0
	s_delay_alu instid0(SALU_CYCLE_1) | instskip(SKIP_1) | instid1(VALU_DEP_1)
	s_cmp_ge_u32 s24, s23
	s_cselect_b32 s27, -1, 0
	s_cmp_ge_u32 s26, s22
	s_cselect_b32 s26, -1, 0
	s_cmp_eq_u32 s24, s23
	s_cselect_b32 s24, s26, s27
	s_add_u32 s26, s2, 1
	s_addc_u32 s27, s14, 0
	s_add_u32 s28, s2, 2
	s_addc_u32 s29, s14, 0
	s_cmp_lg_u32 s24, 0
	s_cselect_b32 s24, s28, s26
	s_cselect_b32 s26, s29, s27
	s_cmp_lg_u32 s25, 0
	v_readfirstlane_b32 s25, v1
	s_subb_u32 s19, 0, s19
	s_delay_alu instid0(SALU_CYCLE_1) | instskip(SKIP_1) | instid1(VALU_DEP_1)
	s_cmp_ge_u32 s19, s23
	s_cselect_b32 s27, -1, 0
	s_cmp_ge_u32 s25, s22
	s_cselect_b32 s22, -1, 0
	s_cmp_eq_u32 s19, s23
	s_cselect_b32 s19, s22, s27
	s_delay_alu instid0(SALU_CYCLE_1) | instskip(SKIP_2) | instid1(SALU_CYCLE_1)
	s_cmp_lg_u32 s19, 0
	s_cselect_b32 s23, s26, s14
	s_cselect_b32 s22, s24, s2
	s_xor_b64 s[22:23], s[22:23], s[20:21]
	s_delay_alu instid0(SALU_CYCLE_1)
	s_sub_u32 s24, s22, s20
	s_subb_u32 s25, s23, s20
	s_load_b64 s[22:23], s[0:1], 0x38
	s_and_not1_b32 vcc_lo, exec_lo, s18
	s_cbranch_vccnz .LBB111_7
.LBB111_6:
	v_cvt_f32_u32_e32 v1, s8
	s_sub_i32 s14, 0, s8
	s_mov_b32 s25, 0
	s_delay_alu instid0(VALU_DEP_1) | instskip(SKIP_2) | instid1(VALU_DEP_1)
	v_rcp_iflag_f32_e32 v1, v1
	s_waitcnt_depctr 0xfff
	v_mul_f32_e32 v1, 0x4f7ffffe, v1
	v_cvt_u32_f32_e32 v1, v1
	s_delay_alu instid0(VALU_DEP_1) | instskip(NEXT) | instid1(VALU_DEP_1)
	v_readfirstlane_b32 s2, v1
	s_mul_i32 s14, s14, s2
	s_delay_alu instid0(SALU_CYCLE_1) | instskip(NEXT) | instid1(SALU_CYCLE_1)
	s_mul_hi_u32 s14, s2, s14
	s_add_i32 s2, s2, s14
	s_delay_alu instid0(SALU_CYCLE_1) | instskip(NEXT) | instid1(SALU_CYCLE_1)
	s_mul_hi_u32 s2, s15, s2
	s_mul_i32 s14, s2, s8
	s_add_i32 s18, s2, 1
	s_sub_i32 s14, s15, s14
	s_delay_alu instid0(SALU_CYCLE_1)
	s_sub_i32 s19, s14, s8
	s_cmp_ge_u32 s14, s8
	s_cselect_b32 s2, s18, s2
	s_cselect_b32 s14, s19, s14
	s_add_i32 s18, s2, 1
	s_cmp_ge_u32 s14, s8
	s_cselect_b32 s24, s18, s2
.LBB111_7:
	s_delay_alu instid0(SALU_CYCLE_1)
	s_mul_i32 s2, s24, s9
	s_mul_hi_u32 s9, s24, s8
	s_load_b32 s26, s[0:1], 0x0
	s_add_i32 s2, s9, s2
	s_mul_i32 s9, s25, s8
	s_mul_i32 s8, s24, s8
	s_add_i32 s9, s2, s9
	s_sub_u32 s14, s15, s8
	s_subb_u32 s15, 0, s9
	v_mov_b32_e32 v1, 0
	s_lshl_b64 s[14:15], s[14:15], 3
	s_waitcnt lgkmcnt(0)
	s_add_u32 s14, s16, s14
	s_addc_u32 s15, s17, s15
	s_load_b64 s[16:17], s[14:15], 0x0
	s_load_b64 s[20:21], s[0:1], 0x40
	s_waitcnt lgkmcnt(0)
	s_lshl_b64 s[14:15], s[16:17], 3
	s_mul_i32 s2, s16, s21
	s_add_u32 s12, s12, s14
	s_addc_u32 s13, s13, s15
	s_lshl_b64 s[24:25], s[24:25], 9
	s_load_b128 s[12:15], s[12:13], 0x0
	s_mul_hi_u32 s18, s16, s20
	v_or_b32_e32 v2, s24, v0
	v_mov_b32_e32 v3, s25
	s_add_i32 s2, s18, s2
	s_mul_i32 s18, s17, s20
	v_mov_b32_e32 v5, s25
	s_add_i32 s19, s2, s18
	s_mul_i32 s18, s16, s20
	v_cmp_gt_i64_e64 s2, s[10:11], v[2:3]
	v_add_co_u32 v4, vcc_lo, v2, s18
	v_add_co_ci_u32_e32 v5, vcc_lo, s19, v5, vcc_lo
	s_cmpk_lg_i32 s26, 0x71
	s_cbranch_scc0 .LBB111_11
; %bb.8:
	v_mov_b32_e32 v8, v1
	v_mov_b32_e32 v9, v1
	s_mov_b32 s24, 0
	s_and_saveexec_b32 s10, s2
	s_cbranch_execz .LBB111_10
; %bb.9:
	v_lshlrev_b64 v[6:7], 3, v[4:5]
	s_delay_alu instid0(VALU_DEP_1) | instskip(NEXT) | instid1(VALU_DEP_2)
	v_add_co_u32 v6, vcc_lo, s22, v6
	v_add_co_ci_u32_e32 v7, vcc_lo, s23, v7, vcc_lo
	global_load_b64 v[6:7], v[6:7], off
	s_waitcnt vmcnt(0)
	v_mul_f32_e64 v9, v7, -s3
	s_delay_alu instid0(VALU_DEP_1) | instskip(NEXT) | instid1(VALU_DEP_1)
	v_dual_mul_f32 v8, s7, v7 :: v_dual_fmac_f32 v9, s7, v6
	v_fmac_f32_e32 v8, s3, v6
.LBB111_10:
	s_or_b32 exec_lo, exec_lo, s10
	s_load_b64 s[10:11], s[0:1], 0x48
	s_and_not1_b32 vcc_lo, exec_lo, s24
	s_cbranch_vccz .LBB111_12
	s_branch .LBB111_15
.LBB111_11:
                                        ; implicit-def: $vgpr8
                                        ; implicit-def: $vgpr9
	s_load_b64 s[10:11], s[0:1], 0x48
.LBB111_12:
	v_dual_mov_b32 v8, 0 :: v_dual_mov_b32 v9, 0
	s_and_saveexec_b32 s24, s2
	s_cbranch_execz .LBB111_14
; %bb.13:
	v_lshlrev_b64 v[4:5], 3, v[4:5]
	s_delay_alu instid0(VALU_DEP_1) | instskip(NEXT) | instid1(VALU_DEP_2)
	v_add_co_u32 v4, vcc_lo, s22, v4
	v_add_co_ci_u32_e32 v5, vcc_lo, s23, v5, vcc_lo
	global_load_b64 v[4:5], v[4:5], off
	s_waitcnt vmcnt(0)
	v_mul_f32_e64 v8, s7, -v5
	s_delay_alu instid0(VALU_DEP_1) | instskip(NEXT) | instid1(VALU_DEP_1)
	v_dual_mul_f32 v9, s3, v5 :: v_dual_fmac_f32 v8, s3, v4
	v_fmac_f32_e32 v9, s7, v4
.LBB111_14:
	s_or_b32 exec_lo, exec_lo, s24
.LBB111_15:
	v_lshlrev_b64 v[2:3], 3, v[2:3]
	s_waitcnt lgkmcnt(0)
	v_cmp_ge_i64_e64 s3, s[12:13], s[14:15]
	s_delay_alu instid0(VALU_DEP_2) | instskip(NEXT) | instid1(VALU_DEP_3)
	v_add_co_u32 v6, vcc_lo, s22, v2
	v_add_co_ci_u32_e32 v7, vcc_lo, s23, v3, vcc_lo
	s_delay_alu instid0(VALU_DEP_3)
	s_and_b32 vcc_lo, exec_lo, s3
	v_cmp_eq_u32_e64 s3, 0, v0
	s_cbranch_vccnz .LBB111_57
; %bb.16:
	s_clause 0x1
	s_load_b128 s[24:27], s[0:1], 0x28
	s_load_b64 s[22:23], s[0:1], 0x58
	v_dual_mov_b32 v11, 0 :: v_dual_lshlrev_b32 v10, 3, v0
	s_lshl_b64 s[0:1], s[8:9], 2
	v_dual_mov_b32 v17, 1.0 :: v_dual_mov_b32 v18, 0
	s_add_u32 s7, s10, s0
	s_addc_u32 s28, s11, s1
	s_sub_u32 s12, s12, s4
	s_subb_u32 s13, s13, 0
	s_sub_u32 s14, s14, s4
	s_subb_u32 s15, s15, 0
	v_or_b32_e32 v12, 0x1000, v10
	s_cmp_eq_u32 s6, 0
	s_cselect_b32 s29, -1, 0
	s_waitcnt lgkmcnt(0)
	v_add_co_u32 v13, s0, s24, v10
	s_delay_alu instid0(VALU_DEP_1) | instskip(SKIP_1) | instid1(VALU_DEP_1)
	v_add_co_ci_u32_e64 v14, null, s25, 0, s0
	v_add_co_u32 v15, s0, s26, v10
	v_add_co_ci_u32_e64 v16, null, s27, 0, s0
	s_add_u32 s24, s16, s4
	s_addc_u32 s25, s17, 0
	s_mov_b64 s[26:27], s[12:13]
	s_branch .LBB111_19
.LBB111_17:                             ;   in Loop: Header=BB111_19 Depth=1
	s_add_u32 s26, s26, 1
	s_addc_u32 s27, s27, 0
	s_delay_alu instid0(SALU_CYCLE_1)
	v_cmp_ge_i64_e64 s1, s[26:27], s[14:15]
.LBB111_18:                             ;   in Loop: Header=BB111_19 Depth=1
	v_dual_mov_b32 v8, v21 :: v_dual_mov_b32 v9, v22
	v_dual_mov_b32 v18, v4 :: v_dual_mov_b32 v17, v5
	s_delay_alu instid0(VALU_DEP_3)
	s_and_not1_b32 vcc_lo, exec_lo, s1
	s_cbranch_vccz .LBB111_58
.LBB111_19:                             ; =>This Loop Header: Depth=1
                                        ;     Child Loop BB111_48 Depth 2
	s_sub_i32 s0, s26, s12
	s_delay_alu instid0(SALU_CYCLE_1) | instskip(NEXT) | instid1(SALU_CYCLE_1)
	s_and_b32 s0, s0, 0x1ff
	s_cmp_lg_u32 s0, 0
	s_cbranch_scc1 .LBB111_23
; %bb.20:                               ;   in Loop: Header=BB111_19 Depth=1
	v_dual_mov_b32 v4, -1 :: v_dual_mov_b32 v3, 0
	v_dual_mov_b32 v5, -1 :: v_dual_mov_b32 v2, -1.0
	s_sub_u32 s30, s14, s26
	s_subb_u32 s31, s15, s27
	s_mov_b32 s1, exec_lo
	v_cmpx_gt_i64_e64 s[30:31], v[0:1]
	s_cbranch_execz .LBB111_22
; %bb.21:                               ;   in Loop: Header=BB111_19 Depth=1
	s_lshl_b64 s[30:31], s[26:27], 3
	s_delay_alu instid0(SALU_CYCLE_1)
	v_add_co_u32 v2, vcc_lo, v13, s30
	v_add_co_ci_u32_e32 v3, vcc_lo, s31, v14, vcc_lo
	global_load_b64 v[4:5], v[2:3], off
	v_add_co_u32 v2, vcc_lo, v15, s30
	v_add_co_ci_u32_e32 v3, vcc_lo, s31, v16, vcc_lo
	global_load_b64 v[2:3], v[2:3], off
	s_waitcnt vmcnt(1)
	v_sub_co_u32 v4, vcc_lo, v4, s4
	v_subrev_co_ci_u32_e32 v5, vcc_lo, 0, v5, vcc_lo
.LBB111_22:                             ;   in Loop: Header=BB111_19 Depth=1
	s_or_b32 exec_lo, exec_lo, s1
	ds_store_b64 v10, v[4:5]
	s_waitcnt vmcnt(0)
	ds_store_b64 v12, v[2:3]
.LBB111_23:                             ;   in Loop: Header=BB111_19 Depth=1
	s_lshl_b32 s0, s0, 3
	s_waitcnt lgkmcnt(0)
	v_mov_b32_e32 v2, s0
	s_waitcnt_vscnt null, 0x0
	s_barrier
	buffer_gl0_inv
	ds_load_2addr_stride64_b64 v[2:5], v2 offset1:8
	s_waitcnt lgkmcnt(0)
	v_cmp_eq_f32_e32 vcc_lo, 0, v4
	v_cmp_eq_f32_e64 s1, 0, v5
	v_cmp_eq_u64_e64 s0, s[16:17], v[2:3]
	v_cmp_ne_u64_e64 s13, s[16:17], v[2:3]
	s_delay_alu instid0(VALU_DEP_3)
	s_and_b32 s1, vcc_lo, s1
	s_delay_alu instid0(VALU_DEP_2) | instid1(SALU_CYCLE_1)
	s_and_b32 s1, s1, s0
	s_delay_alu instid0(SALU_CYCLE_1) | instskip(NEXT) | instid1(SALU_CYCLE_1)
	s_and_b32 s1, s29, s1
	v_cndmask_b32_e64 v19, v5, 0, s1
	v_cndmask_b32_e64 v20, v4, 1.0, s1
	s_and_b32 s30, s3, s1
	s_delay_alu instid0(SALU_CYCLE_1)
	s_and_saveexec_b32 s1, s30
	s_cbranch_execz .LBB111_27
; %bb.24:                               ;   in Loop: Header=BB111_19 Depth=1
	v_mbcnt_lo_u32_b32 v4, exec_lo, 0
	s_mov_b32 s30, exec_lo
	s_delay_alu instid0(VALU_DEP_1)
	v_cmpx_eq_u32_e32 0, v4
	s_cbranch_execz .LBB111_26
; %bb.25:                               ;   in Loop: Header=BB111_19 Depth=1
	v_dual_mov_b32 v4, s24 :: v_dual_mov_b32 v5, s25
	global_atomic_min_u64 v11, v[4:5], s[22:23]
.LBB111_26:                             ;   in Loop: Header=BB111_19 Depth=1
	s_or_b32 exec_lo, exec_lo, s30
	v_dual_mov_b32 v19, 0 :: v_dual_mov_b32 v20, 1.0
.LBB111_27:                             ;   in Loop: Header=BB111_19 Depth=1
	s_or_b32 exec_lo, exec_lo, s1
	s_cmp_lt_i32 s5, 1
	s_mov_b32 s1, 0
	s_cbranch_scc1 .LBB111_33
; %bb.28:                               ;   in Loop: Header=BB111_19 Depth=1
	s_cmp_eq_u32 s5, 1
	s_cbranch_scc0 .LBB111_34
; %bb.29:                               ;   in Loop: Header=BB111_19 Depth=1
	v_cmp_le_i64_e32 vcc_lo, s[16:17], v[2:3]
	v_dual_mov_b32 v4, v18 :: v_dual_mov_b32 v5, v17
	s_mov_b32 s30, 0
	s_cbranch_vccz .LBB111_36
; %bb.30:                               ;   in Loop: Header=BB111_19 Depth=1
	s_and_b32 vcc_lo, exec_lo, s0
	s_cbranch_vccz .LBB111_35
; %bb.31:                               ;   in Loop: Header=BB111_19 Depth=1
	v_dual_mov_b32 v4, v18 :: v_dual_mov_b32 v5, v17
	s_and_not1_b32 vcc_lo, exec_lo, s29
	s_cbranch_vccnz .LBB111_36
; %bb.32:                               ;   in Loop: Header=BB111_19 Depth=1
	v_mul_f32_e32 v4, v19, v19
	s_delay_alu instid0(VALU_DEP_1) | instskip(NEXT) | instid1(VALU_DEP_1)
	v_fmac_f32_e32 v4, v20, v20
	v_div_scale_f32 v5, null, v4, v4, 1.0
	v_div_scale_f32 v23, vcc_lo, 1.0, v4, 1.0
	s_delay_alu instid0(VALU_DEP_2) | instskip(SKIP_2) | instid1(VALU_DEP_1)
	v_rcp_f32_e32 v21, v5
	s_waitcnt_depctr 0xfff
	v_fma_f32 v22, -v5, v21, 1.0
	v_fmac_f32_e32 v21, v22, v21
	s_delay_alu instid0(VALU_DEP_1) | instskip(NEXT) | instid1(VALU_DEP_1)
	v_mul_f32_e32 v22, v23, v21
	v_fma_f32 v24, -v5, v22, v23
	s_delay_alu instid0(VALU_DEP_1) | instskip(NEXT) | instid1(VALU_DEP_1)
	v_fmac_f32_e32 v22, v24, v21
	v_fma_f32 v5, -v5, v22, v23
	s_delay_alu instid0(VALU_DEP_1) | instskip(SKIP_2) | instid1(VALU_DEP_3)
	v_div_fmas_f32 v5, v5, v21, v22
	v_fma_f32 v21, 0, v19, v20
	v_fma_f32 v22, v20, 0, -v19
	v_div_fixup_f32 v4, v5, v4, 1.0
	s_delay_alu instid0(VALU_DEP_1) | instskip(NEXT) | instid1(VALU_DEP_3)
	v_mul_f32_e32 v5, v21, v4
	v_mul_f32_e32 v4, v22, v4
	s_branch .LBB111_36
.LBB111_33:                             ;   in Loop: Header=BB111_19 Depth=1
	s_mov_b32 s30, 0
                                        ; implicit-def: $sgpr0
                                        ; implicit-def: $vgpr21
                                        ; implicit-def: $vgpr22
                                        ; implicit-def: $vgpr4
                                        ; implicit-def: $vgpr5
	s_cbranch_execnz .LBB111_37
	s_branch .LBB111_39
.LBB111_34:                             ;   in Loop: Header=BB111_19 Depth=1
	s_mov_b32 s30, -1
                                        ; implicit-def: $sgpr0
                                        ; implicit-def: $vgpr21
                                        ; implicit-def: $vgpr22
                                        ; implicit-def: $vgpr4
                                        ; implicit-def: $vgpr5
	s_branch .LBB111_39
.LBB111_35:                             ;   in Loop: Header=BB111_19 Depth=1
	s_mov_b32 s30, -1
                                        ; implicit-def: $vgpr4
                                        ; implicit-def: $vgpr5
.LBB111_36:                             ;   in Loop: Header=BB111_19 Depth=1
	v_dual_mov_b32 v21, v8 :: v_dual_mov_b32 v22, v9
	s_mov_b32 s0, 4
	s_branch .LBB111_39
.LBB111_37:                             ;   in Loop: Header=BB111_19 Depth=1
	s_cmp_eq_u32 s5, 0
	s_cbranch_scc1 .LBB111_43
; %bb.38:                               ;   in Loop: Header=BB111_19 Depth=1
	s_mov_b32 s30, -1
                                        ; implicit-def: $sgpr0
                                        ; implicit-def: $vgpr21
                                        ; implicit-def: $vgpr22
                                        ; implicit-def: $vgpr4
                                        ; implicit-def: $vgpr5
.LBB111_39:                             ;   in Loop: Header=BB111_19 Depth=1
	s_delay_alu instid0(SALU_CYCLE_1)
	s_and_b32 vcc_lo, exec_lo, s30
	s_cbranch_vccnz .LBB111_46
.LBB111_40:                             ;   in Loop: Header=BB111_19 Depth=1
	s_and_b32 vcc_lo, exec_lo, s1
	s_cbranch_vccnz .LBB111_52
.LBB111_41:                             ;   in Loop: Header=BB111_19 Depth=1
	s_cmp_gt_i32 s0, 3
	s_mov_b32 s1, -1
	s_cbranch_scc1 .LBB111_55
.LBB111_42:                             ;   in Loop: Header=BB111_19 Depth=1
	s_cmp_eq_u32 s0, 0
	s_cselect_b32 s0, -1, 0
	s_delay_alu instid0(SALU_CYCLE_1)
	s_and_not1_b32 vcc_lo, exec_lo, s0
	s_cbranch_vccz .LBB111_17
	s_branch .LBB111_56
.LBB111_43:                             ;   in Loop: Header=BB111_19 Depth=1
	v_cmp_ge_i64_e32 vcc_lo, s[16:17], v[2:3]
	s_mov_b32 s30, 0
	s_cbranch_vccz .LBB111_45
; %bb.44:                               ;   in Loop: Header=BB111_19 Depth=1
	s_mov_b32 s1, -1
	s_mov_b32 s30, s13
.LBB111_45:                             ;   in Loop: Header=BB111_19 Depth=1
	v_dual_mov_b32 v21, v8 :: v_dual_mov_b32 v22, v9
	v_dual_mov_b32 v4, v18 :: v_dual_mov_b32 v5, v17
	s_mov_b32 s0, 2
	s_and_b32 vcc_lo, exec_lo, s30
	s_cbranch_vccz .LBB111_40
.LBB111_46:                             ;   in Loop: Header=BB111_19 Depth=1
	s_and_saveexec_b32 s0, s3
	s_cbranch_execz .LBB111_49
; %bb.47:                               ;   in Loop: Header=BB111_19 Depth=1
	v_lshlrev_b64 v[4:5], 2, v[2:3]
	s_delay_alu instid0(VALU_DEP_1) | instskip(NEXT) | instid1(VALU_DEP_2)
	v_add_co_u32 v4, vcc_lo, s7, v4
	v_add_co_ci_u32_e32 v5, vcc_lo, s28, v5, vcc_lo
	global_load_b32 v21, v[4:5], off glc
	s_waitcnt vmcnt(0)
	v_cmp_ne_u32_e32 vcc_lo, 0, v21
	s_cbranch_vccnz .LBB111_49
.LBB111_48:                             ;   Parent Loop BB111_19 Depth=1
                                        ; =>  This Inner Loop Header: Depth=2
	global_load_b32 v21, v[4:5], off glc
	s_waitcnt vmcnt(0)
	v_cmp_eq_u32_e32 vcc_lo, 0, v21
	s_cbranch_vccnz .LBB111_48
.LBB111_49:                             ;   in Loop: Header=BB111_19 Depth=1
	s_or_b32 exec_lo, exec_lo, s0
	v_dual_mov_b32 v21, 0 :: v_dual_mov_b32 v22, 0
	s_mov_b32 s1, 0
	s_waitcnt_vscnt null, 0x0
	s_barrier
	buffer_gl0_inv
	buffer_gl1_inv
	buffer_gl0_inv
	s_and_saveexec_b32 s0, s2
	s_cbranch_execz .LBB111_51
; %bb.50:                               ;   in Loop: Header=BB111_19 Depth=1
	v_mul_lo_u32 v4, v2, s21
	v_mul_hi_u32 v5, v2, s20
	v_mul_lo_u32 v3, v3, s20
	v_mul_lo_u32 v2, v2, s20
	s_delay_alu instid0(VALU_DEP_3) | instskip(NEXT) | instid1(VALU_DEP_1)
	v_add_nc_u32_e32 v4, v5, v4
	v_add_nc_u32_e32 v3, v4, v3
	s_delay_alu instid0(VALU_DEP_1) | instskip(NEXT) | instid1(VALU_DEP_1)
	v_lshlrev_b64 v[2:3], 3, v[2:3]
	v_add_co_u32 v2, vcc_lo, v6, v2
	s_delay_alu instid0(VALU_DEP_2) | instskip(SKIP_4) | instid1(VALU_DEP_2)
	v_add_co_ci_u32_e32 v3, vcc_lo, v7, v3, vcc_lo
	global_load_b64 v[2:3], v[2:3], off
	s_waitcnt vmcnt(0)
	v_fma_f32 v22, -v20, v2, v9
	v_fma_f32 v2, -v19, v2, v8
	v_fmac_f32_e32 v22, v19, v3
	s_delay_alu instid0(VALU_DEP_2)
	v_fma_f32 v21, -v20, v3, v2
.LBB111_51:                             ;   in Loop: Header=BB111_19 Depth=1
	s_or_b32 exec_lo, exec_lo, s0
	v_dual_mov_b32 v4, v18 :: v_dual_mov_b32 v5, v17
	s_mov_b32 s0, 0
	s_and_b32 vcc_lo, exec_lo, s1
	s_cbranch_vccz .LBB111_41
.LBB111_52:                             ;   in Loop: Header=BB111_19 Depth=1
	s_and_not1_b32 vcc_lo, exec_lo, s29
	s_cbranch_vccnz .LBB111_54
; %bb.53:                               ;   in Loop: Header=BB111_19 Depth=1
	v_mul_f32_e32 v2, v19, v19
	s_delay_alu instid0(VALU_DEP_1) | instskip(NEXT) | instid1(VALU_DEP_1)
	v_fmac_f32_e32 v2, v20, v20
	v_div_scale_f32 v3, null, v2, v2, 1.0
	v_div_scale_f32 v17, vcc_lo, 1.0, v2, 1.0
	s_delay_alu instid0(VALU_DEP_2) | instskip(SKIP_2) | instid1(VALU_DEP_1)
	v_rcp_f32_e32 v4, v3
	s_waitcnt_depctr 0xfff
	v_fma_f32 v5, -v3, v4, 1.0
	v_fmac_f32_e32 v4, v5, v4
	s_delay_alu instid0(VALU_DEP_1) | instskip(NEXT) | instid1(VALU_DEP_1)
	v_mul_f32_e32 v5, v17, v4
	v_fma_f32 v18, -v3, v5, v17
	s_delay_alu instid0(VALU_DEP_1) | instskip(NEXT) | instid1(VALU_DEP_1)
	v_fmac_f32_e32 v5, v18, v4
	v_fma_f32 v3, -v3, v5, v17
	s_delay_alu instid0(VALU_DEP_1) | instskip(SKIP_1) | instid1(VALU_DEP_2)
	v_div_fmas_f32 v3, v3, v4, v5
	v_fma_f32 v4, 0, v19, v20
	v_div_fixup_f32 v2, v3, v2, 1.0
	v_fma_f32 v3, v20, 0, -v19
	s_delay_alu instid0(VALU_DEP_2) | instskip(NEXT) | instid1(VALU_DEP_2)
	v_mul_f32_e32 v17, v4, v2
	v_mul_f32_e32 v18, v3, v2
.LBB111_54:                             ;   in Loop: Header=BB111_19 Depth=1
	s_delay_alu instid0(VALU_DEP_1) | instskip(SKIP_2) | instid1(SALU_CYCLE_1)
	v_dual_mov_b32 v5, v17 :: v_dual_mov_b32 v4, v18
	v_dual_mov_b32 v22, v9 :: v_dual_mov_b32 v21, v8
	s_mov_b32 s0, 2
	s_cmp_gt_i32 s0, 3
	s_mov_b32 s1, -1
	s_cbranch_scc0 .LBB111_42
.LBB111_55:                             ;   in Loop: Header=BB111_19 Depth=1
	s_branch .LBB111_17
.LBB111_56:                             ;   in Loop: Header=BB111_19 Depth=1
                                        ; implicit-def: $sgpr26_sgpr27
	s_branch .LBB111_18
.LBB111_57:
	v_dual_mov_b32 v4, 0 :: v_dual_mov_b32 v5, 1.0
	s_and_saveexec_b32 s0, s2
	s_cbranch_execnz .LBB111_59
	s_branch .LBB111_60
.LBB111_58:
	v_dual_mov_b32 v8, v21 :: v_dual_mov_b32 v9, v22
	s_and_saveexec_b32 s0, s2
	s_cbranch_execz .LBB111_60
.LBB111_59:
	s_delay_alu instid0(VALU_DEP_1) | instskip(NEXT) | instid1(VALU_DEP_2)
	v_mul_f32_e32 v3, v4, v9
	v_mul_f32_e64 v10, v4, -v8
	s_lshl_b64 s[2:3], s[18:19], 3
	s_cmp_eq_u32 s6, 0
	v_add_co_u32 v1, vcc_lo, v6, s2
	v_fmac_f32_e32 v3, v8, v5
	v_fmac_f32_e32 v10, v9, v5
	v_add_co_ci_u32_e32 v2, vcc_lo, s3, v7, vcc_lo
	s_cselect_b32 vcc_lo, -1, 0
	s_delay_alu instid0(VALU_DEP_2)
	v_dual_cndmask_b32 v4, v8, v3 :: v_dual_cndmask_b32 v3, v9, v10
	global_store_b64 v[1:2], v[3:4], off
.LBB111_60:
	s_or_b32 exec_lo, exec_lo, s0
	s_waitcnt_vscnt null, 0x0
	buffer_gl1_inv
	buffer_gl0_inv
	s_barrier
	buffer_gl0_inv
	s_mov_b32 s0, exec_lo
	v_cmpx_eq_u32_e32 0, v0
	s_cbranch_execz .LBB111_62
; %bb.61:
	s_lshl_b64 s[0:1], s[16:17], 2
	v_dual_mov_b32 v0, 0 :: v_dual_mov_b32 v1, 1
	s_add_u32 s2, s10, s0
	s_addc_u32 s3, s11, s1
	s_lshl_b64 s[0:1], s[8:9], 2
	s_delay_alu instid0(SALU_CYCLE_1)
	s_add_u32 s0, s2, s0
	s_addc_u32 s1, s3, s1
	global_store_b32 v0, v1, s[0:1]
.LBB111_62:
	s_nop 0
	s_sendmsg sendmsg(MSG_DEALLOC_VGPRS)
	s_endpgm
.LBB111_63:
                                        ; implicit-def: $sgpr24_sgpr25
	s_load_b64 s[22:23], s[0:1], 0x38
	s_branch .LBB111_6
	.section	.rodata,"a",@progbits
	.p2align	6, 0x0
	.amdhsa_kernel _ZN9rocsparseL5csrsmILj512ELj64ELb0Ell21rocsparse_complex_numIfEEEv20rocsparse_operation_T3_S4_NS_24const_host_device_scalarIT4_EEPKT2_PKS4_PKS6_PS6_lPiSC_PS4_21rocsparse_index_base_20rocsparse_fill_mode_20rocsparse_diag_type_b
		.amdhsa_group_segment_fixed_size 8192
		.amdhsa_private_segment_fixed_size 0
		.amdhsa_kernarg_size 112
		.amdhsa_user_sgpr_count 15
		.amdhsa_user_sgpr_dispatch_ptr 0
		.amdhsa_user_sgpr_queue_ptr 0
		.amdhsa_user_sgpr_kernarg_segment_ptr 1
		.amdhsa_user_sgpr_dispatch_id 0
		.amdhsa_user_sgpr_private_segment_size 0
		.amdhsa_wavefront_size32 1
		.amdhsa_uses_dynamic_stack 0
		.amdhsa_enable_private_segment 0
		.amdhsa_system_sgpr_workgroup_id_x 1
		.amdhsa_system_sgpr_workgroup_id_y 0
		.amdhsa_system_sgpr_workgroup_id_z 0
		.amdhsa_system_sgpr_workgroup_info 0
		.amdhsa_system_vgpr_workitem_id 0
		.amdhsa_next_free_vgpr 25
		.amdhsa_next_free_sgpr 32
		.amdhsa_reserve_vcc 1
		.amdhsa_float_round_mode_32 0
		.amdhsa_float_round_mode_16_64 0
		.amdhsa_float_denorm_mode_32 3
		.amdhsa_float_denorm_mode_16_64 3
		.amdhsa_dx10_clamp 1
		.amdhsa_ieee_mode 1
		.amdhsa_fp16_overflow 0
		.amdhsa_workgroup_processor_mode 1
		.amdhsa_memory_ordered 1
		.amdhsa_forward_progress 0
		.amdhsa_shared_vgpr_count 0
		.amdhsa_exception_fp_ieee_invalid_op 0
		.amdhsa_exception_fp_denorm_src 0
		.amdhsa_exception_fp_ieee_div_zero 0
		.amdhsa_exception_fp_ieee_overflow 0
		.amdhsa_exception_fp_ieee_underflow 0
		.amdhsa_exception_fp_ieee_inexact 0
		.amdhsa_exception_int_div_zero 0
	.end_amdhsa_kernel
	.section	.text._ZN9rocsparseL5csrsmILj512ELj64ELb0Ell21rocsparse_complex_numIfEEEv20rocsparse_operation_T3_S4_NS_24const_host_device_scalarIT4_EEPKT2_PKS4_PKS6_PS6_lPiSC_PS4_21rocsparse_index_base_20rocsparse_fill_mode_20rocsparse_diag_type_b,"axG",@progbits,_ZN9rocsparseL5csrsmILj512ELj64ELb0Ell21rocsparse_complex_numIfEEEv20rocsparse_operation_T3_S4_NS_24const_host_device_scalarIT4_EEPKT2_PKS4_PKS6_PS6_lPiSC_PS4_21rocsparse_index_base_20rocsparse_fill_mode_20rocsparse_diag_type_b,comdat
.Lfunc_end111:
	.size	_ZN9rocsparseL5csrsmILj512ELj64ELb0Ell21rocsparse_complex_numIfEEEv20rocsparse_operation_T3_S4_NS_24const_host_device_scalarIT4_EEPKT2_PKS4_PKS6_PS6_lPiSC_PS4_21rocsparse_index_base_20rocsparse_fill_mode_20rocsparse_diag_type_b, .Lfunc_end111-_ZN9rocsparseL5csrsmILj512ELj64ELb0Ell21rocsparse_complex_numIfEEEv20rocsparse_operation_T3_S4_NS_24const_host_device_scalarIT4_EEPKT2_PKS4_PKS6_PS6_lPiSC_PS4_21rocsparse_index_base_20rocsparse_fill_mode_20rocsparse_diag_type_b
                                        ; -- End function
	.section	.AMDGPU.csdata,"",@progbits
; Kernel info:
; codeLenInByte = 2792
; NumSgprs: 34
; NumVgprs: 25
; ScratchSize: 0
; MemoryBound: 0
; FloatMode: 240
; IeeeMode: 1
; LDSByteSize: 8192 bytes/workgroup (compile time only)
; SGPRBlocks: 4
; VGPRBlocks: 3
; NumSGPRsForWavesPerEU: 34
; NumVGPRsForWavesPerEU: 25
; Occupancy: 16
; WaveLimiterHint : 1
; COMPUTE_PGM_RSRC2:SCRATCH_EN: 0
; COMPUTE_PGM_RSRC2:USER_SGPR: 15
; COMPUTE_PGM_RSRC2:TRAP_HANDLER: 0
; COMPUTE_PGM_RSRC2:TGID_X_EN: 1
; COMPUTE_PGM_RSRC2:TGID_Y_EN: 0
; COMPUTE_PGM_RSRC2:TGID_Z_EN: 0
; COMPUTE_PGM_RSRC2:TIDIG_COMP_CNT: 0
	.section	.text._ZN9rocsparseL5csrsmILj1024ELj64ELb1Ell21rocsparse_complex_numIfEEEv20rocsparse_operation_T3_S4_NS_24const_host_device_scalarIT4_EEPKT2_PKS4_PKS6_PS6_lPiSC_PS4_21rocsparse_index_base_20rocsparse_fill_mode_20rocsparse_diag_type_b,"axG",@progbits,_ZN9rocsparseL5csrsmILj1024ELj64ELb1Ell21rocsparse_complex_numIfEEEv20rocsparse_operation_T3_S4_NS_24const_host_device_scalarIT4_EEPKT2_PKS4_PKS6_PS6_lPiSC_PS4_21rocsparse_index_base_20rocsparse_fill_mode_20rocsparse_diag_type_b,comdat
	.globl	_ZN9rocsparseL5csrsmILj1024ELj64ELb1Ell21rocsparse_complex_numIfEEEv20rocsparse_operation_T3_S4_NS_24const_host_device_scalarIT4_EEPKT2_PKS4_PKS6_PS6_lPiSC_PS4_21rocsparse_index_base_20rocsparse_fill_mode_20rocsparse_diag_type_b ; -- Begin function _ZN9rocsparseL5csrsmILj1024ELj64ELb1Ell21rocsparse_complex_numIfEEEv20rocsparse_operation_T3_S4_NS_24const_host_device_scalarIT4_EEPKT2_PKS4_PKS6_PS6_lPiSC_PS4_21rocsparse_index_base_20rocsparse_fill_mode_20rocsparse_diag_type_b
	.p2align	8
	.type	_ZN9rocsparseL5csrsmILj1024ELj64ELb1Ell21rocsparse_complex_numIfEEEv20rocsparse_operation_T3_S4_NS_24const_host_device_scalarIT4_EEPKT2_PKS4_PKS6_PS6_lPiSC_PS4_21rocsparse_index_base_20rocsparse_fill_mode_20rocsparse_diag_type_b,@function
_ZN9rocsparseL5csrsmILj1024ELj64ELb1Ell21rocsparse_complex_numIfEEEv20rocsparse_operation_T3_S4_NS_24const_host_device_scalarIT4_EEPKT2_PKS4_PKS6_PS6_lPiSC_PS4_21rocsparse_index_base_20rocsparse_fill_mode_20rocsparse_diag_type_b: ; @_ZN9rocsparseL5csrsmILj1024ELj64ELb1Ell21rocsparse_complex_numIfEEEv20rocsparse_operation_T3_S4_NS_24const_host_device_scalarIT4_EEPKT2_PKS4_PKS6_PS6_lPiSC_PS4_21rocsparse_index_base_20rocsparse_fill_mode_20rocsparse_diag_type_b
; %bb.0:
	s_clause 0x2
	s_load_b128 s[4:7], s[0:1], 0x60
	s_load_b64 s[2:3], s[0:1], 0x18
	s_load_b128 s[8:11], s[0:1], 0x8
	s_waitcnt lgkmcnt(0)
	s_bitcmp1_b32 s7, 0
	s_cselect_b32 s7, -1, 0
	s_delay_alu instid0(SALU_CYCLE_1)
	s_xor_b32 s12, s7, -1
	s_and_b32 vcc_lo, exec_lo, s7
	s_mov_b32 s7, s2
	s_cbranch_vccnz .LBB112_2
; %bb.1:
	s_load_b32 s7, s[2:3], 0x0
.LBB112_2:
	s_and_not1_b32 vcc_lo, exec_lo, s12
	s_cbranch_vccnz .LBB112_4
; %bb.3:
	s_load_b32 s3, s[2:3], 0x4
.LBB112_4:
	s_clause 0x1
	s_load_b64 s[18:19], s[0:1], 0x50
	s_load_b64 s[12:13], s[0:1], 0x20
	s_mov_b32 s20, 0
	s_mov_b32 s21, s9
	s_delay_alu instid0(SALU_CYCLE_1)
	s_cmp_lg_u64 s[20:21], 0
	s_cbranch_scc0 .LBB112_66
; %bb.5:
	s_ashr_i32 s16, s9, 31
	s_delay_alu instid0(SALU_CYCLE_1) | instskip(SKIP_2) | instid1(SALU_CYCLE_1)
	s_add_u32 s22, s8, s16
	s_mov_b32 s17, s16
	s_addc_u32 s23, s9, s16
	s_xor_b64 s[22:23], s[22:23], s[16:17]
	s_delay_alu instid0(SALU_CYCLE_1) | instskip(SKIP_3) | instid1(VALU_DEP_1)
	v_cvt_f32_u32_e32 v1, s22
	v_cvt_f32_u32_e32 v2, s23
	s_sub_u32 s21, 0, s22
	s_subb_u32 s24, 0, s23
	v_fmamk_f32 v1, v2, 0x4f800000, v1
	s_delay_alu instid0(VALU_DEP_1) | instskip(SKIP_2) | instid1(VALU_DEP_1)
	v_rcp_f32_e32 v1, v1
	s_waitcnt_depctr 0xfff
	v_mul_f32_e32 v1, 0x5f7ffffc, v1
	v_mul_f32_e32 v2, 0x2f800000, v1
	s_delay_alu instid0(VALU_DEP_1) | instskip(NEXT) | instid1(VALU_DEP_1)
	v_trunc_f32_e32 v2, v2
	v_fmamk_f32 v1, v2, 0xcf800000, v1
	v_cvt_u32_f32_e32 v2, v2
	s_delay_alu instid0(VALU_DEP_2) | instskip(NEXT) | instid1(VALU_DEP_2)
	v_cvt_u32_f32_e32 v1, v1
	v_readfirstlane_b32 s2, v2
	s_delay_alu instid0(VALU_DEP_2) | instskip(NEXT) | instid1(VALU_DEP_2)
	v_readfirstlane_b32 s14, v1
	s_mul_i32 s25, s21, s2
	s_delay_alu instid0(VALU_DEP_1)
	s_mul_hi_u32 s27, s21, s14
	s_mul_i32 s26, s24, s14
	s_add_i32 s25, s27, s25
	s_mul_i32 s28, s21, s14
	s_add_i32 s25, s25, s26
	s_mul_hi_u32 s27, s14, s28
	s_mul_hi_u32 s29, s2, s28
	s_mul_i32 s26, s2, s28
	s_mul_hi_u32 s28, s14, s25
	s_mul_i32 s14, s14, s25
	s_mul_hi_u32 s30, s2, s25
	s_add_u32 s14, s27, s14
	s_addc_u32 s27, 0, s28
	s_add_u32 s14, s14, s26
	s_mul_i32 s25, s2, s25
	s_addc_u32 s14, s27, s29
	s_addc_u32 s26, s30, 0
	s_add_u32 s14, s14, s25
	s_addc_u32 s25, 0, s26
	v_add_co_u32 v1, s14, v1, s14
	s_delay_alu instid0(VALU_DEP_1) | instskip(SKIP_1) | instid1(VALU_DEP_1)
	s_cmp_lg_u32 s14, 0
	s_addc_u32 s2, s2, s25
	v_readfirstlane_b32 s14, v1
	s_mul_i32 s25, s21, s2
	s_delay_alu instid0(VALU_DEP_1)
	s_mul_hi_u32 s26, s21, s14
	s_mul_i32 s24, s24, s14
	s_add_i32 s25, s26, s25
	s_mul_i32 s21, s21, s14
	s_add_i32 s25, s25, s24
	s_mul_hi_u32 s26, s2, s21
	s_mul_i32 s27, s2, s21
	s_mul_hi_u32 s21, s14, s21
	s_mul_hi_u32 s28, s14, s25
	s_mul_i32 s14, s14, s25
	s_mul_hi_u32 s24, s2, s25
	s_add_u32 s14, s21, s14
	s_addc_u32 s21, 0, s28
	s_add_u32 s14, s14, s27
	s_mul_i32 s25, s2, s25
	s_addc_u32 s14, s21, s26
	s_addc_u32 s21, s24, 0
	s_add_u32 s14, s14, s25
	s_addc_u32 s21, 0, s21
	v_add_co_u32 v1, s14, v1, s14
	s_delay_alu instid0(VALU_DEP_1) | instskip(SKIP_1) | instid1(VALU_DEP_1)
	s_cmp_lg_u32 s14, 0
	s_addc_u32 s2, s2, s21
	v_readfirstlane_b32 s14, v1
	s_mul_i32 s21, s15, s2
	s_mul_hi_u32 s2, s15, s2
	s_delay_alu instid0(VALU_DEP_1) | instskip(NEXT) | instid1(SALU_CYCLE_1)
	s_mul_hi_u32 s14, s15, s14
	s_add_u32 s14, s14, s21
	s_addc_u32 s2, 0, s2
	s_add_u32 s14, s14, 0
	s_addc_u32 s2, s2, 0
	s_addc_u32 s14, 0, 0
	s_add_u32 s2, s2, 0
	s_addc_u32 s14, 0, s14
	s_mul_hi_u32 s21, s22, s2
	s_mul_i32 s25, s22, s14
	s_mul_i32 s26, s22, s2
	s_add_i32 s21, s21, s25
	v_sub_co_u32 v1, s25, s15, s26
	s_mul_i32 s24, s23, s2
	s_delay_alu instid0(SALU_CYCLE_1) | instskip(NEXT) | instid1(VALU_DEP_1)
	s_add_i32 s21, s21, s24
	v_sub_co_u32 v2, s26, v1, s22
	s_sub_i32 s24, 0, s21
	s_cmp_lg_u32 s25, 0
	s_subb_u32 s24, s24, s23
	s_cmp_lg_u32 s26, 0
	v_readfirstlane_b32 s26, v2
	s_subb_u32 s24, s24, 0
	s_delay_alu instid0(SALU_CYCLE_1) | instskip(SKIP_1) | instid1(VALU_DEP_1)
	s_cmp_ge_u32 s24, s23
	s_cselect_b32 s27, -1, 0
	s_cmp_ge_u32 s26, s22
	s_cselect_b32 s26, -1, 0
	s_cmp_eq_u32 s24, s23
	s_cselect_b32 s24, s26, s27
	s_add_u32 s26, s2, 1
	s_addc_u32 s27, s14, 0
	s_add_u32 s28, s2, 2
	s_addc_u32 s29, s14, 0
	s_cmp_lg_u32 s24, 0
	s_cselect_b32 s24, s28, s26
	s_cselect_b32 s26, s29, s27
	s_cmp_lg_u32 s25, 0
	v_readfirstlane_b32 s25, v1
	s_subb_u32 s21, 0, s21
	s_delay_alu instid0(SALU_CYCLE_1) | instskip(SKIP_1) | instid1(VALU_DEP_1)
	s_cmp_ge_u32 s21, s23
	s_cselect_b32 s27, -1, 0
	s_cmp_ge_u32 s25, s22
	s_cselect_b32 s22, -1, 0
	s_cmp_eq_u32 s21, s23
	s_cselect_b32 s21, s22, s27
	s_delay_alu instid0(SALU_CYCLE_1) | instskip(SKIP_2) | instid1(SALU_CYCLE_1)
	s_cmp_lg_u32 s21, 0
	s_cselect_b32 s23, s26, s14
	s_cselect_b32 s22, s24, s2
	s_xor_b64 s[22:23], s[22:23], s[16:17]
	s_delay_alu instid0(SALU_CYCLE_1)
	s_sub_u32 s22, s22, s16
	s_subb_u32 s23, s23, s16
	s_load_b64 s[16:17], s[0:1], 0x38
	s_and_not1_b32 vcc_lo, exec_lo, s20
	s_cbranch_vccnz .LBB112_7
.LBB112_6:
	v_cvt_f32_u32_e32 v1, s8
	s_sub_i32 s14, 0, s8
	s_mov_b32 s23, 0
	s_delay_alu instid0(VALU_DEP_1) | instskip(SKIP_2) | instid1(VALU_DEP_1)
	v_rcp_iflag_f32_e32 v1, v1
	s_waitcnt_depctr 0xfff
	v_mul_f32_e32 v1, 0x4f7ffffe, v1
	v_cvt_u32_f32_e32 v1, v1
	s_delay_alu instid0(VALU_DEP_1) | instskip(NEXT) | instid1(VALU_DEP_1)
	v_readfirstlane_b32 s2, v1
	s_mul_i32 s14, s14, s2
	s_delay_alu instid0(SALU_CYCLE_1) | instskip(NEXT) | instid1(SALU_CYCLE_1)
	s_mul_hi_u32 s14, s2, s14
	s_add_i32 s2, s2, s14
	s_delay_alu instid0(SALU_CYCLE_1) | instskip(NEXT) | instid1(SALU_CYCLE_1)
	s_mul_hi_u32 s2, s15, s2
	s_mul_i32 s14, s2, s8
	s_add_i32 s20, s2, 1
	s_sub_i32 s14, s15, s14
	s_delay_alu instid0(SALU_CYCLE_1)
	s_sub_i32 s21, s14, s8
	s_cmp_ge_u32 s14, s8
	s_cselect_b32 s2, s20, s2
	s_cselect_b32 s14, s21, s14
	s_add_i32 s20, s2, 1
	s_cmp_ge_u32 s14, s8
	s_cselect_b32 s22, s20, s2
.LBB112_7:
	s_delay_alu instid0(SALU_CYCLE_1)
	s_mul_i32 s2, s22, s9
	s_mul_hi_u32 s9, s22, s8
	s_load_b32 s24, s[0:1], 0x0
	s_add_i32 s2, s9, s2
	s_mul_i32 s9, s23, s8
	s_mul_i32 s8, s22, s8
	s_add_i32 s9, s2, s9
	s_sub_u32 s14, s15, s8
	s_subb_u32 s15, 0, s9
	v_mov_b32_e32 v1, 0
	s_lshl_b64 s[14:15], s[14:15], 3
	s_waitcnt lgkmcnt(0)
	s_add_u32 s14, s18, s14
	s_addc_u32 s15, s19, s15
	s_load_b64 s[18:19], s[14:15], 0x0
	s_load_b64 s[20:21], s[0:1], 0x40
	s_waitcnt lgkmcnt(0)
	s_lshl_b64 s[14:15], s[18:19], 3
	s_delay_alu instid0(SALU_CYCLE_1)
	s_add_u32 s12, s12, s14
	s_addc_u32 s13, s13, s15
	s_lshl_b64 s[22:23], s[22:23], 10
	s_load_b128 s[12:15], s[12:13], 0x0
	v_or_b32_e32 v2, s22, v0
	v_mov_b32_e32 v3, s23
	s_mul_i32 s22, s19, s20
	s_mul_i32 s23, s18, s21
	s_cmpk_lg_i32 s24, 0x71
	s_delay_alu instid0(VALU_DEP_1) | instskip(SKIP_1) | instid1(VALU_DEP_2)
	v_mad_u64_u32 v[6:7], null, s18, s20, v[2:3]
	v_cmp_gt_i64_e64 s2, s[10:11], v[2:3]
	v_add3_u32 v7, s23, s22, v7
	s_cbranch_scc0 .LBB112_56
; %bb.8:
	v_mov_b32_e32 v8, v1
	v_mov_b32_e32 v9, v1
	s_mov_b32 s22, 0
	s_and_saveexec_b32 s10, s2
	s_cbranch_execz .LBB112_10
; %bb.9:
	v_lshlrev_b64 v[4:5], 3, v[6:7]
	s_delay_alu instid0(VALU_DEP_1) | instskip(NEXT) | instid1(VALU_DEP_2)
	v_add_co_u32 v4, vcc_lo, s16, v4
	v_add_co_ci_u32_e32 v5, vcc_lo, s17, v5, vcc_lo
	global_load_b64 v[4:5], v[4:5], off
	s_waitcnt vmcnt(0)
	v_mul_f32_e64 v9, v5, -s3
	s_delay_alu instid0(VALU_DEP_1) | instskip(NEXT) | instid1(VALU_DEP_1)
	v_dual_mul_f32 v8, s7, v5 :: v_dual_fmac_f32 v9, s7, v4
	v_fmac_f32_e32 v8, s3, v4
.LBB112_10:
	s_or_b32 exec_lo, exec_lo, s10
	s_load_b64 s[10:11], s[0:1], 0x48
	s_and_not1_b32 vcc_lo, exec_lo, s22
	s_cbranch_vccz .LBB112_57
; %bb.11:
	s_waitcnt lgkmcnt(0)
	v_cmp_ge_i64_e64 s3, s[12:13], s[14:15]
	s_delay_alu instid0(VALU_DEP_1)
	s_and_b32 vcc_lo, exec_lo, s3
	v_cmp_eq_u32_e64 s3, 0, v0
	s_cbranch_vccnz .LBB112_60
.LBB112_12:
	s_clause 0x1
	s_load_b128 s[24:27], s[0:1], 0x28
	s_load_b64 s[22:23], s[0:1], 0x58
	v_dual_mov_b32 v19, 1.0 :: v_dual_lshlrev_b32 v10, 3, v0
	s_lshl_b64 s[0:1], s[8:9], 2
	v_lshlrev_b64 v[2:3], 3, v[2:3]
	s_add_u32 s7, s10, s0
	s_addc_u32 s28, s11, s1
	s_sub_u32 s12, s12, s4
	s_subb_u32 s13, s13, 0
	s_sub_u32 s14, s14, s4
	v_add_co_u32 v11, vcc_lo, s16, v2
	s_subb_u32 s15, s15, 0
	v_add_co_ci_u32_e32 v12, vcc_lo, s17, v3, vcc_lo
	v_or_b32_e32 v17, 0x2000, v10
	s_cmp_eq_u32 s6, 0
	v_mov_b32_e32 v18, 0
	v_mov_b32_e32 v20, 0
	s_waitcnt lgkmcnt(0)
	v_add_co_u32 v13, s0, s24, v10
	s_delay_alu instid0(VALU_DEP_1) | instskip(SKIP_1) | instid1(VALU_DEP_1)
	v_add_co_ci_u32_e64 v14, null, s25, 0, s0
	v_add_co_u32 v15, s0, s26, v10
	v_add_co_ci_u32_e64 v16, null, s27, 0, s0
	s_cselect_b32 s29, -1, 0
	s_add_u32 s24, s18, s4
	s_addc_u32 s25, s19, 0
	s_mov_b64 s[26:27], s[12:13]
	s_branch .LBB112_15
.LBB112_13:                             ;   in Loop: Header=BB112_15 Depth=1
	s_add_u32 s26, s26, 1
	s_addc_u32 s27, s27, 0
	s_delay_alu instid0(SALU_CYCLE_1)
	v_cmp_ge_i64_e64 s1, s[26:27], s[14:15]
.LBB112_14:                             ;   in Loop: Header=BB112_15 Depth=1
	v_dual_mov_b32 v8, v23 :: v_dual_mov_b32 v9, v24
	v_dual_mov_b32 v20, v4 :: v_dual_mov_b32 v19, v5
	s_delay_alu instid0(VALU_DEP_3)
	s_and_not1_b32 vcc_lo, exec_lo, s1
	s_cbranch_vccz .LBB112_61
.LBB112_15:                             ; =>This Loop Header: Depth=1
                                        ;     Child Loop BB112_54 Depth 2
                                        ;       Child Loop BB112_55 Depth 3
	s_sub_i32 s0, s26, s12
	s_delay_alu instid0(SALU_CYCLE_1) | instskip(NEXT) | instid1(SALU_CYCLE_1)
	s_and_b32 s0, s0, 0x3ff
	s_cmp_lg_u32 s0, 0
	s_cbranch_scc1 .LBB112_19
; %bb.16:                               ;   in Loop: Header=BB112_15 Depth=1
	v_dual_mov_b32 v4, -1 :: v_dual_mov_b32 v3, 0
	v_dual_mov_b32 v5, -1 :: v_dual_mov_b32 v2, -1.0
	s_sub_u32 s30, s14, s26
	s_subb_u32 s31, s15, s27
	s_mov_b32 s1, exec_lo
	v_cmpx_gt_i64_e64 s[30:31], v[0:1]
	s_cbranch_execz .LBB112_18
; %bb.17:                               ;   in Loop: Header=BB112_15 Depth=1
	s_lshl_b64 s[30:31], s[26:27], 3
	s_delay_alu instid0(SALU_CYCLE_1)
	v_add_co_u32 v2, vcc_lo, v13, s30
	v_add_co_ci_u32_e32 v3, vcc_lo, s31, v14, vcc_lo
	global_load_b64 v[4:5], v[2:3], off
	v_add_co_u32 v2, vcc_lo, v15, s30
	v_add_co_ci_u32_e32 v3, vcc_lo, s31, v16, vcc_lo
	global_load_b64 v[2:3], v[2:3], off
	s_waitcnt vmcnt(1)
	v_sub_co_u32 v4, vcc_lo, v4, s4
	v_subrev_co_ci_u32_e32 v5, vcc_lo, 0, v5, vcc_lo
.LBB112_18:                             ;   in Loop: Header=BB112_15 Depth=1
	s_or_b32 exec_lo, exec_lo, s1
	ds_store_b64 v10, v[4:5]
	s_waitcnt vmcnt(0)
	ds_store_b64 v17, v[2:3]
.LBB112_19:                             ;   in Loop: Header=BB112_15 Depth=1
	s_lshl_b32 s0, s0, 3
	s_waitcnt lgkmcnt(0)
	v_mov_b32_e32 v2, s0
	s_waitcnt_vscnt null, 0x0
	s_barrier
	buffer_gl0_inv
	ds_load_2addr_stride64_b64 v[2:5], v2 offset1:16
	s_waitcnt lgkmcnt(0)
	v_cmp_eq_f32_e32 vcc_lo, 0, v4
	v_cmp_eq_f32_e64 s1, 0, v5
	v_cmp_eq_u64_e64 s0, s[18:19], v[2:3]
	v_cmp_ne_u64_e64 s13, s[18:19], v[2:3]
	s_delay_alu instid0(VALU_DEP_3)
	s_and_b32 s1, vcc_lo, s1
	s_delay_alu instid0(VALU_DEP_2) | instid1(SALU_CYCLE_1)
	s_and_b32 s1, s1, s0
	s_delay_alu instid0(SALU_CYCLE_1) | instskip(NEXT) | instid1(SALU_CYCLE_1)
	s_and_b32 s1, s29, s1
	v_cndmask_b32_e64 v21, v5, 0, s1
	v_cndmask_b32_e64 v22, v4, 1.0, s1
	s_and_b32 s30, s3, s1
	s_delay_alu instid0(SALU_CYCLE_1)
	s_and_saveexec_b32 s1, s30
	s_cbranch_execz .LBB112_23
; %bb.20:                               ;   in Loop: Header=BB112_15 Depth=1
	v_mbcnt_lo_u32_b32 v4, exec_lo, 0
	s_mov_b32 s30, exec_lo
	s_delay_alu instid0(VALU_DEP_1)
	v_cmpx_eq_u32_e32 0, v4
	s_cbranch_execz .LBB112_22
; %bb.21:                               ;   in Loop: Header=BB112_15 Depth=1
	v_dual_mov_b32 v4, s24 :: v_dual_mov_b32 v5, s25
	global_atomic_min_u64 v18, v[4:5], s[22:23]
.LBB112_22:                             ;   in Loop: Header=BB112_15 Depth=1
	s_or_b32 exec_lo, exec_lo, s30
	v_dual_mov_b32 v21, 0 :: v_dual_mov_b32 v22, 1.0
.LBB112_23:                             ;   in Loop: Header=BB112_15 Depth=1
	s_or_b32 exec_lo, exec_lo, s1
	s_cmp_lt_i32 s5, 1
	s_mov_b32 s1, 0
	s_cbranch_scc1 .LBB112_29
; %bb.24:                               ;   in Loop: Header=BB112_15 Depth=1
	s_cmp_eq_u32 s5, 1
	s_cbranch_scc0 .LBB112_30
; %bb.25:                               ;   in Loop: Header=BB112_15 Depth=1
	v_cmp_le_i64_e32 vcc_lo, s[18:19], v[2:3]
	v_dual_mov_b32 v4, v20 :: v_dual_mov_b32 v5, v19
	s_mov_b32 s30, 0
	s_cbranch_vccz .LBB112_32
; %bb.26:                               ;   in Loop: Header=BB112_15 Depth=1
	s_and_b32 vcc_lo, exec_lo, s0
	s_cbranch_vccz .LBB112_31
; %bb.27:                               ;   in Loop: Header=BB112_15 Depth=1
	v_dual_mov_b32 v4, v20 :: v_dual_mov_b32 v5, v19
	s_and_not1_b32 vcc_lo, exec_lo, s29
	s_cbranch_vccnz .LBB112_32
; %bb.28:                               ;   in Loop: Header=BB112_15 Depth=1
	v_mul_f32_e32 v4, v21, v21
	s_delay_alu instid0(VALU_DEP_1) | instskip(NEXT) | instid1(VALU_DEP_1)
	v_fmac_f32_e32 v4, v22, v22
	v_div_scale_f32 v5, null, v4, v4, 1.0
	v_div_scale_f32 v25, vcc_lo, 1.0, v4, 1.0
	s_delay_alu instid0(VALU_DEP_2) | instskip(SKIP_2) | instid1(VALU_DEP_1)
	v_rcp_f32_e32 v23, v5
	s_waitcnt_depctr 0xfff
	v_fma_f32 v24, -v5, v23, 1.0
	v_fmac_f32_e32 v23, v24, v23
	s_delay_alu instid0(VALU_DEP_1) | instskip(NEXT) | instid1(VALU_DEP_1)
	v_mul_f32_e32 v24, v25, v23
	v_fma_f32 v26, -v5, v24, v25
	s_delay_alu instid0(VALU_DEP_1) | instskip(NEXT) | instid1(VALU_DEP_1)
	v_fmac_f32_e32 v24, v26, v23
	v_fma_f32 v5, -v5, v24, v25
	s_delay_alu instid0(VALU_DEP_1) | instskip(SKIP_2) | instid1(VALU_DEP_3)
	v_div_fmas_f32 v5, v5, v23, v24
	v_fma_f32 v23, 0, v21, v22
	v_fma_f32 v24, v22, 0, -v21
	v_div_fixup_f32 v4, v5, v4, 1.0
	s_delay_alu instid0(VALU_DEP_1) | instskip(NEXT) | instid1(VALU_DEP_3)
	v_mul_f32_e32 v5, v23, v4
	v_mul_f32_e32 v4, v24, v4
	s_branch .LBB112_32
.LBB112_29:                             ;   in Loop: Header=BB112_15 Depth=1
	s_mov_b32 s30, 0
                                        ; implicit-def: $sgpr0
                                        ; implicit-def: $vgpr23
                                        ; implicit-def: $vgpr24
                                        ; implicit-def: $vgpr4
                                        ; implicit-def: $vgpr5
	s_cbranch_execnz .LBB112_33
	s_branch .LBB112_35
.LBB112_30:                             ;   in Loop: Header=BB112_15 Depth=1
	s_mov_b32 s30, -1
                                        ; implicit-def: $sgpr0
                                        ; implicit-def: $vgpr23
                                        ; implicit-def: $vgpr24
                                        ; implicit-def: $vgpr4
                                        ; implicit-def: $vgpr5
	s_branch .LBB112_35
.LBB112_31:                             ;   in Loop: Header=BB112_15 Depth=1
	s_mov_b32 s30, -1
                                        ; implicit-def: $vgpr4
                                        ; implicit-def: $vgpr5
.LBB112_32:                             ;   in Loop: Header=BB112_15 Depth=1
	v_dual_mov_b32 v23, v8 :: v_dual_mov_b32 v24, v9
	s_mov_b32 s0, 4
	s_branch .LBB112_35
.LBB112_33:                             ;   in Loop: Header=BB112_15 Depth=1
	s_cmp_eq_u32 s5, 0
	s_cbranch_scc1 .LBB112_39
; %bb.34:                               ;   in Loop: Header=BB112_15 Depth=1
	s_mov_b32 s30, -1
                                        ; implicit-def: $sgpr0
                                        ; implicit-def: $vgpr23
                                        ; implicit-def: $vgpr24
                                        ; implicit-def: $vgpr4
                                        ; implicit-def: $vgpr5
.LBB112_35:                             ;   in Loop: Header=BB112_15 Depth=1
	s_delay_alu instid0(SALU_CYCLE_1)
	s_and_b32 vcc_lo, exec_lo, s30
	s_cbranch_vccnz .LBB112_42
.LBB112_36:                             ;   in Loop: Header=BB112_15 Depth=1
	s_and_b32 vcc_lo, exec_lo, s1
	s_cbranch_vccnz .LBB112_47
.LBB112_37:                             ;   in Loop: Header=BB112_15 Depth=1
	s_cmp_gt_i32 s0, 3
	s_mov_b32 s1, -1
	s_cbranch_scc1 .LBB112_50
.LBB112_38:                             ;   in Loop: Header=BB112_15 Depth=1
	s_cmp_eq_u32 s0, 0
	s_cselect_b32 s0, -1, 0
	s_delay_alu instid0(SALU_CYCLE_1)
	s_and_not1_b32 vcc_lo, exec_lo, s0
	s_cbranch_vccz .LBB112_13
	s_branch .LBB112_51
.LBB112_39:                             ;   in Loop: Header=BB112_15 Depth=1
	v_cmp_ge_i64_e32 vcc_lo, s[18:19], v[2:3]
	s_mov_b32 s30, 0
	s_cbranch_vccz .LBB112_41
; %bb.40:                               ;   in Loop: Header=BB112_15 Depth=1
	s_mov_b32 s1, -1
	s_mov_b32 s30, s13
.LBB112_41:                             ;   in Loop: Header=BB112_15 Depth=1
	v_dual_mov_b32 v23, v8 :: v_dual_mov_b32 v24, v9
	v_dual_mov_b32 v4, v20 :: v_dual_mov_b32 v5, v19
	s_mov_b32 s0, 2
	s_and_b32 vcc_lo, exec_lo, s30
	s_cbranch_vccz .LBB112_36
.LBB112_42:                             ;   in Loop: Header=BB112_15 Depth=1
	s_and_saveexec_b32 s0, s3
	s_cbranch_execz .LBB112_44
; %bb.43:                               ;   in Loop: Header=BB112_15 Depth=1
	v_lshlrev_b64 v[4:5], 2, v[2:3]
	s_delay_alu instid0(VALU_DEP_1) | instskip(NEXT) | instid1(VALU_DEP_2)
	v_add_co_u32 v4, vcc_lo, s7, v4
	v_add_co_ci_u32_e32 v5, vcc_lo, s28, v5, vcc_lo
	global_load_b32 v23, v[4:5], off glc
	s_waitcnt vmcnt(0)
	v_cmp_ne_u32_e32 vcc_lo, 0, v23
	s_cbranch_vccz .LBB112_52
.LBB112_44:                             ;   in Loop: Header=BB112_15 Depth=1
	s_or_b32 exec_lo, exec_lo, s0
	v_dual_mov_b32 v23, 0 :: v_dual_mov_b32 v24, 0
	s_mov_b32 s1, 0
	s_waitcnt_vscnt null, 0x0
	s_barrier
	buffer_gl0_inv
	buffer_gl1_inv
	buffer_gl0_inv
	s_and_saveexec_b32 s0, s2
	s_cbranch_execz .LBB112_46
; %bb.45:                               ;   in Loop: Header=BB112_15 Depth=1
	v_mul_lo_u32 v4, v2, s21
	v_mul_hi_u32 v5, v2, s20
	v_mul_lo_u32 v3, v3, s20
	v_mul_lo_u32 v2, v2, s20
	s_delay_alu instid0(VALU_DEP_3) | instskip(NEXT) | instid1(VALU_DEP_1)
	v_add_nc_u32_e32 v4, v5, v4
	v_add_nc_u32_e32 v3, v4, v3
	s_delay_alu instid0(VALU_DEP_1) | instskip(NEXT) | instid1(VALU_DEP_1)
	v_lshlrev_b64 v[2:3], 3, v[2:3]
	v_add_co_u32 v2, vcc_lo, v11, v2
	s_delay_alu instid0(VALU_DEP_2) | instskip(SKIP_4) | instid1(VALU_DEP_2)
	v_add_co_ci_u32_e32 v3, vcc_lo, v12, v3, vcc_lo
	global_load_b64 v[2:3], v[2:3], off
	s_waitcnt vmcnt(0)
	v_fma_f32 v24, -v22, v2, v9
	v_fma_f32 v2, -v21, v2, v8
	v_fmac_f32_e32 v24, v21, v3
	s_delay_alu instid0(VALU_DEP_2)
	v_fma_f32 v23, -v22, v3, v2
.LBB112_46:                             ;   in Loop: Header=BB112_15 Depth=1
	s_or_b32 exec_lo, exec_lo, s0
	v_dual_mov_b32 v4, v20 :: v_dual_mov_b32 v5, v19
	s_mov_b32 s0, 0
	s_and_b32 vcc_lo, exec_lo, s1
	s_cbranch_vccz .LBB112_37
.LBB112_47:                             ;   in Loop: Header=BB112_15 Depth=1
	s_and_not1_b32 vcc_lo, exec_lo, s29
	s_cbranch_vccnz .LBB112_49
; %bb.48:                               ;   in Loop: Header=BB112_15 Depth=1
	v_mul_f32_e32 v2, v21, v21
	s_delay_alu instid0(VALU_DEP_1) | instskip(NEXT) | instid1(VALU_DEP_1)
	v_fmac_f32_e32 v2, v22, v22
	v_div_scale_f32 v3, null, v2, v2, 1.0
	v_div_scale_f32 v19, vcc_lo, 1.0, v2, 1.0
	s_delay_alu instid0(VALU_DEP_2) | instskip(SKIP_2) | instid1(VALU_DEP_1)
	v_rcp_f32_e32 v4, v3
	s_waitcnt_depctr 0xfff
	v_fma_f32 v5, -v3, v4, 1.0
	v_fmac_f32_e32 v4, v5, v4
	s_delay_alu instid0(VALU_DEP_1) | instskip(NEXT) | instid1(VALU_DEP_1)
	v_mul_f32_e32 v5, v19, v4
	v_fma_f32 v20, -v3, v5, v19
	s_delay_alu instid0(VALU_DEP_1) | instskip(NEXT) | instid1(VALU_DEP_1)
	v_fmac_f32_e32 v5, v20, v4
	v_fma_f32 v3, -v3, v5, v19
	s_delay_alu instid0(VALU_DEP_1) | instskip(SKIP_1) | instid1(VALU_DEP_2)
	v_div_fmas_f32 v3, v3, v4, v5
	v_fma_f32 v4, 0, v21, v22
	v_div_fixup_f32 v2, v3, v2, 1.0
	v_fma_f32 v3, v22, 0, -v21
	s_delay_alu instid0(VALU_DEP_2) | instskip(NEXT) | instid1(VALU_DEP_2)
	v_mul_f32_e32 v19, v4, v2
	v_mul_f32_e32 v20, v3, v2
.LBB112_49:                             ;   in Loop: Header=BB112_15 Depth=1
	s_delay_alu instid0(VALU_DEP_1) | instskip(SKIP_2) | instid1(SALU_CYCLE_1)
	v_dual_mov_b32 v5, v19 :: v_dual_mov_b32 v4, v20
	v_dual_mov_b32 v24, v9 :: v_dual_mov_b32 v23, v8
	s_mov_b32 s0, 2
	s_cmp_gt_i32 s0, 3
	s_mov_b32 s1, -1
	s_cbranch_scc0 .LBB112_38
.LBB112_50:                             ;   in Loop: Header=BB112_15 Depth=1
	s_branch .LBB112_13
.LBB112_51:                             ;   in Loop: Header=BB112_15 Depth=1
                                        ; implicit-def: $sgpr26_sgpr27
	s_branch .LBB112_14
.LBB112_52:                             ;   in Loop: Header=BB112_15 Depth=1
	s_mov_b32 s1, 0
	s_branch .LBB112_54
	.p2align	6
.LBB112_53:                             ;   in Loop: Header=BB112_54 Depth=2
	global_load_b32 v23, v[4:5], off glc
	s_cmpk_lt_u32 s1, 0xf43
	s_cselect_b32 s13, -1, 0
	s_delay_alu instid0(SALU_CYCLE_1)
	s_cmp_lg_u32 s13, 0
	s_addc_u32 s1, s1, 0
	s_waitcnt vmcnt(0)
	v_cmp_ne_u32_e32 vcc_lo, 0, v23
	s_cbranch_vccnz .LBB112_44
.LBB112_54:                             ;   Parent Loop BB112_15 Depth=1
                                        ; =>  This Loop Header: Depth=2
                                        ;       Child Loop BB112_55 Depth 3
	s_cmp_eq_u32 s1, 0
	s_mov_b32 s13, s1
	s_cbranch_scc1 .LBB112_53
.LBB112_55:                             ;   Parent Loop BB112_15 Depth=1
                                        ;     Parent Loop BB112_54 Depth=2
                                        ; =>    This Inner Loop Header: Depth=3
	s_add_i32 s13, s13, -1
	s_sleep 1
	s_cmp_eq_u32 s13, 0
	s_cbranch_scc0 .LBB112_55
	s_branch .LBB112_53
.LBB112_56:
                                        ; implicit-def: $vgpr8
                                        ; implicit-def: $vgpr9
	s_load_b64 s[10:11], s[0:1], 0x48
.LBB112_57:
	v_dual_mov_b32 v8, 0 :: v_dual_mov_b32 v9, 0
	s_delay_alu instid0(VALU_DEP_3)
	s_and_saveexec_b32 s22, s2
	s_cbranch_execz .LBB112_59
; %bb.58:
	v_lshlrev_b64 v[4:5], 3, v[6:7]
	s_delay_alu instid0(VALU_DEP_1) | instskip(NEXT) | instid1(VALU_DEP_2)
	v_add_co_u32 v4, vcc_lo, s16, v4
	v_add_co_ci_u32_e32 v5, vcc_lo, s17, v5, vcc_lo
	global_load_b64 v[4:5], v[4:5], off
	s_waitcnt vmcnt(0)
	v_mul_f32_e64 v8, s7, -v5
	s_delay_alu instid0(VALU_DEP_1) | instskip(NEXT) | instid1(VALU_DEP_1)
	v_dual_mul_f32 v9, s3, v5 :: v_dual_fmac_f32 v8, s3, v4
	v_fmac_f32_e32 v9, s7, v4
.LBB112_59:
	s_or_b32 exec_lo, exec_lo, s22
	s_waitcnt lgkmcnt(0)
	v_cmp_ge_i64_e64 s3, s[12:13], s[14:15]
	s_delay_alu instid0(VALU_DEP_1)
	s_and_b32 vcc_lo, exec_lo, s3
	v_cmp_eq_u32_e64 s3, 0, v0
	s_cbranch_vccz .LBB112_12
.LBB112_60:
	v_dual_mov_b32 v4, 0 :: v_dual_mov_b32 v5, 1.0
	s_and_saveexec_b32 s0, s2
	s_cbranch_execnz .LBB112_62
	s_branch .LBB112_63
.LBB112_61:
	v_dual_mov_b32 v8, v23 :: v_dual_mov_b32 v9, v24
	s_and_saveexec_b32 s0, s2
	s_cbranch_execz .LBB112_63
.LBB112_62:
	v_lshlrev_b64 v[1:2], 3, v[6:7]
	s_delay_alu instid0(VALU_DEP_2) | instskip(SKIP_2) | instid1(VALU_DEP_2)
	v_mul_f32_e32 v3, v4, v9
	v_mul_f32_e64 v10, v4, -v8
	s_cmp_eq_u32 s6, 0
	v_fmac_f32_e32 v3, v8, v5
	s_delay_alu instid0(VALU_DEP_2) | instskip(SKIP_3) | instid1(VALU_DEP_3)
	v_fmac_f32_e32 v10, v9, v5
	v_add_co_u32 v1, vcc_lo, s16, v1
	v_add_co_ci_u32_e32 v2, vcc_lo, s17, v2, vcc_lo
	s_cselect_b32 vcc_lo, -1, 0
	v_dual_cndmask_b32 v4, v8, v3 :: v_dual_cndmask_b32 v3, v9, v10
	global_store_b64 v[1:2], v[3:4], off
.LBB112_63:
	s_or_b32 exec_lo, exec_lo, s0
	s_waitcnt_vscnt null, 0x0
	buffer_gl1_inv
	buffer_gl0_inv
	s_barrier
	buffer_gl0_inv
	s_mov_b32 s0, exec_lo
	v_cmpx_eq_u32_e32 0, v0
	s_cbranch_execz .LBB112_65
; %bb.64:
	s_lshl_b64 s[0:1], s[18:19], 2
	v_dual_mov_b32 v0, 0 :: v_dual_mov_b32 v1, 1
	s_add_u32 s2, s10, s0
	s_addc_u32 s3, s11, s1
	s_lshl_b64 s[0:1], s[8:9], 2
	s_delay_alu instid0(SALU_CYCLE_1)
	s_add_u32 s0, s2, s0
	s_addc_u32 s1, s3, s1
	global_store_b32 v0, v1, s[0:1]
.LBB112_65:
	s_nop 0
	s_sendmsg sendmsg(MSG_DEALLOC_VGPRS)
	s_endpgm
.LBB112_66:
                                        ; implicit-def: $sgpr22_sgpr23
	s_load_b64 s[16:17], s[0:1], 0x38
	s_branch .LBB112_6
	.section	.rodata,"a",@progbits
	.p2align	6, 0x0
	.amdhsa_kernel _ZN9rocsparseL5csrsmILj1024ELj64ELb1Ell21rocsparse_complex_numIfEEEv20rocsparse_operation_T3_S4_NS_24const_host_device_scalarIT4_EEPKT2_PKS4_PKS6_PS6_lPiSC_PS4_21rocsparse_index_base_20rocsparse_fill_mode_20rocsparse_diag_type_b
		.amdhsa_group_segment_fixed_size 16384
		.amdhsa_private_segment_fixed_size 0
		.amdhsa_kernarg_size 112
		.amdhsa_user_sgpr_count 15
		.amdhsa_user_sgpr_dispatch_ptr 0
		.amdhsa_user_sgpr_queue_ptr 0
		.amdhsa_user_sgpr_kernarg_segment_ptr 1
		.amdhsa_user_sgpr_dispatch_id 0
		.amdhsa_user_sgpr_private_segment_size 0
		.amdhsa_wavefront_size32 1
		.amdhsa_uses_dynamic_stack 0
		.amdhsa_enable_private_segment 0
		.amdhsa_system_sgpr_workgroup_id_x 1
		.amdhsa_system_sgpr_workgroup_id_y 0
		.amdhsa_system_sgpr_workgroup_id_z 0
		.amdhsa_system_sgpr_workgroup_info 0
		.amdhsa_system_vgpr_workitem_id 0
		.amdhsa_next_free_vgpr 27
		.amdhsa_next_free_sgpr 32
		.amdhsa_reserve_vcc 1
		.amdhsa_float_round_mode_32 0
		.amdhsa_float_round_mode_16_64 0
		.amdhsa_float_denorm_mode_32 3
		.amdhsa_float_denorm_mode_16_64 3
		.amdhsa_dx10_clamp 1
		.amdhsa_ieee_mode 1
		.amdhsa_fp16_overflow 0
		.amdhsa_workgroup_processor_mode 1
		.amdhsa_memory_ordered 1
		.amdhsa_forward_progress 0
		.amdhsa_shared_vgpr_count 0
		.amdhsa_exception_fp_ieee_invalid_op 0
		.amdhsa_exception_fp_denorm_src 0
		.amdhsa_exception_fp_ieee_div_zero 0
		.amdhsa_exception_fp_ieee_overflow 0
		.amdhsa_exception_fp_ieee_underflow 0
		.amdhsa_exception_fp_ieee_inexact 0
		.amdhsa_exception_int_div_zero 0
	.end_amdhsa_kernel
	.section	.text._ZN9rocsparseL5csrsmILj1024ELj64ELb1Ell21rocsparse_complex_numIfEEEv20rocsparse_operation_T3_S4_NS_24const_host_device_scalarIT4_EEPKT2_PKS4_PKS6_PS6_lPiSC_PS4_21rocsparse_index_base_20rocsparse_fill_mode_20rocsparse_diag_type_b,"axG",@progbits,_ZN9rocsparseL5csrsmILj1024ELj64ELb1Ell21rocsparse_complex_numIfEEEv20rocsparse_operation_T3_S4_NS_24const_host_device_scalarIT4_EEPKT2_PKS4_PKS6_PS6_lPiSC_PS4_21rocsparse_index_base_20rocsparse_fill_mode_20rocsparse_diag_type_b,comdat
.Lfunc_end112:
	.size	_ZN9rocsparseL5csrsmILj1024ELj64ELb1Ell21rocsparse_complex_numIfEEEv20rocsparse_operation_T3_S4_NS_24const_host_device_scalarIT4_EEPKT2_PKS4_PKS6_PS6_lPiSC_PS4_21rocsparse_index_base_20rocsparse_fill_mode_20rocsparse_diag_type_b, .Lfunc_end112-_ZN9rocsparseL5csrsmILj1024ELj64ELb1Ell21rocsparse_complex_numIfEEEv20rocsparse_operation_T3_S4_NS_24const_host_device_scalarIT4_EEPKT2_PKS4_PKS6_PS6_lPiSC_PS4_21rocsparse_index_base_20rocsparse_fill_mode_20rocsparse_diag_type_b
                                        ; -- End function
	.section	.AMDGPU.csdata,"",@progbits
; Kernel info:
; codeLenInByte = 2876
; NumSgprs: 34
; NumVgprs: 27
; ScratchSize: 0
; MemoryBound: 0
; FloatMode: 240
; IeeeMode: 1
; LDSByteSize: 16384 bytes/workgroup (compile time only)
; SGPRBlocks: 4
; VGPRBlocks: 3
; NumSGPRsForWavesPerEU: 34
; NumVGPRsForWavesPerEU: 27
; Occupancy: 16
; WaveLimiterHint : 1
; COMPUTE_PGM_RSRC2:SCRATCH_EN: 0
; COMPUTE_PGM_RSRC2:USER_SGPR: 15
; COMPUTE_PGM_RSRC2:TRAP_HANDLER: 0
; COMPUTE_PGM_RSRC2:TGID_X_EN: 1
; COMPUTE_PGM_RSRC2:TGID_Y_EN: 0
; COMPUTE_PGM_RSRC2:TGID_Z_EN: 0
; COMPUTE_PGM_RSRC2:TIDIG_COMP_CNT: 0
	.section	.text._ZN9rocsparseL5csrsmILj1024ELj64ELb0Ell21rocsparse_complex_numIfEEEv20rocsparse_operation_T3_S4_NS_24const_host_device_scalarIT4_EEPKT2_PKS4_PKS6_PS6_lPiSC_PS4_21rocsparse_index_base_20rocsparse_fill_mode_20rocsparse_diag_type_b,"axG",@progbits,_ZN9rocsparseL5csrsmILj1024ELj64ELb0Ell21rocsparse_complex_numIfEEEv20rocsparse_operation_T3_S4_NS_24const_host_device_scalarIT4_EEPKT2_PKS4_PKS6_PS6_lPiSC_PS4_21rocsparse_index_base_20rocsparse_fill_mode_20rocsparse_diag_type_b,comdat
	.globl	_ZN9rocsparseL5csrsmILj1024ELj64ELb0Ell21rocsparse_complex_numIfEEEv20rocsparse_operation_T3_S4_NS_24const_host_device_scalarIT4_EEPKT2_PKS4_PKS6_PS6_lPiSC_PS4_21rocsparse_index_base_20rocsparse_fill_mode_20rocsparse_diag_type_b ; -- Begin function _ZN9rocsparseL5csrsmILj1024ELj64ELb0Ell21rocsparse_complex_numIfEEEv20rocsparse_operation_T3_S4_NS_24const_host_device_scalarIT4_EEPKT2_PKS4_PKS6_PS6_lPiSC_PS4_21rocsparse_index_base_20rocsparse_fill_mode_20rocsparse_diag_type_b
	.p2align	8
	.type	_ZN9rocsparseL5csrsmILj1024ELj64ELb0Ell21rocsparse_complex_numIfEEEv20rocsparse_operation_T3_S4_NS_24const_host_device_scalarIT4_EEPKT2_PKS4_PKS6_PS6_lPiSC_PS4_21rocsparse_index_base_20rocsparse_fill_mode_20rocsparse_diag_type_b,@function
_ZN9rocsparseL5csrsmILj1024ELj64ELb0Ell21rocsparse_complex_numIfEEEv20rocsparse_operation_T3_S4_NS_24const_host_device_scalarIT4_EEPKT2_PKS4_PKS6_PS6_lPiSC_PS4_21rocsparse_index_base_20rocsparse_fill_mode_20rocsparse_diag_type_b: ; @_ZN9rocsparseL5csrsmILj1024ELj64ELb0Ell21rocsparse_complex_numIfEEEv20rocsparse_operation_T3_S4_NS_24const_host_device_scalarIT4_EEPKT2_PKS4_PKS6_PS6_lPiSC_PS4_21rocsparse_index_base_20rocsparse_fill_mode_20rocsparse_diag_type_b
; %bb.0:
	s_clause 0x2
	s_load_b128 s[4:7], s[0:1], 0x60
	s_load_b64 s[2:3], s[0:1], 0x18
	s_load_b128 s[8:11], s[0:1], 0x8
	s_waitcnt lgkmcnt(0)
	s_bitcmp1_b32 s7, 0
	s_cselect_b32 s7, -1, 0
	s_delay_alu instid0(SALU_CYCLE_1)
	s_xor_b32 s12, s7, -1
	s_and_b32 vcc_lo, exec_lo, s7
	s_mov_b32 s7, s2
	s_cbranch_vccnz .LBB113_2
; %bb.1:
	s_load_b32 s7, s[2:3], 0x0
.LBB113_2:
	s_and_not1_b32 vcc_lo, exec_lo, s12
	s_cbranch_vccnz .LBB113_4
; %bb.3:
	s_load_b32 s3, s[2:3], 0x4
.LBB113_4:
	s_clause 0x1
	s_load_b64 s[18:19], s[0:1], 0x50
	s_load_b64 s[12:13], s[0:1], 0x20
	s_mov_b32 s20, 0
	s_mov_b32 s21, s9
	s_delay_alu instid0(SALU_CYCLE_1)
	s_cmp_lg_u64 s[20:21], 0
	s_cbranch_scc0 .LBB113_63
; %bb.5:
	s_ashr_i32 s16, s9, 31
	s_delay_alu instid0(SALU_CYCLE_1) | instskip(SKIP_2) | instid1(SALU_CYCLE_1)
	s_add_u32 s22, s8, s16
	s_mov_b32 s17, s16
	s_addc_u32 s23, s9, s16
	s_xor_b64 s[22:23], s[22:23], s[16:17]
	s_delay_alu instid0(SALU_CYCLE_1) | instskip(SKIP_3) | instid1(VALU_DEP_1)
	v_cvt_f32_u32_e32 v1, s22
	v_cvt_f32_u32_e32 v2, s23
	s_sub_u32 s21, 0, s22
	s_subb_u32 s24, 0, s23
	v_fmamk_f32 v1, v2, 0x4f800000, v1
	s_delay_alu instid0(VALU_DEP_1) | instskip(SKIP_2) | instid1(VALU_DEP_1)
	v_rcp_f32_e32 v1, v1
	s_waitcnt_depctr 0xfff
	v_mul_f32_e32 v1, 0x5f7ffffc, v1
	v_mul_f32_e32 v2, 0x2f800000, v1
	s_delay_alu instid0(VALU_DEP_1) | instskip(NEXT) | instid1(VALU_DEP_1)
	v_trunc_f32_e32 v2, v2
	v_fmamk_f32 v1, v2, 0xcf800000, v1
	v_cvt_u32_f32_e32 v2, v2
	s_delay_alu instid0(VALU_DEP_2) | instskip(NEXT) | instid1(VALU_DEP_2)
	v_cvt_u32_f32_e32 v1, v1
	v_readfirstlane_b32 s2, v2
	s_delay_alu instid0(VALU_DEP_2) | instskip(NEXT) | instid1(VALU_DEP_2)
	v_readfirstlane_b32 s14, v1
	s_mul_i32 s25, s21, s2
	s_delay_alu instid0(VALU_DEP_1)
	s_mul_hi_u32 s27, s21, s14
	s_mul_i32 s26, s24, s14
	s_add_i32 s25, s27, s25
	s_mul_i32 s28, s21, s14
	s_add_i32 s25, s25, s26
	s_mul_hi_u32 s27, s14, s28
	s_mul_hi_u32 s29, s2, s28
	s_mul_i32 s26, s2, s28
	s_mul_hi_u32 s28, s14, s25
	s_mul_i32 s14, s14, s25
	s_mul_hi_u32 s30, s2, s25
	s_add_u32 s14, s27, s14
	s_addc_u32 s27, 0, s28
	s_add_u32 s14, s14, s26
	s_mul_i32 s25, s2, s25
	s_addc_u32 s14, s27, s29
	s_addc_u32 s26, s30, 0
	s_add_u32 s14, s14, s25
	s_addc_u32 s25, 0, s26
	v_add_co_u32 v1, s14, v1, s14
	s_delay_alu instid0(VALU_DEP_1) | instskip(SKIP_1) | instid1(VALU_DEP_1)
	s_cmp_lg_u32 s14, 0
	s_addc_u32 s2, s2, s25
	v_readfirstlane_b32 s14, v1
	s_mul_i32 s25, s21, s2
	s_delay_alu instid0(VALU_DEP_1)
	s_mul_hi_u32 s26, s21, s14
	s_mul_i32 s24, s24, s14
	s_add_i32 s25, s26, s25
	s_mul_i32 s21, s21, s14
	s_add_i32 s25, s25, s24
	s_mul_hi_u32 s26, s2, s21
	s_mul_i32 s27, s2, s21
	s_mul_hi_u32 s21, s14, s21
	s_mul_hi_u32 s28, s14, s25
	s_mul_i32 s14, s14, s25
	s_mul_hi_u32 s24, s2, s25
	s_add_u32 s14, s21, s14
	s_addc_u32 s21, 0, s28
	s_add_u32 s14, s14, s27
	s_mul_i32 s25, s2, s25
	s_addc_u32 s14, s21, s26
	s_addc_u32 s21, s24, 0
	s_add_u32 s14, s14, s25
	s_addc_u32 s21, 0, s21
	v_add_co_u32 v1, s14, v1, s14
	s_delay_alu instid0(VALU_DEP_1) | instskip(SKIP_1) | instid1(VALU_DEP_1)
	s_cmp_lg_u32 s14, 0
	s_addc_u32 s2, s2, s21
	v_readfirstlane_b32 s14, v1
	s_mul_i32 s21, s15, s2
	s_mul_hi_u32 s2, s15, s2
	s_delay_alu instid0(VALU_DEP_1) | instskip(NEXT) | instid1(SALU_CYCLE_1)
	s_mul_hi_u32 s14, s15, s14
	s_add_u32 s14, s14, s21
	s_addc_u32 s2, 0, s2
	s_add_u32 s14, s14, 0
	s_addc_u32 s2, s2, 0
	s_addc_u32 s14, 0, 0
	s_add_u32 s2, s2, 0
	s_addc_u32 s14, 0, s14
	s_mul_hi_u32 s21, s22, s2
	s_mul_i32 s25, s22, s14
	s_mul_i32 s26, s22, s2
	s_add_i32 s21, s21, s25
	v_sub_co_u32 v1, s25, s15, s26
	s_mul_i32 s24, s23, s2
	s_delay_alu instid0(SALU_CYCLE_1) | instskip(NEXT) | instid1(VALU_DEP_1)
	s_add_i32 s21, s21, s24
	v_sub_co_u32 v2, s26, v1, s22
	s_sub_i32 s24, 0, s21
	s_cmp_lg_u32 s25, 0
	s_subb_u32 s24, s24, s23
	s_cmp_lg_u32 s26, 0
	v_readfirstlane_b32 s26, v2
	s_subb_u32 s24, s24, 0
	s_delay_alu instid0(SALU_CYCLE_1) | instskip(SKIP_1) | instid1(VALU_DEP_1)
	s_cmp_ge_u32 s24, s23
	s_cselect_b32 s27, -1, 0
	s_cmp_ge_u32 s26, s22
	s_cselect_b32 s26, -1, 0
	s_cmp_eq_u32 s24, s23
	s_cselect_b32 s24, s26, s27
	s_add_u32 s26, s2, 1
	s_addc_u32 s27, s14, 0
	s_add_u32 s28, s2, 2
	s_addc_u32 s29, s14, 0
	s_cmp_lg_u32 s24, 0
	s_cselect_b32 s24, s28, s26
	s_cselect_b32 s26, s29, s27
	s_cmp_lg_u32 s25, 0
	v_readfirstlane_b32 s25, v1
	s_subb_u32 s21, 0, s21
	s_delay_alu instid0(SALU_CYCLE_1) | instskip(SKIP_1) | instid1(VALU_DEP_1)
	s_cmp_ge_u32 s21, s23
	s_cselect_b32 s27, -1, 0
	s_cmp_ge_u32 s25, s22
	s_cselect_b32 s22, -1, 0
	s_cmp_eq_u32 s21, s23
	s_cselect_b32 s21, s22, s27
	s_delay_alu instid0(SALU_CYCLE_1) | instskip(SKIP_2) | instid1(SALU_CYCLE_1)
	s_cmp_lg_u32 s21, 0
	s_cselect_b32 s23, s26, s14
	s_cselect_b32 s22, s24, s2
	s_xor_b64 s[22:23], s[22:23], s[16:17]
	s_delay_alu instid0(SALU_CYCLE_1)
	s_sub_u32 s22, s22, s16
	s_subb_u32 s23, s23, s16
	s_load_b64 s[16:17], s[0:1], 0x38
	s_and_not1_b32 vcc_lo, exec_lo, s20
	s_cbranch_vccnz .LBB113_7
.LBB113_6:
	v_cvt_f32_u32_e32 v1, s8
	s_sub_i32 s14, 0, s8
	s_mov_b32 s23, 0
	s_delay_alu instid0(VALU_DEP_1) | instskip(SKIP_2) | instid1(VALU_DEP_1)
	v_rcp_iflag_f32_e32 v1, v1
	s_waitcnt_depctr 0xfff
	v_mul_f32_e32 v1, 0x4f7ffffe, v1
	v_cvt_u32_f32_e32 v1, v1
	s_delay_alu instid0(VALU_DEP_1) | instskip(NEXT) | instid1(VALU_DEP_1)
	v_readfirstlane_b32 s2, v1
	s_mul_i32 s14, s14, s2
	s_delay_alu instid0(SALU_CYCLE_1) | instskip(NEXT) | instid1(SALU_CYCLE_1)
	s_mul_hi_u32 s14, s2, s14
	s_add_i32 s2, s2, s14
	s_delay_alu instid0(SALU_CYCLE_1) | instskip(NEXT) | instid1(SALU_CYCLE_1)
	s_mul_hi_u32 s2, s15, s2
	s_mul_i32 s14, s2, s8
	s_add_i32 s20, s2, 1
	s_sub_i32 s14, s15, s14
	s_delay_alu instid0(SALU_CYCLE_1)
	s_sub_i32 s21, s14, s8
	s_cmp_ge_u32 s14, s8
	s_cselect_b32 s2, s20, s2
	s_cselect_b32 s14, s21, s14
	s_add_i32 s20, s2, 1
	s_cmp_ge_u32 s14, s8
	s_cselect_b32 s22, s20, s2
.LBB113_7:
	s_delay_alu instid0(SALU_CYCLE_1)
	s_mul_i32 s2, s22, s9
	s_mul_hi_u32 s9, s22, s8
	s_load_b32 s24, s[0:1], 0x0
	s_add_i32 s2, s9, s2
	s_mul_i32 s9, s23, s8
	s_mul_i32 s8, s22, s8
	s_add_i32 s9, s2, s9
	s_sub_u32 s14, s15, s8
	s_subb_u32 s15, 0, s9
	v_mov_b32_e32 v1, 0
	s_lshl_b64 s[14:15], s[14:15], 3
	s_waitcnt lgkmcnt(0)
	s_add_u32 s14, s18, s14
	s_addc_u32 s15, s19, s15
	s_load_b64 s[18:19], s[14:15], 0x0
	s_load_b64 s[20:21], s[0:1], 0x40
	s_waitcnt lgkmcnt(0)
	s_lshl_b64 s[14:15], s[18:19], 3
	s_delay_alu instid0(SALU_CYCLE_1)
	s_add_u32 s12, s12, s14
	s_addc_u32 s13, s13, s15
	s_lshl_b64 s[22:23], s[22:23], 10
	s_load_b128 s[12:15], s[12:13], 0x0
	v_or_b32_e32 v2, s22, v0
	v_mov_b32_e32 v3, s23
	s_mul_i32 s22, s19, s20
	s_mul_i32 s23, s18, s21
	s_cmpk_lg_i32 s24, 0x71
	s_delay_alu instid0(VALU_DEP_1) | instskip(SKIP_1) | instid1(VALU_DEP_2)
	v_mad_u64_u32 v[6:7], null, s18, s20, v[2:3]
	v_cmp_gt_i64_e64 s2, s[10:11], v[2:3]
	v_add3_u32 v7, s23, s22, v7
	s_cbranch_scc0 .LBB113_53
; %bb.8:
	v_mov_b32_e32 v8, v1
	v_mov_b32_e32 v9, v1
	s_mov_b32 s22, 0
	s_and_saveexec_b32 s10, s2
	s_cbranch_execz .LBB113_10
; %bb.9:
	v_lshlrev_b64 v[4:5], 3, v[6:7]
	s_delay_alu instid0(VALU_DEP_1) | instskip(NEXT) | instid1(VALU_DEP_2)
	v_add_co_u32 v4, vcc_lo, s16, v4
	v_add_co_ci_u32_e32 v5, vcc_lo, s17, v5, vcc_lo
	global_load_b64 v[4:5], v[4:5], off
	s_waitcnt vmcnt(0)
	v_mul_f32_e64 v9, v5, -s3
	s_delay_alu instid0(VALU_DEP_1) | instskip(NEXT) | instid1(VALU_DEP_1)
	v_dual_mul_f32 v8, s7, v5 :: v_dual_fmac_f32 v9, s7, v4
	v_fmac_f32_e32 v8, s3, v4
.LBB113_10:
	s_or_b32 exec_lo, exec_lo, s10
	s_load_b64 s[10:11], s[0:1], 0x48
	s_and_not1_b32 vcc_lo, exec_lo, s22
	s_cbranch_vccz .LBB113_54
; %bb.11:
	s_waitcnt lgkmcnt(0)
	v_cmp_ge_i64_e64 s3, s[12:13], s[14:15]
	s_delay_alu instid0(VALU_DEP_1)
	s_and_b32 vcc_lo, exec_lo, s3
	v_cmp_eq_u32_e64 s3, 0, v0
	s_cbranch_vccnz .LBB113_57
.LBB113_12:
	s_clause 0x1
	s_load_b128 s[24:27], s[0:1], 0x28
	s_load_b64 s[22:23], s[0:1], 0x58
	v_dual_mov_b32 v19, 1.0 :: v_dual_lshlrev_b32 v10, 3, v0
	s_lshl_b64 s[0:1], s[8:9], 2
	v_lshlrev_b64 v[2:3], 3, v[2:3]
	s_add_u32 s7, s10, s0
	s_addc_u32 s28, s11, s1
	s_sub_u32 s12, s12, s4
	s_subb_u32 s13, s13, 0
	s_sub_u32 s14, s14, s4
	v_add_co_u32 v11, vcc_lo, s16, v2
	s_subb_u32 s15, s15, 0
	v_add_co_ci_u32_e32 v12, vcc_lo, s17, v3, vcc_lo
	v_or_b32_e32 v17, 0x2000, v10
	s_cmp_eq_u32 s6, 0
	v_mov_b32_e32 v18, 0
	v_mov_b32_e32 v20, 0
	s_waitcnt lgkmcnt(0)
	v_add_co_u32 v13, s0, s24, v10
	s_delay_alu instid0(VALU_DEP_1) | instskip(SKIP_1) | instid1(VALU_DEP_1)
	v_add_co_ci_u32_e64 v14, null, s25, 0, s0
	v_add_co_u32 v15, s0, s26, v10
	v_add_co_ci_u32_e64 v16, null, s27, 0, s0
	s_cselect_b32 s29, -1, 0
	s_add_u32 s24, s18, s4
	s_addc_u32 s25, s19, 0
	s_mov_b64 s[26:27], s[12:13]
	s_branch .LBB113_15
.LBB113_13:                             ;   in Loop: Header=BB113_15 Depth=1
	s_add_u32 s26, s26, 1
	s_addc_u32 s27, s27, 0
	s_delay_alu instid0(SALU_CYCLE_1)
	v_cmp_ge_i64_e64 s1, s[26:27], s[14:15]
.LBB113_14:                             ;   in Loop: Header=BB113_15 Depth=1
	v_dual_mov_b32 v8, v23 :: v_dual_mov_b32 v9, v24
	v_dual_mov_b32 v20, v4 :: v_dual_mov_b32 v19, v5
	s_delay_alu instid0(VALU_DEP_3)
	s_and_not1_b32 vcc_lo, exec_lo, s1
	s_cbranch_vccz .LBB113_58
.LBB113_15:                             ; =>This Loop Header: Depth=1
                                        ;     Child Loop BB113_44 Depth 2
	s_sub_i32 s0, s26, s12
	s_delay_alu instid0(SALU_CYCLE_1) | instskip(NEXT) | instid1(SALU_CYCLE_1)
	s_and_b32 s0, s0, 0x3ff
	s_cmp_lg_u32 s0, 0
	s_cbranch_scc1 .LBB113_19
; %bb.16:                               ;   in Loop: Header=BB113_15 Depth=1
	v_dual_mov_b32 v4, -1 :: v_dual_mov_b32 v3, 0
	v_dual_mov_b32 v5, -1 :: v_dual_mov_b32 v2, -1.0
	s_sub_u32 s30, s14, s26
	s_subb_u32 s31, s15, s27
	s_mov_b32 s1, exec_lo
	v_cmpx_gt_i64_e64 s[30:31], v[0:1]
	s_cbranch_execz .LBB113_18
; %bb.17:                               ;   in Loop: Header=BB113_15 Depth=1
	s_lshl_b64 s[30:31], s[26:27], 3
	s_delay_alu instid0(SALU_CYCLE_1)
	v_add_co_u32 v2, vcc_lo, v13, s30
	v_add_co_ci_u32_e32 v3, vcc_lo, s31, v14, vcc_lo
	global_load_b64 v[4:5], v[2:3], off
	v_add_co_u32 v2, vcc_lo, v15, s30
	v_add_co_ci_u32_e32 v3, vcc_lo, s31, v16, vcc_lo
	global_load_b64 v[2:3], v[2:3], off
	s_waitcnt vmcnt(1)
	v_sub_co_u32 v4, vcc_lo, v4, s4
	v_subrev_co_ci_u32_e32 v5, vcc_lo, 0, v5, vcc_lo
.LBB113_18:                             ;   in Loop: Header=BB113_15 Depth=1
	s_or_b32 exec_lo, exec_lo, s1
	ds_store_b64 v10, v[4:5]
	s_waitcnt vmcnt(0)
	ds_store_b64 v17, v[2:3]
.LBB113_19:                             ;   in Loop: Header=BB113_15 Depth=1
	s_lshl_b32 s0, s0, 3
	s_waitcnt lgkmcnt(0)
	v_mov_b32_e32 v2, s0
	s_waitcnt_vscnt null, 0x0
	s_barrier
	buffer_gl0_inv
	ds_load_2addr_stride64_b64 v[2:5], v2 offset1:16
	s_waitcnt lgkmcnt(0)
	v_cmp_eq_f32_e32 vcc_lo, 0, v4
	v_cmp_eq_f32_e64 s1, 0, v5
	v_cmp_eq_u64_e64 s0, s[18:19], v[2:3]
	v_cmp_ne_u64_e64 s13, s[18:19], v[2:3]
	s_delay_alu instid0(VALU_DEP_3)
	s_and_b32 s1, vcc_lo, s1
	s_delay_alu instid0(VALU_DEP_2) | instid1(SALU_CYCLE_1)
	s_and_b32 s1, s1, s0
	s_delay_alu instid0(SALU_CYCLE_1) | instskip(NEXT) | instid1(SALU_CYCLE_1)
	s_and_b32 s1, s29, s1
	v_cndmask_b32_e64 v21, v5, 0, s1
	v_cndmask_b32_e64 v22, v4, 1.0, s1
	s_and_b32 s30, s3, s1
	s_delay_alu instid0(SALU_CYCLE_1)
	s_and_saveexec_b32 s1, s30
	s_cbranch_execz .LBB113_23
; %bb.20:                               ;   in Loop: Header=BB113_15 Depth=1
	v_mbcnt_lo_u32_b32 v4, exec_lo, 0
	s_mov_b32 s30, exec_lo
	s_delay_alu instid0(VALU_DEP_1)
	v_cmpx_eq_u32_e32 0, v4
	s_cbranch_execz .LBB113_22
; %bb.21:                               ;   in Loop: Header=BB113_15 Depth=1
	v_dual_mov_b32 v4, s24 :: v_dual_mov_b32 v5, s25
	global_atomic_min_u64 v18, v[4:5], s[22:23]
.LBB113_22:                             ;   in Loop: Header=BB113_15 Depth=1
	s_or_b32 exec_lo, exec_lo, s30
	v_dual_mov_b32 v21, 0 :: v_dual_mov_b32 v22, 1.0
.LBB113_23:                             ;   in Loop: Header=BB113_15 Depth=1
	s_or_b32 exec_lo, exec_lo, s1
	s_cmp_lt_i32 s5, 1
	s_mov_b32 s1, 0
	s_cbranch_scc1 .LBB113_29
; %bb.24:                               ;   in Loop: Header=BB113_15 Depth=1
	s_cmp_eq_u32 s5, 1
	s_cbranch_scc0 .LBB113_30
; %bb.25:                               ;   in Loop: Header=BB113_15 Depth=1
	v_cmp_le_i64_e32 vcc_lo, s[18:19], v[2:3]
	v_dual_mov_b32 v4, v20 :: v_dual_mov_b32 v5, v19
	s_mov_b32 s30, 0
	s_cbranch_vccz .LBB113_32
; %bb.26:                               ;   in Loop: Header=BB113_15 Depth=1
	s_and_b32 vcc_lo, exec_lo, s0
	s_cbranch_vccz .LBB113_31
; %bb.27:                               ;   in Loop: Header=BB113_15 Depth=1
	v_dual_mov_b32 v4, v20 :: v_dual_mov_b32 v5, v19
	s_and_not1_b32 vcc_lo, exec_lo, s29
	s_cbranch_vccnz .LBB113_32
; %bb.28:                               ;   in Loop: Header=BB113_15 Depth=1
	v_mul_f32_e32 v4, v21, v21
	s_delay_alu instid0(VALU_DEP_1) | instskip(NEXT) | instid1(VALU_DEP_1)
	v_fmac_f32_e32 v4, v22, v22
	v_div_scale_f32 v5, null, v4, v4, 1.0
	v_div_scale_f32 v25, vcc_lo, 1.0, v4, 1.0
	s_delay_alu instid0(VALU_DEP_2) | instskip(SKIP_2) | instid1(VALU_DEP_1)
	v_rcp_f32_e32 v23, v5
	s_waitcnt_depctr 0xfff
	v_fma_f32 v24, -v5, v23, 1.0
	v_fmac_f32_e32 v23, v24, v23
	s_delay_alu instid0(VALU_DEP_1) | instskip(NEXT) | instid1(VALU_DEP_1)
	v_mul_f32_e32 v24, v25, v23
	v_fma_f32 v26, -v5, v24, v25
	s_delay_alu instid0(VALU_DEP_1) | instskip(NEXT) | instid1(VALU_DEP_1)
	v_fmac_f32_e32 v24, v26, v23
	v_fma_f32 v5, -v5, v24, v25
	s_delay_alu instid0(VALU_DEP_1) | instskip(SKIP_2) | instid1(VALU_DEP_3)
	v_div_fmas_f32 v5, v5, v23, v24
	v_fma_f32 v23, 0, v21, v22
	v_fma_f32 v24, v22, 0, -v21
	v_div_fixup_f32 v4, v5, v4, 1.0
	s_delay_alu instid0(VALU_DEP_1) | instskip(NEXT) | instid1(VALU_DEP_3)
	v_mul_f32_e32 v5, v23, v4
	v_mul_f32_e32 v4, v24, v4
	s_branch .LBB113_32
.LBB113_29:                             ;   in Loop: Header=BB113_15 Depth=1
	s_mov_b32 s30, 0
                                        ; implicit-def: $sgpr0
                                        ; implicit-def: $vgpr23
                                        ; implicit-def: $vgpr24
                                        ; implicit-def: $vgpr4
                                        ; implicit-def: $vgpr5
	s_cbranch_execnz .LBB113_33
	s_branch .LBB113_35
.LBB113_30:                             ;   in Loop: Header=BB113_15 Depth=1
	s_mov_b32 s30, -1
                                        ; implicit-def: $sgpr0
                                        ; implicit-def: $vgpr23
                                        ; implicit-def: $vgpr24
                                        ; implicit-def: $vgpr4
                                        ; implicit-def: $vgpr5
	s_branch .LBB113_35
.LBB113_31:                             ;   in Loop: Header=BB113_15 Depth=1
	s_mov_b32 s30, -1
                                        ; implicit-def: $vgpr4
                                        ; implicit-def: $vgpr5
.LBB113_32:                             ;   in Loop: Header=BB113_15 Depth=1
	v_dual_mov_b32 v23, v8 :: v_dual_mov_b32 v24, v9
	s_mov_b32 s0, 4
	s_branch .LBB113_35
.LBB113_33:                             ;   in Loop: Header=BB113_15 Depth=1
	s_cmp_eq_u32 s5, 0
	s_cbranch_scc1 .LBB113_39
; %bb.34:                               ;   in Loop: Header=BB113_15 Depth=1
	s_mov_b32 s30, -1
                                        ; implicit-def: $sgpr0
                                        ; implicit-def: $vgpr23
                                        ; implicit-def: $vgpr24
                                        ; implicit-def: $vgpr4
                                        ; implicit-def: $vgpr5
.LBB113_35:                             ;   in Loop: Header=BB113_15 Depth=1
	s_delay_alu instid0(SALU_CYCLE_1)
	s_and_b32 vcc_lo, exec_lo, s30
	s_cbranch_vccnz .LBB113_42
.LBB113_36:                             ;   in Loop: Header=BB113_15 Depth=1
	s_and_b32 vcc_lo, exec_lo, s1
	s_cbranch_vccnz .LBB113_48
.LBB113_37:                             ;   in Loop: Header=BB113_15 Depth=1
	s_cmp_gt_i32 s0, 3
	s_mov_b32 s1, -1
	s_cbranch_scc1 .LBB113_51
.LBB113_38:                             ;   in Loop: Header=BB113_15 Depth=1
	s_cmp_eq_u32 s0, 0
	s_cselect_b32 s0, -1, 0
	s_delay_alu instid0(SALU_CYCLE_1)
	s_and_not1_b32 vcc_lo, exec_lo, s0
	s_cbranch_vccz .LBB113_13
	s_branch .LBB113_52
.LBB113_39:                             ;   in Loop: Header=BB113_15 Depth=1
	v_cmp_ge_i64_e32 vcc_lo, s[18:19], v[2:3]
	s_mov_b32 s30, 0
	s_cbranch_vccz .LBB113_41
; %bb.40:                               ;   in Loop: Header=BB113_15 Depth=1
	s_mov_b32 s1, -1
	s_mov_b32 s30, s13
.LBB113_41:                             ;   in Loop: Header=BB113_15 Depth=1
	v_dual_mov_b32 v23, v8 :: v_dual_mov_b32 v24, v9
	v_dual_mov_b32 v4, v20 :: v_dual_mov_b32 v5, v19
	s_mov_b32 s0, 2
	s_and_b32 vcc_lo, exec_lo, s30
	s_cbranch_vccz .LBB113_36
.LBB113_42:                             ;   in Loop: Header=BB113_15 Depth=1
	s_and_saveexec_b32 s0, s3
	s_cbranch_execz .LBB113_45
; %bb.43:                               ;   in Loop: Header=BB113_15 Depth=1
	v_lshlrev_b64 v[4:5], 2, v[2:3]
	s_delay_alu instid0(VALU_DEP_1) | instskip(NEXT) | instid1(VALU_DEP_2)
	v_add_co_u32 v4, vcc_lo, s7, v4
	v_add_co_ci_u32_e32 v5, vcc_lo, s28, v5, vcc_lo
	global_load_b32 v23, v[4:5], off glc
	s_waitcnt vmcnt(0)
	v_cmp_ne_u32_e32 vcc_lo, 0, v23
	s_cbranch_vccnz .LBB113_45
.LBB113_44:                             ;   Parent Loop BB113_15 Depth=1
                                        ; =>  This Inner Loop Header: Depth=2
	global_load_b32 v23, v[4:5], off glc
	s_waitcnt vmcnt(0)
	v_cmp_eq_u32_e32 vcc_lo, 0, v23
	s_cbranch_vccnz .LBB113_44
.LBB113_45:                             ;   in Loop: Header=BB113_15 Depth=1
	s_or_b32 exec_lo, exec_lo, s0
	v_dual_mov_b32 v23, 0 :: v_dual_mov_b32 v24, 0
	s_mov_b32 s1, 0
	s_waitcnt_vscnt null, 0x0
	s_barrier
	buffer_gl0_inv
	buffer_gl1_inv
	buffer_gl0_inv
	s_and_saveexec_b32 s0, s2
	s_cbranch_execz .LBB113_47
; %bb.46:                               ;   in Loop: Header=BB113_15 Depth=1
	v_mul_lo_u32 v4, v2, s21
	v_mul_hi_u32 v5, v2, s20
	v_mul_lo_u32 v3, v3, s20
	v_mul_lo_u32 v2, v2, s20
	s_delay_alu instid0(VALU_DEP_3) | instskip(NEXT) | instid1(VALU_DEP_1)
	v_add_nc_u32_e32 v4, v5, v4
	v_add_nc_u32_e32 v3, v4, v3
	s_delay_alu instid0(VALU_DEP_1) | instskip(NEXT) | instid1(VALU_DEP_1)
	v_lshlrev_b64 v[2:3], 3, v[2:3]
	v_add_co_u32 v2, vcc_lo, v11, v2
	s_delay_alu instid0(VALU_DEP_2) | instskip(SKIP_4) | instid1(VALU_DEP_2)
	v_add_co_ci_u32_e32 v3, vcc_lo, v12, v3, vcc_lo
	global_load_b64 v[2:3], v[2:3], off
	s_waitcnt vmcnt(0)
	v_fma_f32 v24, -v22, v2, v9
	v_fma_f32 v2, -v21, v2, v8
	v_fmac_f32_e32 v24, v21, v3
	s_delay_alu instid0(VALU_DEP_2)
	v_fma_f32 v23, -v22, v3, v2
.LBB113_47:                             ;   in Loop: Header=BB113_15 Depth=1
	s_or_b32 exec_lo, exec_lo, s0
	v_dual_mov_b32 v4, v20 :: v_dual_mov_b32 v5, v19
	s_mov_b32 s0, 0
	s_and_b32 vcc_lo, exec_lo, s1
	s_cbranch_vccz .LBB113_37
.LBB113_48:                             ;   in Loop: Header=BB113_15 Depth=1
	s_and_not1_b32 vcc_lo, exec_lo, s29
	s_cbranch_vccnz .LBB113_50
; %bb.49:                               ;   in Loop: Header=BB113_15 Depth=1
	v_mul_f32_e32 v2, v21, v21
	s_delay_alu instid0(VALU_DEP_1) | instskip(NEXT) | instid1(VALU_DEP_1)
	v_fmac_f32_e32 v2, v22, v22
	v_div_scale_f32 v3, null, v2, v2, 1.0
	v_div_scale_f32 v19, vcc_lo, 1.0, v2, 1.0
	s_delay_alu instid0(VALU_DEP_2) | instskip(SKIP_2) | instid1(VALU_DEP_1)
	v_rcp_f32_e32 v4, v3
	s_waitcnt_depctr 0xfff
	v_fma_f32 v5, -v3, v4, 1.0
	v_fmac_f32_e32 v4, v5, v4
	s_delay_alu instid0(VALU_DEP_1) | instskip(NEXT) | instid1(VALU_DEP_1)
	v_mul_f32_e32 v5, v19, v4
	v_fma_f32 v20, -v3, v5, v19
	s_delay_alu instid0(VALU_DEP_1) | instskip(NEXT) | instid1(VALU_DEP_1)
	v_fmac_f32_e32 v5, v20, v4
	v_fma_f32 v3, -v3, v5, v19
	s_delay_alu instid0(VALU_DEP_1) | instskip(SKIP_1) | instid1(VALU_DEP_2)
	v_div_fmas_f32 v3, v3, v4, v5
	v_fma_f32 v4, 0, v21, v22
	v_div_fixup_f32 v2, v3, v2, 1.0
	v_fma_f32 v3, v22, 0, -v21
	s_delay_alu instid0(VALU_DEP_2) | instskip(NEXT) | instid1(VALU_DEP_2)
	v_mul_f32_e32 v19, v4, v2
	v_mul_f32_e32 v20, v3, v2
.LBB113_50:                             ;   in Loop: Header=BB113_15 Depth=1
	s_delay_alu instid0(VALU_DEP_1) | instskip(SKIP_2) | instid1(SALU_CYCLE_1)
	v_dual_mov_b32 v5, v19 :: v_dual_mov_b32 v4, v20
	v_dual_mov_b32 v24, v9 :: v_dual_mov_b32 v23, v8
	s_mov_b32 s0, 2
	s_cmp_gt_i32 s0, 3
	s_mov_b32 s1, -1
	s_cbranch_scc0 .LBB113_38
.LBB113_51:                             ;   in Loop: Header=BB113_15 Depth=1
	s_branch .LBB113_13
.LBB113_52:                             ;   in Loop: Header=BB113_15 Depth=1
                                        ; implicit-def: $sgpr26_sgpr27
	s_branch .LBB113_14
.LBB113_53:
                                        ; implicit-def: $vgpr8
                                        ; implicit-def: $vgpr9
	s_load_b64 s[10:11], s[0:1], 0x48
.LBB113_54:
	v_dual_mov_b32 v8, 0 :: v_dual_mov_b32 v9, 0
	s_delay_alu instid0(VALU_DEP_3)
	s_and_saveexec_b32 s22, s2
	s_cbranch_execz .LBB113_56
; %bb.55:
	v_lshlrev_b64 v[4:5], 3, v[6:7]
	s_delay_alu instid0(VALU_DEP_1) | instskip(NEXT) | instid1(VALU_DEP_2)
	v_add_co_u32 v4, vcc_lo, s16, v4
	v_add_co_ci_u32_e32 v5, vcc_lo, s17, v5, vcc_lo
	global_load_b64 v[4:5], v[4:5], off
	s_waitcnt vmcnt(0)
	v_mul_f32_e64 v8, s7, -v5
	s_delay_alu instid0(VALU_DEP_1) | instskip(NEXT) | instid1(VALU_DEP_1)
	v_dual_mul_f32 v9, s3, v5 :: v_dual_fmac_f32 v8, s3, v4
	v_fmac_f32_e32 v9, s7, v4
.LBB113_56:
	s_or_b32 exec_lo, exec_lo, s22
	s_waitcnt lgkmcnt(0)
	v_cmp_ge_i64_e64 s3, s[12:13], s[14:15]
	s_delay_alu instid0(VALU_DEP_1)
	s_and_b32 vcc_lo, exec_lo, s3
	v_cmp_eq_u32_e64 s3, 0, v0
	s_cbranch_vccz .LBB113_12
.LBB113_57:
	v_dual_mov_b32 v4, 0 :: v_dual_mov_b32 v5, 1.0
	s_and_saveexec_b32 s0, s2
	s_cbranch_execnz .LBB113_59
	s_branch .LBB113_60
.LBB113_58:
	v_dual_mov_b32 v8, v23 :: v_dual_mov_b32 v9, v24
	s_and_saveexec_b32 s0, s2
	s_cbranch_execz .LBB113_60
.LBB113_59:
	v_lshlrev_b64 v[1:2], 3, v[6:7]
	s_delay_alu instid0(VALU_DEP_2) | instskip(SKIP_2) | instid1(VALU_DEP_2)
	v_mul_f32_e32 v3, v4, v9
	v_mul_f32_e64 v10, v4, -v8
	s_cmp_eq_u32 s6, 0
	v_fmac_f32_e32 v3, v8, v5
	s_delay_alu instid0(VALU_DEP_2) | instskip(SKIP_3) | instid1(VALU_DEP_3)
	v_fmac_f32_e32 v10, v9, v5
	v_add_co_u32 v1, vcc_lo, s16, v1
	v_add_co_ci_u32_e32 v2, vcc_lo, s17, v2, vcc_lo
	s_cselect_b32 vcc_lo, -1, 0
	v_dual_cndmask_b32 v4, v8, v3 :: v_dual_cndmask_b32 v3, v9, v10
	global_store_b64 v[1:2], v[3:4], off
.LBB113_60:
	s_or_b32 exec_lo, exec_lo, s0
	s_waitcnt_vscnt null, 0x0
	buffer_gl1_inv
	buffer_gl0_inv
	s_barrier
	buffer_gl0_inv
	s_mov_b32 s0, exec_lo
	v_cmpx_eq_u32_e32 0, v0
	s_cbranch_execz .LBB113_62
; %bb.61:
	s_lshl_b64 s[0:1], s[18:19], 2
	v_dual_mov_b32 v0, 0 :: v_dual_mov_b32 v1, 1
	s_add_u32 s2, s10, s0
	s_addc_u32 s3, s11, s1
	s_lshl_b64 s[0:1], s[8:9], 2
	s_delay_alu instid0(SALU_CYCLE_1)
	s_add_u32 s0, s2, s0
	s_addc_u32 s1, s3, s1
	global_store_b32 v0, v1, s[0:1]
.LBB113_62:
	s_nop 0
	s_sendmsg sendmsg(MSG_DEALLOC_VGPRS)
	s_endpgm
.LBB113_63:
                                        ; implicit-def: $sgpr22_sgpr23
	s_load_b64 s[16:17], s[0:1], 0x38
	s_branch .LBB113_6
	.section	.rodata,"a",@progbits
	.p2align	6, 0x0
	.amdhsa_kernel _ZN9rocsparseL5csrsmILj1024ELj64ELb0Ell21rocsparse_complex_numIfEEEv20rocsparse_operation_T3_S4_NS_24const_host_device_scalarIT4_EEPKT2_PKS4_PKS6_PS6_lPiSC_PS4_21rocsparse_index_base_20rocsparse_fill_mode_20rocsparse_diag_type_b
		.amdhsa_group_segment_fixed_size 16384
		.amdhsa_private_segment_fixed_size 0
		.amdhsa_kernarg_size 112
		.amdhsa_user_sgpr_count 15
		.amdhsa_user_sgpr_dispatch_ptr 0
		.amdhsa_user_sgpr_queue_ptr 0
		.amdhsa_user_sgpr_kernarg_segment_ptr 1
		.amdhsa_user_sgpr_dispatch_id 0
		.amdhsa_user_sgpr_private_segment_size 0
		.amdhsa_wavefront_size32 1
		.amdhsa_uses_dynamic_stack 0
		.amdhsa_enable_private_segment 0
		.amdhsa_system_sgpr_workgroup_id_x 1
		.amdhsa_system_sgpr_workgroup_id_y 0
		.amdhsa_system_sgpr_workgroup_id_z 0
		.amdhsa_system_sgpr_workgroup_info 0
		.amdhsa_system_vgpr_workitem_id 0
		.amdhsa_next_free_vgpr 27
		.amdhsa_next_free_sgpr 32
		.amdhsa_reserve_vcc 1
		.amdhsa_float_round_mode_32 0
		.amdhsa_float_round_mode_16_64 0
		.amdhsa_float_denorm_mode_32 3
		.amdhsa_float_denorm_mode_16_64 3
		.amdhsa_dx10_clamp 1
		.amdhsa_ieee_mode 1
		.amdhsa_fp16_overflow 0
		.amdhsa_workgroup_processor_mode 1
		.amdhsa_memory_ordered 1
		.amdhsa_forward_progress 0
		.amdhsa_shared_vgpr_count 0
		.amdhsa_exception_fp_ieee_invalid_op 0
		.amdhsa_exception_fp_denorm_src 0
		.amdhsa_exception_fp_ieee_div_zero 0
		.amdhsa_exception_fp_ieee_overflow 0
		.amdhsa_exception_fp_ieee_underflow 0
		.amdhsa_exception_fp_ieee_inexact 0
		.amdhsa_exception_int_div_zero 0
	.end_amdhsa_kernel
	.section	.text._ZN9rocsparseL5csrsmILj1024ELj64ELb0Ell21rocsparse_complex_numIfEEEv20rocsparse_operation_T3_S4_NS_24const_host_device_scalarIT4_EEPKT2_PKS4_PKS6_PS6_lPiSC_PS4_21rocsparse_index_base_20rocsparse_fill_mode_20rocsparse_diag_type_b,"axG",@progbits,_ZN9rocsparseL5csrsmILj1024ELj64ELb0Ell21rocsparse_complex_numIfEEEv20rocsparse_operation_T3_S4_NS_24const_host_device_scalarIT4_EEPKT2_PKS4_PKS6_PS6_lPiSC_PS4_21rocsparse_index_base_20rocsparse_fill_mode_20rocsparse_diag_type_b,comdat
.Lfunc_end113:
	.size	_ZN9rocsparseL5csrsmILj1024ELj64ELb0Ell21rocsparse_complex_numIfEEEv20rocsparse_operation_T3_S4_NS_24const_host_device_scalarIT4_EEPKT2_PKS4_PKS6_PS6_lPiSC_PS4_21rocsparse_index_base_20rocsparse_fill_mode_20rocsparse_diag_type_b, .Lfunc_end113-_ZN9rocsparseL5csrsmILj1024ELj64ELb0Ell21rocsparse_complex_numIfEEEv20rocsparse_operation_T3_S4_NS_24const_host_device_scalarIT4_EEPKT2_PKS4_PKS6_PS6_lPiSC_PS4_21rocsparse_index_base_20rocsparse_fill_mode_20rocsparse_diag_type_b
                                        ; -- End function
	.section	.AMDGPU.csdata,"",@progbits
; Kernel info:
; codeLenInByte = 2816
; NumSgprs: 34
; NumVgprs: 27
; ScratchSize: 0
; MemoryBound: 0
; FloatMode: 240
; IeeeMode: 1
; LDSByteSize: 16384 bytes/workgroup (compile time only)
; SGPRBlocks: 4
; VGPRBlocks: 3
; NumSGPRsForWavesPerEU: 34
; NumVGPRsForWavesPerEU: 27
; Occupancy: 16
; WaveLimiterHint : 1
; COMPUTE_PGM_RSRC2:SCRATCH_EN: 0
; COMPUTE_PGM_RSRC2:USER_SGPR: 15
; COMPUTE_PGM_RSRC2:TRAP_HANDLER: 0
; COMPUTE_PGM_RSRC2:TGID_X_EN: 1
; COMPUTE_PGM_RSRC2:TGID_Y_EN: 0
; COMPUTE_PGM_RSRC2:TGID_Z_EN: 0
; COMPUTE_PGM_RSRC2:TIDIG_COMP_CNT: 0
	.section	.text._ZN9rocsparseL5csrsmILj64ELj64ELb1Ell21rocsparse_complex_numIdEEEv20rocsparse_operation_T3_S4_NS_24const_host_device_scalarIT4_EEPKT2_PKS4_PKS6_PS6_lPiSC_PS4_21rocsparse_index_base_20rocsparse_fill_mode_20rocsparse_diag_type_b,"axG",@progbits,_ZN9rocsparseL5csrsmILj64ELj64ELb1Ell21rocsparse_complex_numIdEEEv20rocsparse_operation_T3_S4_NS_24const_host_device_scalarIT4_EEPKT2_PKS4_PKS6_PS6_lPiSC_PS4_21rocsparse_index_base_20rocsparse_fill_mode_20rocsparse_diag_type_b,comdat
	.globl	_ZN9rocsparseL5csrsmILj64ELj64ELb1Ell21rocsparse_complex_numIdEEEv20rocsparse_operation_T3_S4_NS_24const_host_device_scalarIT4_EEPKT2_PKS4_PKS6_PS6_lPiSC_PS4_21rocsparse_index_base_20rocsparse_fill_mode_20rocsparse_diag_type_b ; -- Begin function _ZN9rocsparseL5csrsmILj64ELj64ELb1Ell21rocsparse_complex_numIdEEEv20rocsparse_operation_T3_S4_NS_24const_host_device_scalarIT4_EEPKT2_PKS4_PKS6_PS6_lPiSC_PS4_21rocsparse_index_base_20rocsparse_fill_mode_20rocsparse_diag_type_b
	.p2align	8
	.type	_ZN9rocsparseL5csrsmILj64ELj64ELb1Ell21rocsparse_complex_numIdEEEv20rocsparse_operation_T3_S4_NS_24const_host_device_scalarIT4_EEPKT2_PKS4_PKS6_PS6_lPiSC_PS4_21rocsparse_index_base_20rocsparse_fill_mode_20rocsparse_diag_type_b,@function
_ZN9rocsparseL5csrsmILj64ELj64ELb1Ell21rocsparse_complex_numIdEEEv20rocsparse_operation_T3_S4_NS_24const_host_device_scalarIT4_EEPKT2_PKS4_PKS6_PS6_lPiSC_PS4_21rocsparse_index_base_20rocsparse_fill_mode_20rocsparse_diag_type_b: ; @_ZN9rocsparseL5csrsmILj64ELj64ELb1Ell21rocsparse_complex_numIdEEEv20rocsparse_operation_T3_S4_NS_24const_host_device_scalarIT4_EEPKT2_PKS4_PKS6_PS6_lPiSC_PS4_21rocsparse_index_base_20rocsparse_fill_mode_20rocsparse_diag_type_b
; %bb.0:
	s_load_b64 s[0:1], s[0:1], 0x4
	s_clause 0x1
	s_load_b128 s[16:19], s[2:3], 0x68
	s_load_b256 s[4:11], s[2:3], 0x8
	v_bfe_u32 v1, v0, 10, 10
	v_and_b32_e32 v8, 0x3ff, v0
	v_bfe_u32 v0, v0, 20, 10
	s_waitcnt lgkmcnt(0)
	s_delay_alu instid0(VALU_DEP_3)
	v_mul_u32_u24_e32 v1, s1, v1
	s_lshr_b32 s0, s0, 16
	v_mov_b32_e32 v2, s8
	s_mul_i32 s0, s0, s1
	v_mov_b32_e32 v3, s9
	v_mad_u32_u24 v1, s0, v8, v1
	s_and_b32 s0, 1, s19
	v_dual_mov_b32 v6, s10 :: v_dual_mov_b32 v7, s11
	s_cmp_eq_u32 s0, 1
	s_delay_alu instid0(VALU_DEP_2) | instskip(SKIP_2) | instid1(VALU_DEP_1)
	v_add_lshl_u32 v4, v1, v0, 3
	s_cselect_b32 vcc_lo, -1, 0
	s_mov_b64 s[0:1], src_shared_base
	v_add_nc_u32_e32 v0, 0x600, v4
	ds_store_b64 v4, v[2:3] offset:1536
	v_cndmask_b32_e32 v0, s8, v0, vcc_lo
	s_and_b32 vcc_lo, exec_lo, vcc_lo
	s_cselect_b32 s0, s1, s9
	s_delay_alu instid0(SALU_CYCLE_1)
	v_mov_b32_e32 v1, s0
	flat_load_b64 v[4:5], v[0:1]
	s_cbranch_vccnz .LBB114_2
; %bb.1:
	v_dual_mov_b32 v0, s8 :: v_dual_mov_b32 v1, s9
	flat_load_b64 v[6:7], v[0:1] offset:8
.LBB114_2:
	s_clause 0x1
	s_load_b64 s[8:9], s[2:3], 0x58
	s_load_b64 s[0:1], s[2:3], 0x28
	s_mov_b32 s10, 0
	s_mov_b32 s11, s5
	s_delay_alu instid0(SALU_CYCLE_1)
	s_cmp_lg_u64 s[10:11], 0
	s_cbranch_scc0 .LBB114_66
; %bb.3:
	s_ashr_i32 s12, s5, 31
	s_delay_alu instid0(SALU_CYCLE_1) | instskip(SKIP_2) | instid1(SALU_CYCLE_1)
	s_add_u32 s20, s4, s12
	s_mov_b32 s13, s12
	s_addc_u32 s21, s5, s12
	s_xor_b64 s[20:21], s[20:21], s[12:13]
	s_delay_alu instid0(SALU_CYCLE_1) | instskip(SKIP_3) | instid1(VALU_DEP_1)
	v_cvt_f32_u32_e32 v0, s20
	v_cvt_f32_u32_e32 v1, s21
	s_sub_u32 s19, 0, s20
	s_subb_u32 s22, 0, s21
	v_fmamk_f32 v0, v1, 0x4f800000, v0
	s_delay_alu instid0(VALU_DEP_1) | instskip(SKIP_2) | instid1(VALU_DEP_1)
	v_rcp_f32_e32 v0, v0
	s_waitcnt_depctr 0xfff
	v_mul_f32_e32 v0, 0x5f7ffffc, v0
	v_mul_f32_e32 v1, 0x2f800000, v0
	s_delay_alu instid0(VALU_DEP_1) | instskip(NEXT) | instid1(VALU_DEP_1)
	v_trunc_f32_e32 v1, v1
	v_fmamk_f32 v0, v1, 0xcf800000, v0
	v_cvt_u32_f32_e32 v1, v1
	s_delay_alu instid0(VALU_DEP_2) | instskip(NEXT) | instid1(VALU_DEP_2)
	v_cvt_u32_f32_e32 v0, v0
	v_readfirstlane_b32 s11, v1
	s_delay_alu instid0(VALU_DEP_2) | instskip(NEXT) | instid1(VALU_DEP_2)
	v_readfirstlane_b32 s14, v0
	s_mul_i32 s23, s19, s11
	s_delay_alu instid0(VALU_DEP_1)
	s_mul_hi_u32 s25, s19, s14
	s_mul_i32 s24, s22, s14
	s_add_i32 s23, s25, s23
	s_mul_i32 s26, s19, s14
	s_add_i32 s23, s23, s24
	s_mul_hi_u32 s25, s14, s26
	s_mul_hi_u32 s27, s11, s26
	s_mul_i32 s24, s11, s26
	s_mul_hi_u32 s26, s14, s23
	s_mul_i32 s14, s14, s23
	s_mul_hi_u32 s28, s11, s23
	s_add_u32 s14, s25, s14
	s_addc_u32 s25, 0, s26
	s_add_u32 s14, s14, s24
	s_mul_i32 s23, s11, s23
	s_addc_u32 s14, s25, s27
	s_addc_u32 s24, s28, 0
	s_add_u32 s14, s14, s23
	s_addc_u32 s23, 0, s24
	v_add_co_u32 v0, s14, v0, s14
	s_delay_alu instid0(VALU_DEP_1) | instskip(SKIP_1) | instid1(VALU_DEP_1)
	s_cmp_lg_u32 s14, 0
	s_addc_u32 s11, s11, s23
	v_readfirstlane_b32 s14, v0
	s_mul_i32 s23, s19, s11
	s_delay_alu instid0(VALU_DEP_1)
	s_mul_hi_u32 s24, s19, s14
	s_mul_i32 s22, s22, s14
	s_add_i32 s23, s24, s23
	s_mul_i32 s19, s19, s14
	s_add_i32 s23, s23, s22
	s_mul_hi_u32 s24, s11, s19
	s_mul_i32 s25, s11, s19
	s_mul_hi_u32 s19, s14, s19
	s_mul_hi_u32 s26, s14, s23
	s_mul_i32 s14, s14, s23
	s_mul_hi_u32 s22, s11, s23
	s_add_u32 s14, s19, s14
	s_addc_u32 s19, 0, s26
	s_add_u32 s14, s14, s25
	s_mul_i32 s23, s11, s23
	s_addc_u32 s14, s19, s24
	s_addc_u32 s19, s22, 0
	s_add_u32 s14, s14, s23
	s_addc_u32 s19, 0, s19
	v_add_co_u32 v0, s14, v0, s14
	s_delay_alu instid0(VALU_DEP_1) | instskip(SKIP_1) | instid1(VALU_DEP_1)
	s_cmp_lg_u32 s14, 0
	s_addc_u32 s11, s11, s19
	v_readfirstlane_b32 s14, v0
	s_mul_i32 s19, s15, s11
	s_mul_hi_u32 s11, s15, s11
	s_delay_alu instid0(VALU_DEP_1) | instskip(NEXT) | instid1(SALU_CYCLE_1)
	s_mul_hi_u32 s14, s15, s14
	s_add_u32 s14, s14, s19
	s_addc_u32 s11, 0, s11
	s_add_u32 s14, s14, 0
	s_addc_u32 s11, s11, 0
	s_addc_u32 s14, 0, 0
	s_add_u32 s11, s11, 0
	s_addc_u32 s14, 0, s14
	s_mul_hi_u32 s19, s20, s11
	s_mul_i32 s23, s20, s14
	s_mul_i32 s24, s20, s11
	s_add_i32 s19, s19, s23
	v_sub_co_u32 v0, s23, s15, s24
	s_mul_i32 s22, s21, s11
	s_delay_alu instid0(SALU_CYCLE_1) | instskip(NEXT) | instid1(VALU_DEP_1)
	s_add_i32 s19, s19, s22
	v_sub_co_u32 v1, s24, v0, s20
	s_sub_i32 s22, 0, s19
	s_cmp_lg_u32 s23, 0
	s_subb_u32 s22, s22, s21
	s_cmp_lg_u32 s24, 0
	v_readfirstlane_b32 s24, v1
	s_subb_u32 s22, s22, 0
	s_delay_alu instid0(SALU_CYCLE_1) | instskip(SKIP_1) | instid1(VALU_DEP_1)
	s_cmp_ge_u32 s22, s21
	s_cselect_b32 s25, -1, 0
	s_cmp_ge_u32 s24, s20
	s_cselect_b32 s24, -1, 0
	s_cmp_eq_u32 s22, s21
	s_cselect_b32 s22, s24, s25
	s_add_u32 s24, s11, 1
	s_addc_u32 s25, s14, 0
	s_add_u32 s26, s11, 2
	s_addc_u32 s27, s14, 0
	s_cmp_lg_u32 s22, 0
	s_cselect_b32 s22, s26, s24
	s_cselect_b32 s24, s27, s25
	s_cmp_lg_u32 s23, 0
	v_readfirstlane_b32 s23, v0
	s_subb_u32 s19, 0, s19
	s_delay_alu instid0(SALU_CYCLE_1) | instskip(SKIP_1) | instid1(VALU_DEP_1)
	s_cmp_ge_u32 s19, s21
	s_cselect_b32 s25, -1, 0
	s_cmp_ge_u32 s23, s20
	s_cselect_b32 s20, -1, 0
	s_cmp_eq_u32 s19, s21
	s_cselect_b32 s19, s20, s25
	s_delay_alu instid0(SALU_CYCLE_1) | instskip(SKIP_2) | instid1(SALU_CYCLE_1)
	s_cmp_lg_u32 s19, 0
	s_cselect_b32 s21, s24, s14
	s_cselect_b32 s20, s22, s11
	s_xor_b64 s[20:21], s[20:21], s[12:13]
	s_delay_alu instid0(SALU_CYCLE_1)
	s_sub_u32 s24, s20, s12
	s_subb_u32 s25, s21, s12
	s_load_b64 s[22:23], s[2:3], 0x40
	s_and_not1_b32 vcc_lo, exec_lo, s10
	s_cbranch_vccnz .LBB114_5
.LBB114_4:
	v_cvt_f32_u32_e32 v0, s4
	s_sub_i32 s11, 0, s4
	s_mov_b32 s25, 0
	s_delay_alu instid0(VALU_DEP_1) | instskip(SKIP_2) | instid1(VALU_DEP_1)
	v_rcp_iflag_f32_e32 v0, v0
	s_waitcnt_depctr 0xfff
	v_mul_f32_e32 v0, 0x4f7ffffe, v0
	v_cvt_u32_f32_e32 v0, v0
	s_delay_alu instid0(VALU_DEP_1) | instskip(NEXT) | instid1(VALU_DEP_1)
	v_readfirstlane_b32 s10, v0
	s_mul_i32 s11, s11, s10
	s_delay_alu instid0(SALU_CYCLE_1) | instskip(NEXT) | instid1(SALU_CYCLE_1)
	s_mul_hi_u32 s11, s10, s11
	s_add_i32 s10, s10, s11
	s_delay_alu instid0(SALU_CYCLE_1) | instskip(NEXT) | instid1(SALU_CYCLE_1)
	s_mul_hi_u32 s10, s15, s10
	s_mul_i32 s11, s10, s4
	s_add_i32 s12, s10, 1
	s_sub_i32 s11, s15, s11
	s_delay_alu instid0(SALU_CYCLE_1)
	s_sub_i32 s13, s11, s4
	s_cmp_ge_u32 s11, s4
	s_cselect_b32 s10, s12, s10
	s_cselect_b32 s11, s13, s11
	s_add_i32 s12, s10, 1
	s_cmp_ge_u32 s11, s4
	s_cselect_b32 s24, s12, s10
.LBB114_5:
	s_delay_alu instid0(SALU_CYCLE_1)
	s_mul_i32 s5, s24, s5
	s_mul_hi_u32 s10, s24, s4
	s_load_b32 s19, s[2:3], 0x0
	s_add_i32 s5, s10, s5
	s_mul_i32 s10, s25, s4
	s_mul_i32 s4, s24, s4
	s_add_i32 s5, s5, s10
	s_sub_u32 s10, s15, s4
	s_subb_u32 s11, 0, s5
	s_delay_alu instid0(SALU_CYCLE_1)
	s_lshl_b64 s[10:11], s[10:11], 3
	s_waitcnt lgkmcnt(0)
	s_add_u32 s8, s8, s10
	s_addc_u32 s9, s9, s11
	s_load_b64 s[12:13], s[8:9], 0x0
	s_load_b64 s[20:21], s[2:3], 0x48
	s_waitcnt lgkmcnt(0)
	s_lshl_b64 s[8:9], s[12:13], 3
	s_mul_i32 s14, s12, s20
	s_add_u32 s0, s0, s8
	s_addc_u32 s1, s1, s9
	s_lshl_b64 s[24:25], s[24:25], 6
	s_load_b128 s[8:11], s[0:1], 0x0
	v_or_b32_e32 v9, s24, v8
	s_mul_i32 s0, s12, s21
	s_mul_hi_u32 s1, s12, s20
	v_mov_b32_e32 v10, s25
	v_mov_b32_e32 v0, s25
	s_add_i32 s0, s1, s0
	s_mul_i32 s1, s13, s20
	v_add_co_u32 v11, vcc_lo, v9, s14
	s_add_i32 s15, s0, s1
	v_cmp_gt_i64_e64 s0, s[6:7], v[9:10]
	v_add_co_ci_u32_e32 v12, vcc_lo, s15, v0, vcc_lo
	s_cmpk_lg_i32 s19, 0x71
	s_cbranch_scc0 .LBB114_9
; %bb.6:
	v_mov_b32_e32 v2, 0
	v_mov_b32_e32 v3, 0
	s_delay_alu instid0(VALU_DEP_1)
	v_dual_mov_b32 v0, v2 :: v_dual_mov_b32 v1, v3
	s_and_saveexec_b32 s1, s0
	s_cbranch_execz .LBB114_8
; %bb.7:
	v_lshlrev_b64 v[0:1], 4, v[11:12]
	s_delay_alu instid0(VALU_DEP_1) | instskip(NEXT) | instid1(VALU_DEP_2)
	v_add_co_u32 v0, vcc_lo, s22, v0
	v_add_co_ci_u32_e32 v1, vcc_lo, s23, v1, vcc_lo
	global_load_b128 v[13:16], v[0:1], off
	s_waitcnt vmcnt(0)
	v_mul_f64 v[0:1], v[15:16], -v[6:7]
	v_mul_f64 v[2:3], v[4:5], v[15:16]
	s_delay_alu instid0(VALU_DEP_2) | instskip(NEXT) | instid1(VALU_DEP_2)
	v_fma_f64 v[0:1], v[4:5], v[13:14], v[0:1]
	v_fma_f64 v[2:3], v[6:7], v[13:14], v[2:3]
.LBB114_8:
	s_or_b32 exec_lo, exec_lo, s1
	s_load_b64 s[6:7], s[2:3], 0x50
	s_cbranch_execz .LBB114_10
	s_branch .LBB114_13
.LBB114_9:
                                        ; implicit-def: $vgpr2_vgpr3
	s_load_b64 s[6:7], s[2:3], 0x50
.LBB114_10:
	v_mov_b32_e32 v2, 0
	v_mov_b32_e32 v3, 0
	s_delay_alu instid0(VALU_DEP_1)
	v_dual_mov_b32 v0, v2 :: v_dual_mov_b32 v1, v3
	s_and_saveexec_b32 s1, s0
	s_cbranch_execz .LBB114_12
; %bb.11:
	v_lshlrev_b64 v[0:1], 4, v[11:12]
	s_delay_alu instid0(VALU_DEP_1) | instskip(NEXT) | instid1(VALU_DEP_2)
	v_add_co_u32 v0, vcc_lo, s22, v0
	v_add_co_ci_u32_e32 v1, vcc_lo, s23, v1, vcc_lo
	global_load_b128 v[11:14], v[0:1], off
	s_waitcnt vmcnt(0)
	v_mul_f64 v[0:1], v[6:7], v[13:14]
	v_mul_f64 v[2:3], v[4:5], -v[13:14]
	s_delay_alu instid0(VALU_DEP_2) | instskip(NEXT) | instid1(VALU_DEP_2)
	v_fma_f64 v[0:1], v[4:5], v[11:12], v[0:1]
	v_fma_f64 v[2:3], v[6:7], v[11:12], v[2:3]
.LBB114_12:
	s_or_b32 exec_lo, exec_lo, s1
.LBB114_13:
	s_waitcnt vmcnt(0)
	v_lshlrev_b64 v[4:5], 4, v[9:10]
	s_waitcnt lgkmcnt(0)
	v_cmp_ge_i64_e64 s1, s[8:9], s[10:11]
	s_delay_alu instid0(VALU_DEP_2) | instskip(NEXT) | instid1(VALU_DEP_3)
	v_add_co_u32 v24, vcc_lo, s22, v4
	v_add_co_ci_u32_e32 v25, vcc_lo, s23, v5, vcc_lo
	s_delay_alu instid0(VALU_DEP_3)
	s_and_b32 vcc_lo, exec_lo, s1
	v_cmp_eq_u32_e64 s1, 0, v8
	s_cbranch_vccnz .LBB114_58
; %bb.14:
	s_clause 0x1
	s_load_b128 s[24:27], s[2:3], 0x30
	s_load_b64 s[22:23], s[2:3], 0x60
	v_dual_mov_b32 v9, 0 :: v_dual_lshlrev_b32 v4, 3, v8
	s_lshl_b64 s[2:3], s[4:5], 2
	v_dual_mov_b32 v10, 0 :: v_dual_lshlrev_b32 v5, 4, v8
	s_add_u32 s19, s6, s2
	s_addc_u32 s28, s7, s3
	s_sub_u32 s8, s8, s16
	s_subb_u32 s9, s9, 0
	s_sub_u32 s10, s10, s16
	s_subb_u32 s11, s11, 0
	v_dual_mov_b32 v12, 0 :: v_dual_lshlrev_b32 v31, 4, v8
	v_lshl_or_b32 v26, v8, 3, 0x400
	s_cmp_eq_u32 s18, 0
	v_mov_b32_e32 v11, 0
	v_mov_b32_e32 v13, 0x3ff00000
	s_cselect_b32 s29, -1, 0
	s_waitcnt lgkmcnt(0)
	v_add_co_u32 v27, s2, s24, v4
	s_delay_alu instid0(VALU_DEP_1) | instskip(SKIP_1) | instid1(VALU_DEP_1)
	v_add_co_ci_u32_e64 v28, null, s25, 0, s2
	v_add_co_u32 v29, s2, s26, v5
	v_add_co_ci_u32_e64 v30, null, s27, 0, s2
	s_add_u32 s24, s12, s16
	s_addc_u32 s25, s13, 0
	s_mov_b64 s[26:27], s[8:9]
	s_branch .LBB114_17
.LBB114_15:                             ;   in Loop: Header=BB114_17 Depth=1
	s_add_u32 s26, s26, 1
	s_addc_u32 s27, s27, 0
	s_delay_alu instid0(SALU_CYCLE_1)
	v_cmp_ge_i64_e64 s3, s[26:27], s[10:11]
.LBB114_16:                             ;   in Loop: Header=BB114_17 Depth=1
	s_delay_alu instid0(VALU_DEP_3) | instskip(NEXT) | instid1(VALU_DEP_4)
	v_dual_mov_b32 v2, v20 :: v_dual_mov_b32 v3, v21
	v_dual_mov_b32 v0, v22 :: v_dual_mov_b32 v1, v23
	s_delay_alu instid0(VALU_DEP_4) | instskip(NEXT) | instid1(VALU_DEP_4)
	v_dual_mov_b32 v10, v16 :: v_dual_mov_b32 v11, v17
	v_dual_mov_b32 v12, v18 :: v_dual_mov_b32 v13, v19
	s_and_not1_b32 vcc_lo, exec_lo, s3
	s_cbranch_vccz .LBB114_59
.LBB114_17:                             ; =>This Loop Header: Depth=1
                                        ;     Child Loop BB114_56 Depth 2
                                        ;       Child Loop BB114_57 Depth 3
	s_sub_i32 s2, s26, s8
	s_delay_alu instid0(SALU_CYCLE_1) | instskip(NEXT) | instid1(SALU_CYCLE_1)
	s_and_b32 s2, s2, 63
	s_cmp_lg_u32 s2, 0
	s_cbranch_scc1 .LBB114_21
; %bb.18:                               ;   in Loop: Header=BB114_17 Depth=1
	v_mov_b32_e32 v14, -1
	v_dual_mov_b32 v15, -1 :: v_dual_mov_b32 v6, 0
	v_dual_mov_b32 v4, 0 :: v_dual_mov_b32 v7, 0
	v_mov_b32_e32 v5, 0xbff00000
	s_sub_u32 s30, s10, s26
	s_subb_u32 s31, s11, s27
	s_mov_b32 s3, exec_lo
	v_cmpx_gt_i64_e64 s[30:31], v[8:9]
	s_cbranch_execz .LBB114_20
; %bb.19:                               ;   in Loop: Header=BB114_17 Depth=1
	s_lshl_b64 s[30:31], s[26:27], 3
	s_delay_alu instid0(SALU_CYCLE_1)
	v_add_co_u32 v4, vcc_lo, v27, s30
	v_add_co_ci_u32_e32 v5, vcc_lo, s31, v28, vcc_lo
	s_lshl_b64 s[30:31], s[26:27], 4
	global_load_b64 v[14:15], v[4:5], off
	v_add_co_u32 v4, vcc_lo, v29, s30
	v_add_co_ci_u32_e32 v5, vcc_lo, s31, v30, vcc_lo
	global_load_b128 v[4:7], v[4:5], off
	s_waitcnt vmcnt(1)
	v_sub_co_u32 v14, vcc_lo, v14, s16
	v_subrev_co_ci_u32_e32 v15, vcc_lo, 0, v15, vcc_lo
.LBB114_20:                             ;   in Loop: Header=BB114_17 Depth=1
	s_or_b32 exec_lo, exec_lo, s3
	ds_store_b64 v26, v[14:15]
	s_waitcnt vmcnt(0)
	ds_store_b128 v31, v[4:7]
.LBB114_21:                             ;   in Loop: Header=BB114_17 Depth=1
	s_lshl_b32 s3, s2, 4
	s_waitcnt lgkmcnt(0)
	v_mov_b32_e32 v4, s3
	s_waitcnt_vscnt null, 0x0
	s_barrier
	buffer_gl0_inv
	s_lshl_b32 s2, s2, 3
	ds_load_b128 v[16:19], v4
	v_mov_b32_e32 v4, s2
	ds_load_b64 v[14:15], v4 offset:1024
	s_waitcnt lgkmcnt(1)
	v_cmp_eq_f64_e32 vcc_lo, 0, v[16:17]
	v_cmp_eq_f64_e64 s3, 0, v[18:19]
	s_waitcnt lgkmcnt(0)
	v_cmp_eq_u64_e64 s2, s[12:13], v[14:15]
	v_cmp_ne_u64_e64 s9, s[12:13], v[14:15]
	s_delay_alu instid0(VALU_DEP_3)
	s_and_b32 s3, vcc_lo, s3
	s_delay_alu instid0(VALU_DEP_2) | instid1(SALU_CYCLE_1)
	s_and_b32 s3, s3, s2
	s_delay_alu instid0(SALU_CYCLE_1) | instskip(NEXT) | instid1(SALU_CYCLE_1)
	s_and_b32 s3, s29, s3
	v_cndmask_b32_e64 v5, v19, 0, s3
	v_cndmask_b32_e64 v4, v18, 0, s3
	;; [unrolled: 1-line block ×4, first 2 shown]
	s_and_b32 s30, s1, s3
	s_delay_alu instid0(SALU_CYCLE_1)
	s_and_saveexec_b32 s3, s30
	s_cbranch_execz .LBB114_25
; %bb.22:                               ;   in Loop: Header=BB114_17 Depth=1
	v_mbcnt_lo_u32_b32 v4, exec_lo, 0
	s_mov_b32 s30, exec_lo
	s_delay_alu instid0(VALU_DEP_1)
	v_cmpx_eq_u32_e32 0, v4
	s_cbranch_execz .LBB114_24
; %bb.23:                               ;   in Loop: Header=BB114_17 Depth=1
	v_dual_mov_b32 v4, s24 :: v_dual_mov_b32 v5, s25
	global_atomic_min_u64 v9, v[4:5], s[22:23]
.LBB114_24:                             ;   in Loop: Header=BB114_17 Depth=1
	s_or_b32 exec_lo, exec_lo, s30
	v_mov_b32_e32 v4, 0
	v_dual_mov_b32 v5, 0 :: v_dual_mov_b32 v6, 0
	v_mov_b32_e32 v7, 0x3ff00000
.LBB114_25:                             ;   in Loop: Header=BB114_17 Depth=1
	s_or_b32 exec_lo, exec_lo, s3
	s_cmp_lt_i32 s17, 1
	s_mov_b32 s3, 0
	s_cbranch_scc1 .LBB114_31
; %bb.26:                               ;   in Loop: Header=BB114_17 Depth=1
	s_cmp_eq_u32 s17, 1
	s_cbranch_scc0 .LBB114_32
; %bb.27:                               ;   in Loop: Header=BB114_17 Depth=1
	v_cmp_le_i64_e32 vcc_lo, s[12:13], v[14:15]
	v_dual_mov_b32 v17, v11 :: v_dual_mov_b32 v16, v10
	v_dual_mov_b32 v19, v13 :: v_dual_mov_b32 v18, v12
	s_mov_b32 s30, 0
	s_cbranch_vccz .LBB114_34
; %bb.28:                               ;   in Loop: Header=BB114_17 Depth=1
	s_and_b32 vcc_lo, exec_lo, s2
	s_cbranch_vccz .LBB114_33
; %bb.29:                               ;   in Loop: Header=BB114_17 Depth=1
	v_dual_mov_b32 v17, v11 :: v_dual_mov_b32 v16, v10
	v_dual_mov_b32 v19, v13 :: v_dual_mov_b32 v18, v12
	s_and_not1_b32 vcc_lo, exec_lo, s29
	s_cbranch_vccnz .LBB114_34
; %bb.30:                               ;   in Loop: Header=BB114_17 Depth=1
	v_mul_f64 v[16:17], v[4:5], v[4:5]
	s_delay_alu instid0(VALU_DEP_1) | instskip(NEXT) | instid1(VALU_DEP_1)
	v_fma_f64 v[16:17], v[6:7], v[6:7], v[16:17]
	v_div_scale_f64 v[18:19], null, v[16:17], v[16:17], 1.0
	v_div_scale_f64 v[32:33], vcc_lo, 1.0, v[16:17], 1.0
	s_delay_alu instid0(VALU_DEP_2) | instskip(SKIP_2) | instid1(VALU_DEP_1)
	v_rcp_f64_e32 v[20:21], v[18:19]
	s_waitcnt_depctr 0xfff
	v_fma_f64 v[22:23], -v[18:19], v[20:21], 1.0
	v_fma_f64 v[20:21], v[20:21], v[22:23], v[20:21]
	s_delay_alu instid0(VALU_DEP_1) | instskip(NEXT) | instid1(VALU_DEP_1)
	v_fma_f64 v[22:23], -v[18:19], v[20:21], 1.0
	v_fma_f64 v[20:21], v[20:21], v[22:23], v[20:21]
	s_delay_alu instid0(VALU_DEP_1) | instskip(NEXT) | instid1(VALU_DEP_1)
	v_mul_f64 v[22:23], v[32:33], v[20:21]
	v_fma_f64 v[18:19], -v[18:19], v[22:23], v[32:33]
	s_delay_alu instid0(VALU_DEP_1) | instskip(SKIP_2) | instid1(VALU_DEP_3)
	v_div_fmas_f64 v[18:19], v[18:19], v[20:21], v[22:23]
	v_fma_f64 v[20:21], v[4:5], 0, v[6:7]
	v_fma_f64 v[22:23], v[6:7], 0, -v[4:5]
	v_div_fixup_f64 v[16:17], v[18:19], v[16:17], 1.0
	s_delay_alu instid0(VALU_DEP_1) | instskip(NEXT) | instid1(VALU_DEP_3)
	v_mul_f64 v[18:19], v[20:21], v[16:17]
	v_mul_f64 v[16:17], v[22:23], v[16:17]
	s_branch .LBB114_34
.LBB114_31:                             ;   in Loop: Header=BB114_17 Depth=1
	s_mov_b32 s30, 0
                                        ; implicit-def: $sgpr2
                                        ; implicit-def: $vgpr20_vgpr21
                                        ; implicit-def: $vgpr22_vgpr23
                                        ; implicit-def: $vgpr16_vgpr17
                                        ; implicit-def: $vgpr18_vgpr19
	s_cbranch_execnz .LBB114_35
	s_branch .LBB114_37
.LBB114_32:                             ;   in Loop: Header=BB114_17 Depth=1
	s_mov_b32 s30, -1
                                        ; implicit-def: $sgpr2
                                        ; implicit-def: $vgpr20_vgpr21
                                        ; implicit-def: $vgpr22_vgpr23
                                        ; implicit-def: $vgpr16_vgpr17
                                        ; implicit-def: $vgpr18_vgpr19
	s_branch .LBB114_37
.LBB114_33:                             ;   in Loop: Header=BB114_17 Depth=1
	s_mov_b32 s30, -1
                                        ; implicit-def: $vgpr16_vgpr17
                                        ; implicit-def: $vgpr18_vgpr19
.LBB114_34:                             ;   in Loop: Header=BB114_17 Depth=1
	v_dual_mov_b32 v21, v3 :: v_dual_mov_b32 v20, v2
	v_dual_mov_b32 v23, v1 :: v_dual_mov_b32 v22, v0
	s_mov_b32 s2, 4
	s_branch .LBB114_37
.LBB114_35:                             ;   in Loop: Header=BB114_17 Depth=1
	s_cmp_eq_u32 s17, 0
	s_cbranch_scc1 .LBB114_41
; %bb.36:                               ;   in Loop: Header=BB114_17 Depth=1
	s_mov_b32 s30, -1
                                        ; implicit-def: $sgpr2
                                        ; implicit-def: $vgpr20_vgpr21
                                        ; implicit-def: $vgpr22_vgpr23
                                        ; implicit-def: $vgpr16_vgpr17
                                        ; implicit-def: $vgpr18_vgpr19
.LBB114_37:                             ;   in Loop: Header=BB114_17 Depth=1
	s_delay_alu instid0(SALU_CYCLE_1)
	s_and_b32 vcc_lo, exec_lo, s30
	s_cbranch_vccnz .LBB114_44
.LBB114_38:                             ;   in Loop: Header=BB114_17 Depth=1
	s_and_b32 vcc_lo, exec_lo, s3
	s_cbranch_vccnz .LBB114_49
.LBB114_39:                             ;   in Loop: Header=BB114_17 Depth=1
	s_cmp_gt_i32 s2, 3
	s_mov_b32 s3, -1
	s_cbranch_scc1 .LBB114_52
.LBB114_40:                             ;   in Loop: Header=BB114_17 Depth=1
	s_cmp_eq_u32 s2, 0
	s_cselect_b32 s2, -1, 0
	s_delay_alu instid0(SALU_CYCLE_1)
	s_and_not1_b32 vcc_lo, exec_lo, s2
	s_cbranch_vccz .LBB114_15
	s_branch .LBB114_53
.LBB114_41:                             ;   in Loop: Header=BB114_17 Depth=1
	v_cmp_ge_i64_e32 vcc_lo, s[12:13], v[14:15]
	s_mov_b32 s30, 0
	s_cbranch_vccz .LBB114_43
; %bb.42:                               ;   in Loop: Header=BB114_17 Depth=1
	s_mov_b32 s3, -1
	s_mov_b32 s30, s9
.LBB114_43:                             ;   in Loop: Header=BB114_17 Depth=1
	v_dual_mov_b32 v21, v3 :: v_dual_mov_b32 v20, v2
	v_dual_mov_b32 v23, v1 :: v_dual_mov_b32 v22, v0
	;; [unrolled: 1-line block ×4, first 2 shown]
	s_mov_b32 s2, 2
	s_and_b32 vcc_lo, exec_lo, s30
	s_cbranch_vccz .LBB114_38
.LBB114_44:                             ;   in Loop: Header=BB114_17 Depth=1
	s_and_saveexec_b32 s2, s1
	s_cbranch_execz .LBB114_46
; %bb.45:                               ;   in Loop: Header=BB114_17 Depth=1
	v_lshlrev_b64 v[16:17], 2, v[14:15]
	s_delay_alu instid0(VALU_DEP_1) | instskip(NEXT) | instid1(VALU_DEP_2)
	v_add_co_u32 v16, vcc_lo, s19, v16
	v_add_co_ci_u32_e32 v17, vcc_lo, s28, v17, vcc_lo
	global_load_b32 v18, v[16:17], off glc
	s_waitcnt vmcnt(0)
	v_cmp_ne_u32_e32 vcc_lo, 0, v18
	s_cbranch_vccz .LBB114_54
.LBB114_46:                             ;   in Loop: Header=BB114_17 Depth=1
	s_or_b32 exec_lo, exec_lo, s2
	v_mov_b32_e32 v20, 0
	v_mov_b32_e32 v21, 0
	s_waitcnt_vscnt null, 0x0
	s_barrier
	buffer_gl0_inv
	buffer_gl1_inv
	buffer_gl0_inv
	v_dual_mov_b32 v23, v21 :: v_dual_mov_b32 v22, v20
	s_and_saveexec_b32 s2, s0
	s_cbranch_execz .LBB114_48
; %bb.47:                               ;   in Loop: Header=BB114_17 Depth=1
	v_mul_lo_u32 v16, v14, s21
	v_mul_hi_u32 v17, v14, s20
	v_mul_lo_u32 v15, v15, s20
	v_mul_lo_u32 v14, v14, s20
	s_delay_alu instid0(VALU_DEP_3) | instskip(NEXT) | instid1(VALU_DEP_1)
	v_add_nc_u32_e32 v16, v17, v16
	v_add_nc_u32_e32 v15, v16, v15
	s_delay_alu instid0(VALU_DEP_1) | instskip(NEXT) | instid1(VALU_DEP_1)
	v_lshlrev_b64 v[14:15], 4, v[14:15]
	v_add_co_u32 v14, vcc_lo, v24, v14
	s_delay_alu instid0(VALU_DEP_2) | instskip(SKIP_4) | instid1(VALU_DEP_2)
	v_add_co_ci_u32_e32 v15, vcc_lo, v25, v15, vcc_lo
	global_load_b128 v[14:17], v[14:15], off
	s_waitcnt vmcnt(0)
	v_fma_f64 v[18:19], -v[6:7], v[14:15], v[0:1]
	v_fma_f64 v[14:15], -v[4:5], v[14:15], v[2:3]
	v_fma_f64 v[22:23], v[4:5], v[16:17], v[18:19]
	s_delay_alu instid0(VALU_DEP_2)
	v_fma_f64 v[20:21], -v[6:7], v[16:17], v[14:15]
.LBB114_48:                             ;   in Loop: Header=BB114_17 Depth=1
	s_or_b32 exec_lo, exec_lo, s2
	v_dual_mov_b32 v17, v11 :: v_dual_mov_b32 v16, v10
	v_dual_mov_b32 v19, v13 :: v_dual_mov_b32 v18, v12
	s_mov_b32 s2, 0
	s_branch .LBB114_39
.LBB114_49:                             ;   in Loop: Header=BB114_17 Depth=1
	s_and_not1_b32 vcc_lo, exec_lo, s29
	s_cbranch_vccnz .LBB114_51
; %bb.50:                               ;   in Loop: Header=BB114_17 Depth=1
	v_mul_f64 v[10:11], v[4:5], v[4:5]
	s_delay_alu instid0(VALU_DEP_1) | instskip(NEXT) | instid1(VALU_DEP_1)
	v_fma_f64 v[10:11], v[6:7], v[6:7], v[10:11]
	v_div_scale_f64 v[12:13], null, v[10:11], v[10:11], 1.0
	v_div_scale_f64 v[18:19], vcc_lo, 1.0, v[10:11], 1.0
	s_delay_alu instid0(VALU_DEP_2) | instskip(SKIP_2) | instid1(VALU_DEP_1)
	v_rcp_f64_e32 v[14:15], v[12:13]
	s_waitcnt_depctr 0xfff
	v_fma_f64 v[16:17], -v[12:13], v[14:15], 1.0
	v_fma_f64 v[14:15], v[14:15], v[16:17], v[14:15]
	s_delay_alu instid0(VALU_DEP_1) | instskip(NEXT) | instid1(VALU_DEP_1)
	v_fma_f64 v[16:17], -v[12:13], v[14:15], 1.0
	v_fma_f64 v[14:15], v[14:15], v[16:17], v[14:15]
	s_delay_alu instid0(VALU_DEP_1) | instskip(NEXT) | instid1(VALU_DEP_1)
	v_mul_f64 v[16:17], v[18:19], v[14:15]
	v_fma_f64 v[12:13], -v[12:13], v[16:17], v[18:19]
	s_delay_alu instid0(VALU_DEP_1) | instskip(SKIP_2) | instid1(VALU_DEP_3)
	v_div_fmas_f64 v[12:13], v[12:13], v[14:15], v[16:17]
	v_fma_f64 v[14:15], v[4:5], 0, v[6:7]
	v_fma_f64 v[4:5], v[6:7], 0, -v[4:5]
	v_div_fixup_f64 v[10:11], v[12:13], v[10:11], 1.0
	s_delay_alu instid0(VALU_DEP_1) | instskip(NEXT) | instid1(VALU_DEP_3)
	v_mul_f64 v[12:13], v[14:15], v[10:11]
	v_mul_f64 v[10:11], v[4:5], v[10:11]
.LBB114_51:                             ;   in Loop: Header=BB114_17 Depth=1
	s_delay_alu instid0(VALU_DEP_2) | instskip(NEXT) | instid1(VALU_DEP_2)
	v_dual_mov_b32 v19, v13 :: v_dual_mov_b32 v18, v12
	v_dual_mov_b32 v17, v11 :: v_dual_mov_b32 v16, v10
	;; [unrolled: 1-line block ×4, first 2 shown]
	s_mov_b32 s2, 2
	s_delay_alu instid0(SALU_CYCLE_1)
	s_cmp_gt_i32 s2, 3
	s_mov_b32 s3, -1
	s_cbranch_scc0 .LBB114_40
.LBB114_52:                             ;   in Loop: Header=BB114_17 Depth=1
	s_branch .LBB114_15
.LBB114_53:                             ;   in Loop: Header=BB114_17 Depth=1
                                        ; implicit-def: $sgpr26_sgpr27
	s_branch .LBB114_16
.LBB114_54:                             ;   in Loop: Header=BB114_17 Depth=1
	s_mov_b32 s3, 0
	s_branch .LBB114_56
	.p2align	6
.LBB114_55:                             ;   in Loop: Header=BB114_56 Depth=2
	global_load_b32 v18, v[16:17], off glc
	s_cmpk_lt_u32 s3, 0xf43
	s_cselect_b32 s9, -1, 0
	s_delay_alu instid0(SALU_CYCLE_1)
	s_cmp_lg_u32 s9, 0
	s_addc_u32 s3, s3, 0
	s_waitcnt vmcnt(0)
	v_cmp_ne_u32_e32 vcc_lo, 0, v18
	s_cbranch_vccnz .LBB114_46
.LBB114_56:                             ;   Parent Loop BB114_17 Depth=1
                                        ; =>  This Loop Header: Depth=2
                                        ;       Child Loop BB114_57 Depth 3
	s_cmp_eq_u32 s3, 0
	s_mov_b32 s9, s3
	s_cbranch_scc1 .LBB114_55
.LBB114_57:                             ;   Parent Loop BB114_17 Depth=1
                                        ;     Parent Loop BB114_56 Depth=2
                                        ; =>    This Inner Loop Header: Depth=3
	s_add_i32 s9, s9, -1
	s_sleep 1
	s_cmp_eq_u32 s9, 0
	s_cbranch_scc0 .LBB114_57
	s_branch .LBB114_55
.LBB114_58:
	v_mov_b32_e32 v16, 0
	v_dual_mov_b32 v17, 0 :: v_dual_mov_b32 v18, 0
	v_mov_b32_e32 v19, 0x3ff00000
	s_cmp_lg_u32 s18, 0
	s_cbranch_scc1 .LBB114_61
	s_branch .LBB114_60
.LBB114_59:
	v_dual_mov_b32 v2, v20 :: v_dual_mov_b32 v3, v21
	v_dual_mov_b32 v0, v22 :: v_dual_mov_b32 v1, v23
	s_cmp_lg_u32 s18, 0
	s_cbranch_scc1 .LBB114_61
.LBB114_60:
	s_delay_alu instid0(VALU_DEP_2) | instskip(NEXT) | instid1(VALU_DEP_2)
	v_mul_f64 v[4:5], v[16:17], -v[2:3]
	v_mul_f64 v[6:7], v[16:17], v[0:1]
	s_delay_alu instid0(VALU_DEP_2) | instskip(NEXT) | instid1(VALU_DEP_2)
	v_fma_f64 v[0:1], v[0:1], v[18:19], v[4:5]
	v_fma_f64 v[2:3], v[2:3], v[18:19], v[6:7]
.LBB114_61:
	s_and_saveexec_b32 s1, s0
	s_cbranch_execz .LBB114_63
; %bb.62:
	s_lshl_b64 s[2:3], s[14:15], 4
	s_delay_alu instid0(SALU_CYCLE_1)
	v_add_co_u32 v4, vcc_lo, v24, s2
	v_add_co_ci_u32_e32 v5, vcc_lo, s3, v25, vcc_lo
	global_store_b128 v[4:5], v[0:3], off
.LBB114_63:
	s_or_b32 exec_lo, exec_lo, s1
	s_waitcnt_vscnt null, 0x0
	buffer_gl1_inv
	buffer_gl0_inv
	s_barrier
	buffer_gl0_inv
	s_mov_b32 s0, exec_lo
	v_cmpx_eq_u32_e32 0, v8
	s_cbranch_execz .LBB114_65
; %bb.64:
	s_lshl_b64 s[0:1], s[12:13], 2
	v_dual_mov_b32 v0, 0 :: v_dual_mov_b32 v1, 1
	s_add_u32 s2, s6, s0
	s_addc_u32 s3, s7, s1
	s_lshl_b64 s[0:1], s[4:5], 2
	s_delay_alu instid0(SALU_CYCLE_1)
	s_add_u32 s0, s2, s0
	s_addc_u32 s1, s3, s1
	global_store_b32 v0, v1, s[0:1]
.LBB114_65:
	s_nop 0
	s_sendmsg sendmsg(MSG_DEALLOC_VGPRS)
	s_endpgm
.LBB114_66:
                                        ; implicit-def: $sgpr24_sgpr25
	s_load_b64 s[22:23], s[2:3], 0x40
	s_branch .LBB114_4
	.section	.rodata,"a",@progbits
	.p2align	6, 0x0
	.amdhsa_kernel _ZN9rocsparseL5csrsmILj64ELj64ELb1Ell21rocsparse_complex_numIdEEEv20rocsparse_operation_T3_S4_NS_24const_host_device_scalarIT4_EEPKT2_PKS4_PKS6_PS6_lPiSC_PS4_21rocsparse_index_base_20rocsparse_fill_mode_20rocsparse_diag_type_b
		.amdhsa_group_segment_fixed_size 2048
		.amdhsa_private_segment_fixed_size 0
		.amdhsa_kernarg_size 120
		.amdhsa_user_sgpr_count 15
		.amdhsa_user_sgpr_dispatch_ptr 1
		.amdhsa_user_sgpr_queue_ptr 0
		.amdhsa_user_sgpr_kernarg_segment_ptr 1
		.amdhsa_user_sgpr_dispatch_id 0
		.amdhsa_user_sgpr_private_segment_size 0
		.amdhsa_wavefront_size32 1
		.amdhsa_uses_dynamic_stack 0
		.amdhsa_enable_private_segment 0
		.amdhsa_system_sgpr_workgroup_id_x 1
		.amdhsa_system_sgpr_workgroup_id_y 0
		.amdhsa_system_sgpr_workgroup_id_z 0
		.amdhsa_system_sgpr_workgroup_info 0
		.amdhsa_system_vgpr_workitem_id 2
		.amdhsa_next_free_vgpr 34
		.amdhsa_next_free_sgpr 32
		.amdhsa_reserve_vcc 1
		.amdhsa_float_round_mode_32 0
		.amdhsa_float_round_mode_16_64 0
		.amdhsa_float_denorm_mode_32 3
		.amdhsa_float_denorm_mode_16_64 3
		.amdhsa_dx10_clamp 1
		.amdhsa_ieee_mode 1
		.amdhsa_fp16_overflow 0
		.amdhsa_workgroup_processor_mode 1
		.amdhsa_memory_ordered 1
		.amdhsa_forward_progress 0
		.amdhsa_shared_vgpr_count 0
		.amdhsa_exception_fp_ieee_invalid_op 0
		.amdhsa_exception_fp_denorm_src 0
		.amdhsa_exception_fp_ieee_div_zero 0
		.amdhsa_exception_fp_ieee_overflow 0
		.amdhsa_exception_fp_ieee_underflow 0
		.amdhsa_exception_fp_ieee_inexact 0
		.amdhsa_exception_int_div_zero 0
	.end_amdhsa_kernel
	.section	.text._ZN9rocsparseL5csrsmILj64ELj64ELb1Ell21rocsparse_complex_numIdEEEv20rocsparse_operation_T3_S4_NS_24const_host_device_scalarIT4_EEPKT2_PKS4_PKS6_PS6_lPiSC_PS4_21rocsparse_index_base_20rocsparse_fill_mode_20rocsparse_diag_type_b,"axG",@progbits,_ZN9rocsparseL5csrsmILj64ELj64ELb1Ell21rocsparse_complex_numIdEEEv20rocsparse_operation_T3_S4_NS_24const_host_device_scalarIT4_EEPKT2_PKS4_PKS6_PS6_lPiSC_PS4_21rocsparse_index_base_20rocsparse_fill_mode_20rocsparse_diag_type_b,comdat
.Lfunc_end114:
	.size	_ZN9rocsparseL5csrsmILj64ELj64ELb1Ell21rocsparse_complex_numIdEEEv20rocsparse_operation_T3_S4_NS_24const_host_device_scalarIT4_EEPKT2_PKS4_PKS6_PS6_lPiSC_PS4_21rocsparse_index_base_20rocsparse_fill_mode_20rocsparse_diag_type_b, .Lfunc_end114-_ZN9rocsparseL5csrsmILj64ELj64ELb1Ell21rocsparse_complex_numIdEEEv20rocsparse_operation_T3_S4_NS_24const_host_device_scalarIT4_EEPKT2_PKS4_PKS6_PS6_lPiSC_PS4_21rocsparse_index_base_20rocsparse_fill_mode_20rocsparse_diag_type_b
                                        ; -- End function
	.section	.AMDGPU.csdata,"",@progbits
; Kernel info:
; codeLenInByte = 3264
; NumSgprs: 34
; NumVgprs: 34
; ScratchSize: 0
; MemoryBound: 1
; FloatMode: 240
; IeeeMode: 1
; LDSByteSize: 2048 bytes/workgroup (compile time only)
; SGPRBlocks: 4
; VGPRBlocks: 4
; NumSGPRsForWavesPerEU: 34
; NumVGPRsForWavesPerEU: 34
; Occupancy: 16
; WaveLimiterHint : 1
; COMPUTE_PGM_RSRC2:SCRATCH_EN: 0
; COMPUTE_PGM_RSRC2:USER_SGPR: 15
; COMPUTE_PGM_RSRC2:TRAP_HANDLER: 0
; COMPUTE_PGM_RSRC2:TGID_X_EN: 1
; COMPUTE_PGM_RSRC2:TGID_Y_EN: 0
; COMPUTE_PGM_RSRC2:TGID_Z_EN: 0
; COMPUTE_PGM_RSRC2:TIDIG_COMP_CNT: 2
	.section	.text._ZN9rocsparseL5csrsmILj64ELj64ELb0Ell21rocsparse_complex_numIdEEEv20rocsparse_operation_T3_S4_NS_24const_host_device_scalarIT4_EEPKT2_PKS4_PKS6_PS6_lPiSC_PS4_21rocsparse_index_base_20rocsparse_fill_mode_20rocsparse_diag_type_b,"axG",@progbits,_ZN9rocsparseL5csrsmILj64ELj64ELb0Ell21rocsparse_complex_numIdEEEv20rocsparse_operation_T3_S4_NS_24const_host_device_scalarIT4_EEPKT2_PKS4_PKS6_PS6_lPiSC_PS4_21rocsparse_index_base_20rocsparse_fill_mode_20rocsparse_diag_type_b,comdat
	.globl	_ZN9rocsparseL5csrsmILj64ELj64ELb0Ell21rocsparse_complex_numIdEEEv20rocsparse_operation_T3_S4_NS_24const_host_device_scalarIT4_EEPKT2_PKS4_PKS6_PS6_lPiSC_PS4_21rocsparse_index_base_20rocsparse_fill_mode_20rocsparse_diag_type_b ; -- Begin function _ZN9rocsparseL5csrsmILj64ELj64ELb0Ell21rocsparse_complex_numIdEEEv20rocsparse_operation_T3_S4_NS_24const_host_device_scalarIT4_EEPKT2_PKS4_PKS6_PS6_lPiSC_PS4_21rocsparse_index_base_20rocsparse_fill_mode_20rocsparse_diag_type_b
	.p2align	8
	.type	_ZN9rocsparseL5csrsmILj64ELj64ELb0Ell21rocsparse_complex_numIdEEEv20rocsparse_operation_T3_S4_NS_24const_host_device_scalarIT4_EEPKT2_PKS4_PKS6_PS6_lPiSC_PS4_21rocsparse_index_base_20rocsparse_fill_mode_20rocsparse_diag_type_b,@function
_ZN9rocsparseL5csrsmILj64ELj64ELb0Ell21rocsparse_complex_numIdEEEv20rocsparse_operation_T3_S4_NS_24const_host_device_scalarIT4_EEPKT2_PKS4_PKS6_PS6_lPiSC_PS4_21rocsparse_index_base_20rocsparse_fill_mode_20rocsparse_diag_type_b: ; @_ZN9rocsparseL5csrsmILj64ELj64ELb0Ell21rocsparse_complex_numIdEEEv20rocsparse_operation_T3_S4_NS_24const_host_device_scalarIT4_EEPKT2_PKS4_PKS6_PS6_lPiSC_PS4_21rocsparse_index_base_20rocsparse_fill_mode_20rocsparse_diag_type_b
; %bb.0:
	s_load_b64 s[0:1], s[0:1], 0x4
	s_clause 0x1
	s_load_b128 s[16:19], s[2:3], 0x68
	s_load_b256 s[4:11], s[2:3], 0x8
	v_bfe_u32 v1, v0, 10, 10
	v_and_b32_e32 v8, 0x3ff, v0
	v_bfe_u32 v0, v0, 20, 10
	s_waitcnt lgkmcnt(0)
	s_delay_alu instid0(VALU_DEP_3)
	v_mul_u32_u24_e32 v1, s1, v1
	s_lshr_b32 s0, s0, 16
	v_mov_b32_e32 v2, s8
	s_mul_i32 s0, s0, s1
	v_mov_b32_e32 v3, s9
	v_mad_u32_u24 v1, s0, v8, v1
	s_and_b32 s0, 1, s19
	v_dual_mov_b32 v6, s10 :: v_dual_mov_b32 v7, s11
	s_cmp_eq_u32 s0, 1
	s_delay_alu instid0(VALU_DEP_2) | instskip(SKIP_2) | instid1(VALU_DEP_1)
	v_add_lshl_u32 v4, v1, v0, 3
	s_cselect_b32 vcc_lo, -1, 0
	s_mov_b64 s[0:1], src_shared_base
	v_add_nc_u32_e32 v0, 0x600, v4
	ds_store_b64 v4, v[2:3] offset:1536
	v_cndmask_b32_e32 v0, s8, v0, vcc_lo
	s_and_b32 vcc_lo, exec_lo, vcc_lo
	s_cselect_b32 s0, s1, s9
	s_delay_alu instid0(SALU_CYCLE_1)
	v_mov_b32_e32 v1, s0
	flat_load_b64 v[4:5], v[0:1]
	s_cbranch_vccnz .LBB115_2
; %bb.1:
	v_dual_mov_b32 v0, s8 :: v_dual_mov_b32 v1, s9
	flat_load_b64 v[6:7], v[0:1] offset:8
.LBB115_2:
	s_clause 0x1
	s_load_b64 s[8:9], s[2:3], 0x58
	s_load_b64 s[0:1], s[2:3], 0x28
	s_mov_b32 s10, 0
	s_mov_b32 s11, s5
	s_delay_alu instid0(SALU_CYCLE_1)
	s_cmp_lg_u64 s[10:11], 0
	s_cbranch_scc0 .LBB115_63
; %bb.3:
	s_ashr_i32 s12, s5, 31
	s_delay_alu instid0(SALU_CYCLE_1) | instskip(SKIP_2) | instid1(SALU_CYCLE_1)
	s_add_u32 s20, s4, s12
	s_mov_b32 s13, s12
	s_addc_u32 s21, s5, s12
	s_xor_b64 s[20:21], s[20:21], s[12:13]
	s_delay_alu instid0(SALU_CYCLE_1) | instskip(SKIP_3) | instid1(VALU_DEP_1)
	v_cvt_f32_u32_e32 v0, s20
	v_cvt_f32_u32_e32 v1, s21
	s_sub_u32 s19, 0, s20
	s_subb_u32 s22, 0, s21
	v_fmamk_f32 v0, v1, 0x4f800000, v0
	s_delay_alu instid0(VALU_DEP_1) | instskip(SKIP_2) | instid1(VALU_DEP_1)
	v_rcp_f32_e32 v0, v0
	s_waitcnt_depctr 0xfff
	v_mul_f32_e32 v0, 0x5f7ffffc, v0
	v_mul_f32_e32 v1, 0x2f800000, v0
	s_delay_alu instid0(VALU_DEP_1) | instskip(NEXT) | instid1(VALU_DEP_1)
	v_trunc_f32_e32 v1, v1
	v_fmamk_f32 v0, v1, 0xcf800000, v0
	v_cvt_u32_f32_e32 v1, v1
	s_delay_alu instid0(VALU_DEP_2) | instskip(NEXT) | instid1(VALU_DEP_2)
	v_cvt_u32_f32_e32 v0, v0
	v_readfirstlane_b32 s11, v1
	s_delay_alu instid0(VALU_DEP_2) | instskip(NEXT) | instid1(VALU_DEP_2)
	v_readfirstlane_b32 s14, v0
	s_mul_i32 s23, s19, s11
	s_delay_alu instid0(VALU_DEP_1)
	s_mul_hi_u32 s25, s19, s14
	s_mul_i32 s24, s22, s14
	s_add_i32 s23, s25, s23
	s_mul_i32 s26, s19, s14
	s_add_i32 s23, s23, s24
	s_mul_hi_u32 s25, s14, s26
	s_mul_hi_u32 s27, s11, s26
	s_mul_i32 s24, s11, s26
	s_mul_hi_u32 s26, s14, s23
	s_mul_i32 s14, s14, s23
	s_mul_hi_u32 s28, s11, s23
	s_add_u32 s14, s25, s14
	s_addc_u32 s25, 0, s26
	s_add_u32 s14, s14, s24
	s_mul_i32 s23, s11, s23
	s_addc_u32 s14, s25, s27
	s_addc_u32 s24, s28, 0
	s_add_u32 s14, s14, s23
	s_addc_u32 s23, 0, s24
	v_add_co_u32 v0, s14, v0, s14
	s_delay_alu instid0(VALU_DEP_1) | instskip(SKIP_1) | instid1(VALU_DEP_1)
	s_cmp_lg_u32 s14, 0
	s_addc_u32 s11, s11, s23
	v_readfirstlane_b32 s14, v0
	s_mul_i32 s23, s19, s11
	s_delay_alu instid0(VALU_DEP_1)
	s_mul_hi_u32 s24, s19, s14
	s_mul_i32 s22, s22, s14
	s_add_i32 s23, s24, s23
	s_mul_i32 s19, s19, s14
	s_add_i32 s23, s23, s22
	s_mul_hi_u32 s24, s11, s19
	s_mul_i32 s25, s11, s19
	s_mul_hi_u32 s19, s14, s19
	s_mul_hi_u32 s26, s14, s23
	s_mul_i32 s14, s14, s23
	s_mul_hi_u32 s22, s11, s23
	s_add_u32 s14, s19, s14
	s_addc_u32 s19, 0, s26
	s_add_u32 s14, s14, s25
	s_mul_i32 s23, s11, s23
	s_addc_u32 s14, s19, s24
	s_addc_u32 s19, s22, 0
	s_add_u32 s14, s14, s23
	s_addc_u32 s19, 0, s19
	v_add_co_u32 v0, s14, v0, s14
	s_delay_alu instid0(VALU_DEP_1) | instskip(SKIP_1) | instid1(VALU_DEP_1)
	s_cmp_lg_u32 s14, 0
	s_addc_u32 s11, s11, s19
	v_readfirstlane_b32 s14, v0
	s_mul_i32 s19, s15, s11
	s_mul_hi_u32 s11, s15, s11
	s_delay_alu instid0(VALU_DEP_1) | instskip(NEXT) | instid1(SALU_CYCLE_1)
	s_mul_hi_u32 s14, s15, s14
	s_add_u32 s14, s14, s19
	s_addc_u32 s11, 0, s11
	s_add_u32 s14, s14, 0
	s_addc_u32 s11, s11, 0
	s_addc_u32 s14, 0, 0
	s_add_u32 s11, s11, 0
	s_addc_u32 s14, 0, s14
	s_mul_hi_u32 s19, s20, s11
	s_mul_i32 s23, s20, s14
	s_mul_i32 s24, s20, s11
	s_add_i32 s19, s19, s23
	v_sub_co_u32 v0, s23, s15, s24
	s_mul_i32 s22, s21, s11
	s_delay_alu instid0(SALU_CYCLE_1) | instskip(NEXT) | instid1(VALU_DEP_1)
	s_add_i32 s19, s19, s22
	v_sub_co_u32 v1, s24, v0, s20
	s_sub_i32 s22, 0, s19
	s_cmp_lg_u32 s23, 0
	s_subb_u32 s22, s22, s21
	s_cmp_lg_u32 s24, 0
	v_readfirstlane_b32 s24, v1
	s_subb_u32 s22, s22, 0
	s_delay_alu instid0(SALU_CYCLE_1) | instskip(SKIP_1) | instid1(VALU_DEP_1)
	s_cmp_ge_u32 s22, s21
	s_cselect_b32 s25, -1, 0
	s_cmp_ge_u32 s24, s20
	s_cselect_b32 s24, -1, 0
	s_cmp_eq_u32 s22, s21
	s_cselect_b32 s22, s24, s25
	s_add_u32 s24, s11, 1
	s_addc_u32 s25, s14, 0
	s_add_u32 s26, s11, 2
	s_addc_u32 s27, s14, 0
	s_cmp_lg_u32 s22, 0
	s_cselect_b32 s22, s26, s24
	s_cselect_b32 s24, s27, s25
	s_cmp_lg_u32 s23, 0
	v_readfirstlane_b32 s23, v0
	s_subb_u32 s19, 0, s19
	s_delay_alu instid0(SALU_CYCLE_1) | instskip(SKIP_1) | instid1(VALU_DEP_1)
	s_cmp_ge_u32 s19, s21
	s_cselect_b32 s25, -1, 0
	s_cmp_ge_u32 s23, s20
	s_cselect_b32 s20, -1, 0
	s_cmp_eq_u32 s19, s21
	s_cselect_b32 s19, s20, s25
	s_delay_alu instid0(SALU_CYCLE_1) | instskip(SKIP_2) | instid1(SALU_CYCLE_1)
	s_cmp_lg_u32 s19, 0
	s_cselect_b32 s21, s24, s14
	s_cselect_b32 s20, s22, s11
	s_xor_b64 s[20:21], s[20:21], s[12:13]
	s_delay_alu instid0(SALU_CYCLE_1)
	s_sub_u32 s24, s20, s12
	s_subb_u32 s25, s21, s12
	s_load_b64 s[22:23], s[2:3], 0x40
	s_and_not1_b32 vcc_lo, exec_lo, s10
	s_cbranch_vccnz .LBB115_5
.LBB115_4:
	v_cvt_f32_u32_e32 v0, s4
	s_sub_i32 s11, 0, s4
	s_mov_b32 s25, 0
	s_delay_alu instid0(VALU_DEP_1) | instskip(SKIP_2) | instid1(VALU_DEP_1)
	v_rcp_iflag_f32_e32 v0, v0
	s_waitcnt_depctr 0xfff
	v_mul_f32_e32 v0, 0x4f7ffffe, v0
	v_cvt_u32_f32_e32 v0, v0
	s_delay_alu instid0(VALU_DEP_1) | instskip(NEXT) | instid1(VALU_DEP_1)
	v_readfirstlane_b32 s10, v0
	s_mul_i32 s11, s11, s10
	s_delay_alu instid0(SALU_CYCLE_1) | instskip(NEXT) | instid1(SALU_CYCLE_1)
	s_mul_hi_u32 s11, s10, s11
	s_add_i32 s10, s10, s11
	s_delay_alu instid0(SALU_CYCLE_1) | instskip(NEXT) | instid1(SALU_CYCLE_1)
	s_mul_hi_u32 s10, s15, s10
	s_mul_i32 s11, s10, s4
	s_add_i32 s12, s10, 1
	s_sub_i32 s11, s15, s11
	s_delay_alu instid0(SALU_CYCLE_1)
	s_sub_i32 s13, s11, s4
	s_cmp_ge_u32 s11, s4
	s_cselect_b32 s10, s12, s10
	s_cselect_b32 s11, s13, s11
	s_add_i32 s12, s10, 1
	s_cmp_ge_u32 s11, s4
	s_cselect_b32 s24, s12, s10
.LBB115_5:
	s_delay_alu instid0(SALU_CYCLE_1)
	s_mul_i32 s5, s24, s5
	s_mul_hi_u32 s10, s24, s4
	s_load_b32 s19, s[2:3], 0x0
	s_add_i32 s5, s10, s5
	s_mul_i32 s10, s25, s4
	s_mul_i32 s4, s24, s4
	s_add_i32 s5, s5, s10
	s_sub_u32 s10, s15, s4
	s_subb_u32 s11, 0, s5
	s_delay_alu instid0(SALU_CYCLE_1)
	s_lshl_b64 s[10:11], s[10:11], 3
	s_waitcnt lgkmcnt(0)
	s_add_u32 s8, s8, s10
	s_addc_u32 s9, s9, s11
	s_load_b64 s[12:13], s[8:9], 0x0
	s_load_b64 s[20:21], s[2:3], 0x48
	s_waitcnt lgkmcnt(0)
	s_lshl_b64 s[8:9], s[12:13], 3
	s_mul_i32 s14, s12, s20
	s_add_u32 s0, s0, s8
	s_addc_u32 s1, s1, s9
	s_lshl_b64 s[24:25], s[24:25], 6
	s_load_b128 s[8:11], s[0:1], 0x0
	v_or_b32_e32 v9, s24, v8
	s_mul_i32 s0, s12, s21
	s_mul_hi_u32 s1, s12, s20
	v_mov_b32_e32 v10, s25
	v_mov_b32_e32 v0, s25
	s_add_i32 s0, s1, s0
	s_mul_i32 s1, s13, s20
	v_add_co_u32 v11, vcc_lo, v9, s14
	s_add_i32 s15, s0, s1
	v_cmp_gt_i64_e64 s0, s[6:7], v[9:10]
	v_add_co_ci_u32_e32 v12, vcc_lo, s15, v0, vcc_lo
	s_cmpk_lg_i32 s19, 0x71
	s_cbranch_scc0 .LBB115_9
; %bb.6:
	v_mov_b32_e32 v2, 0
	v_mov_b32_e32 v3, 0
	s_delay_alu instid0(VALU_DEP_1)
	v_dual_mov_b32 v0, v2 :: v_dual_mov_b32 v1, v3
	s_and_saveexec_b32 s1, s0
	s_cbranch_execz .LBB115_8
; %bb.7:
	v_lshlrev_b64 v[0:1], 4, v[11:12]
	s_delay_alu instid0(VALU_DEP_1) | instskip(NEXT) | instid1(VALU_DEP_2)
	v_add_co_u32 v0, vcc_lo, s22, v0
	v_add_co_ci_u32_e32 v1, vcc_lo, s23, v1, vcc_lo
	global_load_b128 v[13:16], v[0:1], off
	s_waitcnt vmcnt(0)
	v_mul_f64 v[0:1], v[15:16], -v[6:7]
	v_mul_f64 v[2:3], v[4:5], v[15:16]
	s_delay_alu instid0(VALU_DEP_2) | instskip(NEXT) | instid1(VALU_DEP_2)
	v_fma_f64 v[0:1], v[4:5], v[13:14], v[0:1]
	v_fma_f64 v[2:3], v[6:7], v[13:14], v[2:3]
.LBB115_8:
	s_or_b32 exec_lo, exec_lo, s1
	s_load_b64 s[6:7], s[2:3], 0x50
	s_cbranch_execz .LBB115_10
	s_branch .LBB115_13
.LBB115_9:
                                        ; implicit-def: $vgpr2_vgpr3
	s_load_b64 s[6:7], s[2:3], 0x50
.LBB115_10:
	v_mov_b32_e32 v2, 0
	v_mov_b32_e32 v3, 0
	s_delay_alu instid0(VALU_DEP_1)
	v_dual_mov_b32 v0, v2 :: v_dual_mov_b32 v1, v3
	s_and_saveexec_b32 s1, s0
	s_cbranch_execz .LBB115_12
; %bb.11:
	v_lshlrev_b64 v[0:1], 4, v[11:12]
	s_delay_alu instid0(VALU_DEP_1) | instskip(NEXT) | instid1(VALU_DEP_2)
	v_add_co_u32 v0, vcc_lo, s22, v0
	v_add_co_ci_u32_e32 v1, vcc_lo, s23, v1, vcc_lo
	global_load_b128 v[11:14], v[0:1], off
	s_waitcnt vmcnt(0)
	v_mul_f64 v[0:1], v[6:7], v[13:14]
	v_mul_f64 v[2:3], v[4:5], -v[13:14]
	s_delay_alu instid0(VALU_DEP_2) | instskip(NEXT) | instid1(VALU_DEP_2)
	v_fma_f64 v[0:1], v[4:5], v[11:12], v[0:1]
	v_fma_f64 v[2:3], v[6:7], v[11:12], v[2:3]
.LBB115_12:
	s_or_b32 exec_lo, exec_lo, s1
.LBB115_13:
	s_waitcnt vmcnt(0)
	v_lshlrev_b64 v[4:5], 4, v[9:10]
	s_waitcnt lgkmcnt(0)
	v_cmp_ge_i64_e64 s1, s[8:9], s[10:11]
	s_delay_alu instid0(VALU_DEP_2) | instskip(NEXT) | instid1(VALU_DEP_3)
	v_add_co_u32 v24, vcc_lo, s22, v4
	v_add_co_ci_u32_e32 v25, vcc_lo, s23, v5, vcc_lo
	s_delay_alu instid0(VALU_DEP_3)
	s_and_b32 vcc_lo, exec_lo, s1
	v_cmp_eq_u32_e64 s1, 0, v8
	s_cbranch_vccnz .LBB115_55
; %bb.14:
	s_clause 0x1
	s_load_b128 s[24:27], s[2:3], 0x30
	s_load_b64 s[22:23], s[2:3], 0x60
	v_dual_mov_b32 v9, 0 :: v_dual_lshlrev_b32 v4, 3, v8
	s_lshl_b64 s[2:3], s[4:5], 2
	v_dual_mov_b32 v10, 0 :: v_dual_lshlrev_b32 v5, 4, v8
	s_add_u32 s19, s6, s2
	s_addc_u32 s28, s7, s3
	s_sub_u32 s8, s8, s16
	s_subb_u32 s9, s9, 0
	s_sub_u32 s10, s10, s16
	s_subb_u32 s11, s11, 0
	v_dual_mov_b32 v12, 0 :: v_dual_lshlrev_b32 v31, 4, v8
	v_lshl_or_b32 v26, v8, 3, 0x400
	s_cmp_eq_u32 s18, 0
	v_mov_b32_e32 v11, 0
	v_mov_b32_e32 v13, 0x3ff00000
	s_cselect_b32 s29, -1, 0
	s_waitcnt lgkmcnt(0)
	v_add_co_u32 v27, s2, s24, v4
	s_delay_alu instid0(VALU_DEP_1) | instskip(SKIP_1) | instid1(VALU_DEP_1)
	v_add_co_ci_u32_e64 v28, null, s25, 0, s2
	v_add_co_u32 v29, s2, s26, v5
	v_add_co_ci_u32_e64 v30, null, s27, 0, s2
	s_add_u32 s24, s12, s16
	s_addc_u32 s25, s13, 0
	s_mov_b64 s[26:27], s[8:9]
	s_branch .LBB115_17
.LBB115_15:                             ;   in Loop: Header=BB115_17 Depth=1
	s_add_u32 s26, s26, 1
	s_addc_u32 s27, s27, 0
	s_delay_alu instid0(SALU_CYCLE_1)
	v_cmp_ge_i64_e64 s3, s[26:27], s[10:11]
.LBB115_16:                             ;   in Loop: Header=BB115_17 Depth=1
	s_delay_alu instid0(VALU_DEP_3) | instskip(NEXT) | instid1(VALU_DEP_4)
	v_dual_mov_b32 v2, v20 :: v_dual_mov_b32 v3, v21
	v_dual_mov_b32 v0, v22 :: v_dual_mov_b32 v1, v23
	s_delay_alu instid0(VALU_DEP_4) | instskip(NEXT) | instid1(VALU_DEP_4)
	v_dual_mov_b32 v10, v16 :: v_dual_mov_b32 v11, v17
	v_dual_mov_b32 v12, v18 :: v_dual_mov_b32 v13, v19
	s_and_not1_b32 vcc_lo, exec_lo, s3
	s_cbranch_vccz .LBB115_56
.LBB115_17:                             ; =>This Loop Header: Depth=1
                                        ;     Child Loop BB115_46 Depth 2
	s_sub_i32 s2, s26, s8
	s_delay_alu instid0(SALU_CYCLE_1) | instskip(NEXT) | instid1(SALU_CYCLE_1)
	s_and_b32 s2, s2, 63
	s_cmp_lg_u32 s2, 0
	s_cbranch_scc1 .LBB115_21
; %bb.18:                               ;   in Loop: Header=BB115_17 Depth=1
	v_mov_b32_e32 v14, -1
	v_dual_mov_b32 v15, -1 :: v_dual_mov_b32 v6, 0
	v_dual_mov_b32 v4, 0 :: v_dual_mov_b32 v7, 0
	v_mov_b32_e32 v5, 0xbff00000
	s_sub_u32 s30, s10, s26
	s_subb_u32 s31, s11, s27
	s_mov_b32 s3, exec_lo
	v_cmpx_gt_i64_e64 s[30:31], v[8:9]
	s_cbranch_execz .LBB115_20
; %bb.19:                               ;   in Loop: Header=BB115_17 Depth=1
	s_lshl_b64 s[30:31], s[26:27], 3
	s_delay_alu instid0(SALU_CYCLE_1)
	v_add_co_u32 v4, vcc_lo, v27, s30
	v_add_co_ci_u32_e32 v5, vcc_lo, s31, v28, vcc_lo
	s_lshl_b64 s[30:31], s[26:27], 4
	global_load_b64 v[14:15], v[4:5], off
	v_add_co_u32 v4, vcc_lo, v29, s30
	v_add_co_ci_u32_e32 v5, vcc_lo, s31, v30, vcc_lo
	global_load_b128 v[4:7], v[4:5], off
	s_waitcnt vmcnt(1)
	v_sub_co_u32 v14, vcc_lo, v14, s16
	v_subrev_co_ci_u32_e32 v15, vcc_lo, 0, v15, vcc_lo
.LBB115_20:                             ;   in Loop: Header=BB115_17 Depth=1
	s_or_b32 exec_lo, exec_lo, s3
	ds_store_b64 v26, v[14:15]
	s_waitcnt vmcnt(0)
	ds_store_b128 v31, v[4:7]
.LBB115_21:                             ;   in Loop: Header=BB115_17 Depth=1
	s_lshl_b32 s3, s2, 4
	s_waitcnt lgkmcnt(0)
	v_mov_b32_e32 v4, s3
	s_waitcnt_vscnt null, 0x0
	s_barrier
	buffer_gl0_inv
	s_lshl_b32 s2, s2, 3
	ds_load_b128 v[16:19], v4
	v_mov_b32_e32 v4, s2
	ds_load_b64 v[14:15], v4 offset:1024
	s_waitcnt lgkmcnt(1)
	v_cmp_eq_f64_e32 vcc_lo, 0, v[16:17]
	v_cmp_eq_f64_e64 s3, 0, v[18:19]
	s_waitcnt lgkmcnt(0)
	v_cmp_eq_u64_e64 s2, s[12:13], v[14:15]
	v_cmp_ne_u64_e64 s9, s[12:13], v[14:15]
	s_delay_alu instid0(VALU_DEP_3)
	s_and_b32 s3, vcc_lo, s3
	s_delay_alu instid0(VALU_DEP_2) | instid1(SALU_CYCLE_1)
	s_and_b32 s3, s3, s2
	s_delay_alu instid0(SALU_CYCLE_1) | instskip(NEXT) | instid1(SALU_CYCLE_1)
	s_and_b32 s3, s29, s3
	v_cndmask_b32_e64 v5, v19, 0, s3
	v_cndmask_b32_e64 v4, v18, 0, s3
	;; [unrolled: 1-line block ×4, first 2 shown]
	s_and_b32 s30, s1, s3
	s_delay_alu instid0(SALU_CYCLE_1)
	s_and_saveexec_b32 s3, s30
	s_cbranch_execz .LBB115_25
; %bb.22:                               ;   in Loop: Header=BB115_17 Depth=1
	v_mbcnt_lo_u32_b32 v4, exec_lo, 0
	s_mov_b32 s30, exec_lo
	s_delay_alu instid0(VALU_DEP_1)
	v_cmpx_eq_u32_e32 0, v4
	s_cbranch_execz .LBB115_24
; %bb.23:                               ;   in Loop: Header=BB115_17 Depth=1
	v_dual_mov_b32 v4, s24 :: v_dual_mov_b32 v5, s25
	global_atomic_min_u64 v9, v[4:5], s[22:23]
.LBB115_24:                             ;   in Loop: Header=BB115_17 Depth=1
	s_or_b32 exec_lo, exec_lo, s30
	v_mov_b32_e32 v4, 0
	v_dual_mov_b32 v5, 0 :: v_dual_mov_b32 v6, 0
	v_mov_b32_e32 v7, 0x3ff00000
.LBB115_25:                             ;   in Loop: Header=BB115_17 Depth=1
	s_or_b32 exec_lo, exec_lo, s3
	s_cmp_lt_i32 s17, 1
	s_mov_b32 s3, 0
	s_cbranch_scc1 .LBB115_31
; %bb.26:                               ;   in Loop: Header=BB115_17 Depth=1
	s_cmp_eq_u32 s17, 1
	s_cbranch_scc0 .LBB115_32
; %bb.27:                               ;   in Loop: Header=BB115_17 Depth=1
	v_cmp_le_i64_e32 vcc_lo, s[12:13], v[14:15]
	v_dual_mov_b32 v17, v11 :: v_dual_mov_b32 v16, v10
	v_dual_mov_b32 v19, v13 :: v_dual_mov_b32 v18, v12
	s_mov_b32 s30, 0
	s_cbranch_vccz .LBB115_34
; %bb.28:                               ;   in Loop: Header=BB115_17 Depth=1
	s_and_b32 vcc_lo, exec_lo, s2
	s_cbranch_vccz .LBB115_33
; %bb.29:                               ;   in Loop: Header=BB115_17 Depth=1
	v_dual_mov_b32 v17, v11 :: v_dual_mov_b32 v16, v10
	v_dual_mov_b32 v19, v13 :: v_dual_mov_b32 v18, v12
	s_and_not1_b32 vcc_lo, exec_lo, s29
	s_cbranch_vccnz .LBB115_34
; %bb.30:                               ;   in Loop: Header=BB115_17 Depth=1
	v_mul_f64 v[16:17], v[4:5], v[4:5]
	s_delay_alu instid0(VALU_DEP_1) | instskip(NEXT) | instid1(VALU_DEP_1)
	v_fma_f64 v[16:17], v[6:7], v[6:7], v[16:17]
	v_div_scale_f64 v[18:19], null, v[16:17], v[16:17], 1.0
	v_div_scale_f64 v[32:33], vcc_lo, 1.0, v[16:17], 1.0
	s_delay_alu instid0(VALU_DEP_2) | instskip(SKIP_2) | instid1(VALU_DEP_1)
	v_rcp_f64_e32 v[20:21], v[18:19]
	s_waitcnt_depctr 0xfff
	v_fma_f64 v[22:23], -v[18:19], v[20:21], 1.0
	v_fma_f64 v[20:21], v[20:21], v[22:23], v[20:21]
	s_delay_alu instid0(VALU_DEP_1) | instskip(NEXT) | instid1(VALU_DEP_1)
	v_fma_f64 v[22:23], -v[18:19], v[20:21], 1.0
	v_fma_f64 v[20:21], v[20:21], v[22:23], v[20:21]
	s_delay_alu instid0(VALU_DEP_1) | instskip(NEXT) | instid1(VALU_DEP_1)
	v_mul_f64 v[22:23], v[32:33], v[20:21]
	v_fma_f64 v[18:19], -v[18:19], v[22:23], v[32:33]
	s_delay_alu instid0(VALU_DEP_1) | instskip(SKIP_2) | instid1(VALU_DEP_3)
	v_div_fmas_f64 v[18:19], v[18:19], v[20:21], v[22:23]
	v_fma_f64 v[20:21], v[4:5], 0, v[6:7]
	v_fma_f64 v[22:23], v[6:7], 0, -v[4:5]
	v_div_fixup_f64 v[16:17], v[18:19], v[16:17], 1.0
	s_delay_alu instid0(VALU_DEP_1) | instskip(NEXT) | instid1(VALU_DEP_3)
	v_mul_f64 v[18:19], v[20:21], v[16:17]
	v_mul_f64 v[16:17], v[22:23], v[16:17]
	s_branch .LBB115_34
.LBB115_31:                             ;   in Loop: Header=BB115_17 Depth=1
	s_mov_b32 s30, 0
                                        ; implicit-def: $sgpr2
                                        ; implicit-def: $vgpr20_vgpr21
                                        ; implicit-def: $vgpr22_vgpr23
                                        ; implicit-def: $vgpr16_vgpr17
                                        ; implicit-def: $vgpr18_vgpr19
	s_cbranch_execnz .LBB115_35
	s_branch .LBB115_37
.LBB115_32:                             ;   in Loop: Header=BB115_17 Depth=1
	s_mov_b32 s30, -1
                                        ; implicit-def: $sgpr2
                                        ; implicit-def: $vgpr20_vgpr21
                                        ; implicit-def: $vgpr22_vgpr23
                                        ; implicit-def: $vgpr16_vgpr17
                                        ; implicit-def: $vgpr18_vgpr19
	s_branch .LBB115_37
.LBB115_33:                             ;   in Loop: Header=BB115_17 Depth=1
	s_mov_b32 s30, -1
                                        ; implicit-def: $vgpr16_vgpr17
                                        ; implicit-def: $vgpr18_vgpr19
.LBB115_34:                             ;   in Loop: Header=BB115_17 Depth=1
	v_dual_mov_b32 v21, v3 :: v_dual_mov_b32 v20, v2
	v_dual_mov_b32 v23, v1 :: v_dual_mov_b32 v22, v0
	s_mov_b32 s2, 4
	s_branch .LBB115_37
.LBB115_35:                             ;   in Loop: Header=BB115_17 Depth=1
	s_cmp_eq_u32 s17, 0
	s_cbranch_scc1 .LBB115_41
; %bb.36:                               ;   in Loop: Header=BB115_17 Depth=1
	s_mov_b32 s30, -1
                                        ; implicit-def: $sgpr2
                                        ; implicit-def: $vgpr20_vgpr21
                                        ; implicit-def: $vgpr22_vgpr23
                                        ; implicit-def: $vgpr16_vgpr17
                                        ; implicit-def: $vgpr18_vgpr19
.LBB115_37:                             ;   in Loop: Header=BB115_17 Depth=1
	s_delay_alu instid0(SALU_CYCLE_1)
	s_and_b32 vcc_lo, exec_lo, s30
	s_cbranch_vccnz .LBB115_44
.LBB115_38:                             ;   in Loop: Header=BB115_17 Depth=1
	s_and_b32 vcc_lo, exec_lo, s3
	s_cbranch_vccnz .LBB115_50
.LBB115_39:                             ;   in Loop: Header=BB115_17 Depth=1
	s_cmp_gt_i32 s2, 3
	s_mov_b32 s3, -1
	s_cbranch_scc1 .LBB115_53
.LBB115_40:                             ;   in Loop: Header=BB115_17 Depth=1
	s_cmp_eq_u32 s2, 0
	s_cselect_b32 s2, -1, 0
	s_delay_alu instid0(SALU_CYCLE_1)
	s_and_not1_b32 vcc_lo, exec_lo, s2
	s_cbranch_vccz .LBB115_15
	s_branch .LBB115_54
.LBB115_41:                             ;   in Loop: Header=BB115_17 Depth=1
	v_cmp_ge_i64_e32 vcc_lo, s[12:13], v[14:15]
	s_mov_b32 s30, 0
	s_cbranch_vccz .LBB115_43
; %bb.42:                               ;   in Loop: Header=BB115_17 Depth=1
	s_mov_b32 s3, -1
	s_mov_b32 s30, s9
.LBB115_43:                             ;   in Loop: Header=BB115_17 Depth=1
	v_dual_mov_b32 v21, v3 :: v_dual_mov_b32 v20, v2
	v_dual_mov_b32 v23, v1 :: v_dual_mov_b32 v22, v0
	;; [unrolled: 1-line block ×4, first 2 shown]
	s_mov_b32 s2, 2
	s_and_b32 vcc_lo, exec_lo, s30
	s_cbranch_vccz .LBB115_38
.LBB115_44:                             ;   in Loop: Header=BB115_17 Depth=1
	s_and_saveexec_b32 s2, s1
	s_cbranch_execz .LBB115_47
; %bb.45:                               ;   in Loop: Header=BB115_17 Depth=1
	v_lshlrev_b64 v[16:17], 2, v[14:15]
	s_delay_alu instid0(VALU_DEP_1) | instskip(NEXT) | instid1(VALU_DEP_2)
	v_add_co_u32 v16, vcc_lo, s19, v16
	v_add_co_ci_u32_e32 v17, vcc_lo, s28, v17, vcc_lo
	global_load_b32 v18, v[16:17], off glc
	s_waitcnt vmcnt(0)
	v_cmp_ne_u32_e32 vcc_lo, 0, v18
	s_cbranch_vccnz .LBB115_47
.LBB115_46:                             ;   Parent Loop BB115_17 Depth=1
                                        ; =>  This Inner Loop Header: Depth=2
	global_load_b32 v18, v[16:17], off glc
	s_waitcnt vmcnt(0)
	v_cmp_eq_u32_e32 vcc_lo, 0, v18
	s_cbranch_vccnz .LBB115_46
.LBB115_47:                             ;   in Loop: Header=BB115_17 Depth=1
	s_or_b32 exec_lo, exec_lo, s2
	v_mov_b32_e32 v20, 0
	v_mov_b32_e32 v21, 0
	s_waitcnt_vscnt null, 0x0
	s_barrier
	buffer_gl0_inv
	buffer_gl1_inv
	buffer_gl0_inv
	v_dual_mov_b32 v23, v21 :: v_dual_mov_b32 v22, v20
	s_and_saveexec_b32 s2, s0
	s_cbranch_execz .LBB115_49
; %bb.48:                               ;   in Loop: Header=BB115_17 Depth=1
	v_mul_lo_u32 v16, v14, s21
	v_mul_hi_u32 v17, v14, s20
	v_mul_lo_u32 v15, v15, s20
	v_mul_lo_u32 v14, v14, s20
	s_delay_alu instid0(VALU_DEP_3) | instskip(NEXT) | instid1(VALU_DEP_1)
	v_add_nc_u32_e32 v16, v17, v16
	v_add_nc_u32_e32 v15, v16, v15
	s_delay_alu instid0(VALU_DEP_1) | instskip(NEXT) | instid1(VALU_DEP_1)
	v_lshlrev_b64 v[14:15], 4, v[14:15]
	v_add_co_u32 v14, vcc_lo, v24, v14
	s_delay_alu instid0(VALU_DEP_2) | instskip(SKIP_4) | instid1(VALU_DEP_2)
	v_add_co_ci_u32_e32 v15, vcc_lo, v25, v15, vcc_lo
	global_load_b128 v[14:17], v[14:15], off
	s_waitcnt vmcnt(0)
	v_fma_f64 v[18:19], -v[6:7], v[14:15], v[0:1]
	v_fma_f64 v[14:15], -v[4:5], v[14:15], v[2:3]
	v_fma_f64 v[22:23], v[4:5], v[16:17], v[18:19]
	s_delay_alu instid0(VALU_DEP_2)
	v_fma_f64 v[20:21], -v[6:7], v[16:17], v[14:15]
.LBB115_49:                             ;   in Loop: Header=BB115_17 Depth=1
	s_or_b32 exec_lo, exec_lo, s2
	v_dual_mov_b32 v17, v11 :: v_dual_mov_b32 v16, v10
	v_dual_mov_b32 v19, v13 :: v_dual_mov_b32 v18, v12
	s_mov_b32 s2, 0
	s_branch .LBB115_39
.LBB115_50:                             ;   in Loop: Header=BB115_17 Depth=1
	s_and_not1_b32 vcc_lo, exec_lo, s29
	s_cbranch_vccnz .LBB115_52
; %bb.51:                               ;   in Loop: Header=BB115_17 Depth=1
	v_mul_f64 v[10:11], v[4:5], v[4:5]
	s_delay_alu instid0(VALU_DEP_1) | instskip(NEXT) | instid1(VALU_DEP_1)
	v_fma_f64 v[10:11], v[6:7], v[6:7], v[10:11]
	v_div_scale_f64 v[12:13], null, v[10:11], v[10:11], 1.0
	v_div_scale_f64 v[18:19], vcc_lo, 1.0, v[10:11], 1.0
	s_delay_alu instid0(VALU_DEP_2) | instskip(SKIP_2) | instid1(VALU_DEP_1)
	v_rcp_f64_e32 v[14:15], v[12:13]
	s_waitcnt_depctr 0xfff
	v_fma_f64 v[16:17], -v[12:13], v[14:15], 1.0
	v_fma_f64 v[14:15], v[14:15], v[16:17], v[14:15]
	s_delay_alu instid0(VALU_DEP_1) | instskip(NEXT) | instid1(VALU_DEP_1)
	v_fma_f64 v[16:17], -v[12:13], v[14:15], 1.0
	v_fma_f64 v[14:15], v[14:15], v[16:17], v[14:15]
	s_delay_alu instid0(VALU_DEP_1) | instskip(NEXT) | instid1(VALU_DEP_1)
	v_mul_f64 v[16:17], v[18:19], v[14:15]
	v_fma_f64 v[12:13], -v[12:13], v[16:17], v[18:19]
	s_delay_alu instid0(VALU_DEP_1) | instskip(SKIP_2) | instid1(VALU_DEP_3)
	v_div_fmas_f64 v[12:13], v[12:13], v[14:15], v[16:17]
	v_fma_f64 v[14:15], v[4:5], 0, v[6:7]
	v_fma_f64 v[4:5], v[6:7], 0, -v[4:5]
	v_div_fixup_f64 v[10:11], v[12:13], v[10:11], 1.0
	s_delay_alu instid0(VALU_DEP_1) | instskip(NEXT) | instid1(VALU_DEP_3)
	v_mul_f64 v[12:13], v[14:15], v[10:11]
	v_mul_f64 v[10:11], v[4:5], v[10:11]
.LBB115_52:                             ;   in Loop: Header=BB115_17 Depth=1
	s_delay_alu instid0(VALU_DEP_2) | instskip(NEXT) | instid1(VALU_DEP_2)
	v_dual_mov_b32 v19, v13 :: v_dual_mov_b32 v18, v12
	v_dual_mov_b32 v17, v11 :: v_dual_mov_b32 v16, v10
	v_dual_mov_b32 v23, v1 :: v_dual_mov_b32 v22, v0
	v_dual_mov_b32 v21, v3 :: v_dual_mov_b32 v20, v2
	s_mov_b32 s2, 2
	s_delay_alu instid0(SALU_CYCLE_1)
	s_cmp_gt_i32 s2, 3
	s_mov_b32 s3, -1
	s_cbranch_scc0 .LBB115_40
.LBB115_53:                             ;   in Loop: Header=BB115_17 Depth=1
	s_branch .LBB115_15
.LBB115_54:                             ;   in Loop: Header=BB115_17 Depth=1
                                        ; implicit-def: $sgpr26_sgpr27
	s_branch .LBB115_16
.LBB115_55:
	v_mov_b32_e32 v16, 0
	v_dual_mov_b32 v17, 0 :: v_dual_mov_b32 v18, 0
	v_mov_b32_e32 v19, 0x3ff00000
	s_cmp_lg_u32 s18, 0
	s_cbranch_scc1 .LBB115_58
	s_branch .LBB115_57
.LBB115_56:
	v_dual_mov_b32 v2, v20 :: v_dual_mov_b32 v3, v21
	v_dual_mov_b32 v0, v22 :: v_dual_mov_b32 v1, v23
	s_cmp_lg_u32 s18, 0
	s_cbranch_scc1 .LBB115_58
.LBB115_57:
	s_delay_alu instid0(VALU_DEP_2) | instskip(NEXT) | instid1(VALU_DEP_2)
	v_mul_f64 v[4:5], v[16:17], -v[2:3]
	v_mul_f64 v[6:7], v[16:17], v[0:1]
	s_delay_alu instid0(VALU_DEP_2) | instskip(NEXT) | instid1(VALU_DEP_2)
	v_fma_f64 v[0:1], v[0:1], v[18:19], v[4:5]
	v_fma_f64 v[2:3], v[2:3], v[18:19], v[6:7]
.LBB115_58:
	s_and_saveexec_b32 s1, s0
	s_cbranch_execz .LBB115_60
; %bb.59:
	s_lshl_b64 s[2:3], s[14:15], 4
	s_delay_alu instid0(SALU_CYCLE_1)
	v_add_co_u32 v4, vcc_lo, v24, s2
	v_add_co_ci_u32_e32 v5, vcc_lo, s3, v25, vcc_lo
	global_store_b128 v[4:5], v[0:3], off
.LBB115_60:
	s_or_b32 exec_lo, exec_lo, s1
	s_waitcnt_vscnt null, 0x0
	buffer_gl1_inv
	buffer_gl0_inv
	s_barrier
	buffer_gl0_inv
	s_mov_b32 s0, exec_lo
	v_cmpx_eq_u32_e32 0, v8
	s_cbranch_execz .LBB115_62
; %bb.61:
	s_lshl_b64 s[0:1], s[12:13], 2
	v_dual_mov_b32 v0, 0 :: v_dual_mov_b32 v1, 1
	s_add_u32 s2, s6, s0
	s_addc_u32 s3, s7, s1
	s_lshl_b64 s[0:1], s[4:5], 2
	s_delay_alu instid0(SALU_CYCLE_1)
	s_add_u32 s0, s2, s0
	s_addc_u32 s1, s3, s1
	global_store_b32 v0, v1, s[0:1]
.LBB115_62:
	s_nop 0
	s_sendmsg sendmsg(MSG_DEALLOC_VGPRS)
	s_endpgm
.LBB115_63:
                                        ; implicit-def: $sgpr24_sgpr25
	s_load_b64 s[22:23], s[2:3], 0x40
	s_branch .LBB115_4
	.section	.rodata,"a",@progbits
	.p2align	6, 0x0
	.amdhsa_kernel _ZN9rocsparseL5csrsmILj64ELj64ELb0Ell21rocsparse_complex_numIdEEEv20rocsparse_operation_T3_S4_NS_24const_host_device_scalarIT4_EEPKT2_PKS4_PKS6_PS6_lPiSC_PS4_21rocsparse_index_base_20rocsparse_fill_mode_20rocsparse_diag_type_b
		.amdhsa_group_segment_fixed_size 2048
		.amdhsa_private_segment_fixed_size 0
		.amdhsa_kernarg_size 120
		.amdhsa_user_sgpr_count 15
		.amdhsa_user_sgpr_dispatch_ptr 1
		.amdhsa_user_sgpr_queue_ptr 0
		.amdhsa_user_sgpr_kernarg_segment_ptr 1
		.amdhsa_user_sgpr_dispatch_id 0
		.amdhsa_user_sgpr_private_segment_size 0
		.amdhsa_wavefront_size32 1
		.amdhsa_uses_dynamic_stack 0
		.amdhsa_enable_private_segment 0
		.amdhsa_system_sgpr_workgroup_id_x 1
		.amdhsa_system_sgpr_workgroup_id_y 0
		.amdhsa_system_sgpr_workgroup_id_z 0
		.amdhsa_system_sgpr_workgroup_info 0
		.amdhsa_system_vgpr_workitem_id 2
		.amdhsa_next_free_vgpr 34
		.amdhsa_next_free_sgpr 32
		.amdhsa_reserve_vcc 1
		.amdhsa_float_round_mode_32 0
		.amdhsa_float_round_mode_16_64 0
		.amdhsa_float_denorm_mode_32 3
		.amdhsa_float_denorm_mode_16_64 3
		.amdhsa_dx10_clamp 1
		.amdhsa_ieee_mode 1
		.amdhsa_fp16_overflow 0
		.amdhsa_workgroup_processor_mode 1
		.amdhsa_memory_ordered 1
		.amdhsa_forward_progress 0
		.amdhsa_shared_vgpr_count 0
		.amdhsa_exception_fp_ieee_invalid_op 0
		.amdhsa_exception_fp_denorm_src 0
		.amdhsa_exception_fp_ieee_div_zero 0
		.amdhsa_exception_fp_ieee_overflow 0
		.amdhsa_exception_fp_ieee_underflow 0
		.amdhsa_exception_fp_ieee_inexact 0
		.amdhsa_exception_int_div_zero 0
	.end_amdhsa_kernel
	.section	.text._ZN9rocsparseL5csrsmILj64ELj64ELb0Ell21rocsparse_complex_numIdEEEv20rocsparse_operation_T3_S4_NS_24const_host_device_scalarIT4_EEPKT2_PKS4_PKS6_PS6_lPiSC_PS4_21rocsparse_index_base_20rocsparse_fill_mode_20rocsparse_diag_type_b,"axG",@progbits,_ZN9rocsparseL5csrsmILj64ELj64ELb0Ell21rocsparse_complex_numIdEEEv20rocsparse_operation_T3_S4_NS_24const_host_device_scalarIT4_EEPKT2_PKS4_PKS6_PS6_lPiSC_PS4_21rocsparse_index_base_20rocsparse_fill_mode_20rocsparse_diag_type_b,comdat
.Lfunc_end115:
	.size	_ZN9rocsparseL5csrsmILj64ELj64ELb0Ell21rocsparse_complex_numIdEEEv20rocsparse_operation_T3_S4_NS_24const_host_device_scalarIT4_EEPKT2_PKS4_PKS6_PS6_lPiSC_PS4_21rocsparse_index_base_20rocsparse_fill_mode_20rocsparse_diag_type_b, .Lfunc_end115-_ZN9rocsparseL5csrsmILj64ELj64ELb0Ell21rocsparse_complex_numIdEEEv20rocsparse_operation_T3_S4_NS_24const_host_device_scalarIT4_EEPKT2_PKS4_PKS6_PS6_lPiSC_PS4_21rocsparse_index_base_20rocsparse_fill_mode_20rocsparse_diag_type_b
                                        ; -- End function
	.section	.AMDGPU.csdata,"",@progbits
; Kernel info:
; codeLenInByte = 3204
; NumSgprs: 34
; NumVgprs: 34
; ScratchSize: 0
; MemoryBound: 1
; FloatMode: 240
; IeeeMode: 1
; LDSByteSize: 2048 bytes/workgroup (compile time only)
; SGPRBlocks: 4
; VGPRBlocks: 4
; NumSGPRsForWavesPerEU: 34
; NumVGPRsForWavesPerEU: 34
; Occupancy: 16
; WaveLimiterHint : 1
; COMPUTE_PGM_RSRC2:SCRATCH_EN: 0
; COMPUTE_PGM_RSRC2:USER_SGPR: 15
; COMPUTE_PGM_RSRC2:TRAP_HANDLER: 0
; COMPUTE_PGM_RSRC2:TGID_X_EN: 1
; COMPUTE_PGM_RSRC2:TGID_Y_EN: 0
; COMPUTE_PGM_RSRC2:TGID_Z_EN: 0
; COMPUTE_PGM_RSRC2:TIDIG_COMP_CNT: 2
	.section	.text._ZN9rocsparseL5csrsmILj128ELj64ELb1Ell21rocsparse_complex_numIdEEEv20rocsparse_operation_T3_S4_NS_24const_host_device_scalarIT4_EEPKT2_PKS4_PKS6_PS6_lPiSC_PS4_21rocsparse_index_base_20rocsparse_fill_mode_20rocsparse_diag_type_b,"axG",@progbits,_ZN9rocsparseL5csrsmILj128ELj64ELb1Ell21rocsparse_complex_numIdEEEv20rocsparse_operation_T3_S4_NS_24const_host_device_scalarIT4_EEPKT2_PKS4_PKS6_PS6_lPiSC_PS4_21rocsparse_index_base_20rocsparse_fill_mode_20rocsparse_diag_type_b,comdat
	.globl	_ZN9rocsparseL5csrsmILj128ELj64ELb1Ell21rocsparse_complex_numIdEEEv20rocsparse_operation_T3_S4_NS_24const_host_device_scalarIT4_EEPKT2_PKS4_PKS6_PS6_lPiSC_PS4_21rocsparse_index_base_20rocsparse_fill_mode_20rocsparse_diag_type_b ; -- Begin function _ZN9rocsparseL5csrsmILj128ELj64ELb1Ell21rocsparse_complex_numIdEEEv20rocsparse_operation_T3_S4_NS_24const_host_device_scalarIT4_EEPKT2_PKS4_PKS6_PS6_lPiSC_PS4_21rocsparse_index_base_20rocsparse_fill_mode_20rocsparse_diag_type_b
	.p2align	8
	.type	_ZN9rocsparseL5csrsmILj128ELj64ELb1Ell21rocsparse_complex_numIdEEEv20rocsparse_operation_T3_S4_NS_24const_host_device_scalarIT4_EEPKT2_PKS4_PKS6_PS6_lPiSC_PS4_21rocsparse_index_base_20rocsparse_fill_mode_20rocsparse_diag_type_b,@function
_ZN9rocsparseL5csrsmILj128ELj64ELb1Ell21rocsparse_complex_numIdEEEv20rocsparse_operation_T3_S4_NS_24const_host_device_scalarIT4_EEPKT2_PKS4_PKS6_PS6_lPiSC_PS4_21rocsparse_index_base_20rocsparse_fill_mode_20rocsparse_diag_type_b: ; @_ZN9rocsparseL5csrsmILj128ELj64ELb1Ell21rocsparse_complex_numIdEEEv20rocsparse_operation_T3_S4_NS_24const_host_device_scalarIT4_EEPKT2_PKS4_PKS6_PS6_lPiSC_PS4_21rocsparse_index_base_20rocsparse_fill_mode_20rocsparse_diag_type_b
; %bb.0:
	s_load_b64 s[0:1], s[0:1], 0x4
	s_clause 0x1
	s_load_b128 s[16:19], s[2:3], 0x68
	s_load_b256 s[4:11], s[2:3], 0x8
	v_bfe_u32 v1, v0, 10, 10
	v_and_b32_e32 v8, 0x3ff, v0
	v_bfe_u32 v0, v0, 20, 10
	s_waitcnt lgkmcnt(0)
	s_delay_alu instid0(VALU_DEP_3)
	v_mul_u32_u24_e32 v1, s1, v1
	s_lshr_b32 s0, s0, 16
	v_mov_b32_e32 v2, s8
	s_mul_i32 s0, s0, s1
	v_mov_b32_e32 v3, s9
	v_mad_u32_u24 v1, s0, v8, v1
	s_and_b32 s0, 1, s19
	v_dual_mov_b32 v6, s10 :: v_dual_mov_b32 v7, s11
	s_cmp_eq_u32 s0, 1
	s_delay_alu instid0(VALU_DEP_2) | instskip(SKIP_2) | instid1(VALU_DEP_1)
	v_add_lshl_u32 v4, v1, v0, 3
	s_cselect_b32 vcc_lo, -1, 0
	s_mov_b64 s[0:1], src_shared_base
	v_add_nc_u32_e32 v0, 0xc00, v4
	ds_store_b64 v4, v[2:3] offset:3072
	v_cndmask_b32_e32 v0, s8, v0, vcc_lo
	s_and_b32 vcc_lo, exec_lo, vcc_lo
	s_cselect_b32 s0, s1, s9
	s_delay_alu instid0(SALU_CYCLE_1)
	v_mov_b32_e32 v1, s0
	flat_load_b64 v[4:5], v[0:1]
	s_cbranch_vccnz .LBB116_2
; %bb.1:
	v_dual_mov_b32 v0, s8 :: v_dual_mov_b32 v1, s9
	flat_load_b64 v[6:7], v[0:1] offset:8
.LBB116_2:
	s_clause 0x1
	s_load_b64 s[8:9], s[2:3], 0x58
	s_load_b64 s[0:1], s[2:3], 0x28
	s_mov_b32 s10, 0
	s_mov_b32 s11, s5
	s_delay_alu instid0(SALU_CYCLE_1)
	s_cmp_lg_u64 s[10:11], 0
	s_cbranch_scc0 .LBB116_66
; %bb.3:
	s_ashr_i32 s12, s5, 31
	s_delay_alu instid0(SALU_CYCLE_1) | instskip(SKIP_2) | instid1(SALU_CYCLE_1)
	s_add_u32 s20, s4, s12
	s_mov_b32 s13, s12
	s_addc_u32 s21, s5, s12
	s_xor_b64 s[20:21], s[20:21], s[12:13]
	s_delay_alu instid0(SALU_CYCLE_1) | instskip(SKIP_3) | instid1(VALU_DEP_1)
	v_cvt_f32_u32_e32 v0, s20
	v_cvt_f32_u32_e32 v1, s21
	s_sub_u32 s19, 0, s20
	s_subb_u32 s22, 0, s21
	v_fmamk_f32 v0, v1, 0x4f800000, v0
	s_delay_alu instid0(VALU_DEP_1) | instskip(SKIP_2) | instid1(VALU_DEP_1)
	v_rcp_f32_e32 v0, v0
	s_waitcnt_depctr 0xfff
	v_mul_f32_e32 v0, 0x5f7ffffc, v0
	v_mul_f32_e32 v1, 0x2f800000, v0
	s_delay_alu instid0(VALU_DEP_1) | instskip(NEXT) | instid1(VALU_DEP_1)
	v_trunc_f32_e32 v1, v1
	v_fmamk_f32 v0, v1, 0xcf800000, v0
	v_cvt_u32_f32_e32 v1, v1
	s_delay_alu instid0(VALU_DEP_2) | instskip(NEXT) | instid1(VALU_DEP_2)
	v_cvt_u32_f32_e32 v0, v0
	v_readfirstlane_b32 s11, v1
	s_delay_alu instid0(VALU_DEP_2) | instskip(NEXT) | instid1(VALU_DEP_2)
	v_readfirstlane_b32 s14, v0
	s_mul_i32 s23, s19, s11
	s_delay_alu instid0(VALU_DEP_1)
	s_mul_hi_u32 s25, s19, s14
	s_mul_i32 s24, s22, s14
	s_add_i32 s23, s25, s23
	s_mul_i32 s26, s19, s14
	s_add_i32 s23, s23, s24
	s_mul_hi_u32 s25, s14, s26
	s_mul_hi_u32 s27, s11, s26
	s_mul_i32 s24, s11, s26
	s_mul_hi_u32 s26, s14, s23
	s_mul_i32 s14, s14, s23
	s_mul_hi_u32 s28, s11, s23
	s_add_u32 s14, s25, s14
	s_addc_u32 s25, 0, s26
	s_add_u32 s14, s14, s24
	s_mul_i32 s23, s11, s23
	s_addc_u32 s14, s25, s27
	s_addc_u32 s24, s28, 0
	s_add_u32 s14, s14, s23
	s_addc_u32 s23, 0, s24
	v_add_co_u32 v0, s14, v0, s14
	s_delay_alu instid0(VALU_DEP_1) | instskip(SKIP_1) | instid1(VALU_DEP_1)
	s_cmp_lg_u32 s14, 0
	s_addc_u32 s11, s11, s23
	v_readfirstlane_b32 s14, v0
	s_mul_i32 s23, s19, s11
	s_delay_alu instid0(VALU_DEP_1)
	s_mul_hi_u32 s24, s19, s14
	s_mul_i32 s22, s22, s14
	s_add_i32 s23, s24, s23
	s_mul_i32 s19, s19, s14
	s_add_i32 s23, s23, s22
	s_mul_hi_u32 s24, s11, s19
	s_mul_i32 s25, s11, s19
	s_mul_hi_u32 s19, s14, s19
	s_mul_hi_u32 s26, s14, s23
	s_mul_i32 s14, s14, s23
	s_mul_hi_u32 s22, s11, s23
	s_add_u32 s14, s19, s14
	s_addc_u32 s19, 0, s26
	s_add_u32 s14, s14, s25
	s_mul_i32 s23, s11, s23
	s_addc_u32 s14, s19, s24
	s_addc_u32 s19, s22, 0
	s_add_u32 s14, s14, s23
	s_addc_u32 s19, 0, s19
	v_add_co_u32 v0, s14, v0, s14
	s_delay_alu instid0(VALU_DEP_1) | instskip(SKIP_1) | instid1(VALU_DEP_1)
	s_cmp_lg_u32 s14, 0
	s_addc_u32 s11, s11, s19
	v_readfirstlane_b32 s14, v0
	s_mul_i32 s19, s15, s11
	s_mul_hi_u32 s11, s15, s11
	s_delay_alu instid0(VALU_DEP_1) | instskip(NEXT) | instid1(SALU_CYCLE_1)
	s_mul_hi_u32 s14, s15, s14
	s_add_u32 s14, s14, s19
	s_addc_u32 s11, 0, s11
	s_add_u32 s14, s14, 0
	s_addc_u32 s11, s11, 0
	s_addc_u32 s14, 0, 0
	s_add_u32 s11, s11, 0
	s_addc_u32 s14, 0, s14
	s_mul_hi_u32 s19, s20, s11
	s_mul_i32 s23, s20, s14
	s_mul_i32 s24, s20, s11
	s_add_i32 s19, s19, s23
	v_sub_co_u32 v0, s23, s15, s24
	s_mul_i32 s22, s21, s11
	s_delay_alu instid0(SALU_CYCLE_1) | instskip(NEXT) | instid1(VALU_DEP_1)
	s_add_i32 s19, s19, s22
	v_sub_co_u32 v1, s24, v0, s20
	s_sub_i32 s22, 0, s19
	s_cmp_lg_u32 s23, 0
	s_subb_u32 s22, s22, s21
	s_cmp_lg_u32 s24, 0
	v_readfirstlane_b32 s24, v1
	s_subb_u32 s22, s22, 0
	s_delay_alu instid0(SALU_CYCLE_1) | instskip(SKIP_1) | instid1(VALU_DEP_1)
	s_cmp_ge_u32 s22, s21
	s_cselect_b32 s25, -1, 0
	s_cmp_ge_u32 s24, s20
	s_cselect_b32 s24, -1, 0
	s_cmp_eq_u32 s22, s21
	s_cselect_b32 s22, s24, s25
	s_add_u32 s24, s11, 1
	s_addc_u32 s25, s14, 0
	s_add_u32 s26, s11, 2
	s_addc_u32 s27, s14, 0
	s_cmp_lg_u32 s22, 0
	s_cselect_b32 s22, s26, s24
	s_cselect_b32 s24, s27, s25
	s_cmp_lg_u32 s23, 0
	v_readfirstlane_b32 s23, v0
	s_subb_u32 s19, 0, s19
	s_delay_alu instid0(SALU_CYCLE_1) | instskip(SKIP_1) | instid1(VALU_DEP_1)
	s_cmp_ge_u32 s19, s21
	s_cselect_b32 s25, -1, 0
	s_cmp_ge_u32 s23, s20
	s_cselect_b32 s20, -1, 0
	s_cmp_eq_u32 s19, s21
	s_cselect_b32 s19, s20, s25
	s_delay_alu instid0(SALU_CYCLE_1) | instskip(SKIP_2) | instid1(SALU_CYCLE_1)
	s_cmp_lg_u32 s19, 0
	s_cselect_b32 s21, s24, s14
	s_cselect_b32 s20, s22, s11
	s_xor_b64 s[20:21], s[20:21], s[12:13]
	s_delay_alu instid0(SALU_CYCLE_1)
	s_sub_u32 s24, s20, s12
	s_subb_u32 s25, s21, s12
	s_load_b64 s[22:23], s[2:3], 0x40
	s_and_not1_b32 vcc_lo, exec_lo, s10
	s_cbranch_vccnz .LBB116_5
.LBB116_4:
	v_cvt_f32_u32_e32 v0, s4
	s_sub_i32 s11, 0, s4
	s_mov_b32 s25, 0
	s_delay_alu instid0(VALU_DEP_1) | instskip(SKIP_2) | instid1(VALU_DEP_1)
	v_rcp_iflag_f32_e32 v0, v0
	s_waitcnt_depctr 0xfff
	v_mul_f32_e32 v0, 0x4f7ffffe, v0
	v_cvt_u32_f32_e32 v0, v0
	s_delay_alu instid0(VALU_DEP_1) | instskip(NEXT) | instid1(VALU_DEP_1)
	v_readfirstlane_b32 s10, v0
	s_mul_i32 s11, s11, s10
	s_delay_alu instid0(SALU_CYCLE_1) | instskip(NEXT) | instid1(SALU_CYCLE_1)
	s_mul_hi_u32 s11, s10, s11
	s_add_i32 s10, s10, s11
	s_delay_alu instid0(SALU_CYCLE_1) | instskip(NEXT) | instid1(SALU_CYCLE_1)
	s_mul_hi_u32 s10, s15, s10
	s_mul_i32 s11, s10, s4
	s_add_i32 s12, s10, 1
	s_sub_i32 s11, s15, s11
	s_delay_alu instid0(SALU_CYCLE_1)
	s_sub_i32 s13, s11, s4
	s_cmp_ge_u32 s11, s4
	s_cselect_b32 s10, s12, s10
	s_cselect_b32 s11, s13, s11
	s_add_i32 s12, s10, 1
	s_cmp_ge_u32 s11, s4
	s_cselect_b32 s24, s12, s10
.LBB116_5:
	s_delay_alu instid0(SALU_CYCLE_1)
	s_mul_i32 s5, s24, s5
	s_mul_hi_u32 s10, s24, s4
	s_load_b32 s19, s[2:3], 0x0
	s_add_i32 s5, s10, s5
	s_mul_i32 s10, s25, s4
	s_mul_i32 s4, s24, s4
	s_add_i32 s5, s5, s10
	s_sub_u32 s10, s15, s4
	s_subb_u32 s11, 0, s5
	s_delay_alu instid0(SALU_CYCLE_1)
	s_lshl_b64 s[10:11], s[10:11], 3
	s_waitcnt lgkmcnt(0)
	s_add_u32 s8, s8, s10
	s_addc_u32 s9, s9, s11
	s_load_b64 s[12:13], s[8:9], 0x0
	s_load_b64 s[20:21], s[2:3], 0x48
	s_waitcnt lgkmcnt(0)
	s_lshl_b64 s[8:9], s[12:13], 3
	s_mul_i32 s14, s12, s20
	s_add_u32 s0, s0, s8
	s_addc_u32 s1, s1, s9
	s_lshl_b64 s[24:25], s[24:25], 7
	s_load_b128 s[8:11], s[0:1], 0x0
	v_or_b32_e32 v9, s24, v8
	s_mul_i32 s0, s12, s21
	s_mul_hi_u32 s1, s12, s20
	v_mov_b32_e32 v10, s25
	v_mov_b32_e32 v0, s25
	s_add_i32 s0, s1, s0
	s_mul_i32 s1, s13, s20
	v_add_co_u32 v11, vcc_lo, v9, s14
	s_add_i32 s15, s0, s1
	v_cmp_gt_i64_e64 s0, s[6:7], v[9:10]
	v_add_co_ci_u32_e32 v12, vcc_lo, s15, v0, vcc_lo
	s_cmpk_lg_i32 s19, 0x71
	s_cbranch_scc0 .LBB116_9
; %bb.6:
	v_mov_b32_e32 v2, 0
	v_mov_b32_e32 v3, 0
	s_delay_alu instid0(VALU_DEP_1)
	v_dual_mov_b32 v0, v2 :: v_dual_mov_b32 v1, v3
	s_and_saveexec_b32 s1, s0
	s_cbranch_execz .LBB116_8
; %bb.7:
	v_lshlrev_b64 v[0:1], 4, v[11:12]
	s_delay_alu instid0(VALU_DEP_1) | instskip(NEXT) | instid1(VALU_DEP_2)
	v_add_co_u32 v0, vcc_lo, s22, v0
	v_add_co_ci_u32_e32 v1, vcc_lo, s23, v1, vcc_lo
	global_load_b128 v[13:16], v[0:1], off
	s_waitcnt vmcnt(0)
	v_mul_f64 v[0:1], v[15:16], -v[6:7]
	v_mul_f64 v[2:3], v[4:5], v[15:16]
	s_delay_alu instid0(VALU_DEP_2) | instskip(NEXT) | instid1(VALU_DEP_2)
	v_fma_f64 v[0:1], v[4:5], v[13:14], v[0:1]
	v_fma_f64 v[2:3], v[6:7], v[13:14], v[2:3]
.LBB116_8:
	s_or_b32 exec_lo, exec_lo, s1
	s_load_b64 s[6:7], s[2:3], 0x50
	s_cbranch_execz .LBB116_10
	s_branch .LBB116_13
.LBB116_9:
                                        ; implicit-def: $vgpr2_vgpr3
	s_load_b64 s[6:7], s[2:3], 0x50
.LBB116_10:
	v_mov_b32_e32 v2, 0
	v_mov_b32_e32 v3, 0
	s_delay_alu instid0(VALU_DEP_1)
	v_dual_mov_b32 v0, v2 :: v_dual_mov_b32 v1, v3
	s_and_saveexec_b32 s1, s0
	s_cbranch_execz .LBB116_12
; %bb.11:
	v_lshlrev_b64 v[0:1], 4, v[11:12]
	s_delay_alu instid0(VALU_DEP_1) | instskip(NEXT) | instid1(VALU_DEP_2)
	v_add_co_u32 v0, vcc_lo, s22, v0
	v_add_co_ci_u32_e32 v1, vcc_lo, s23, v1, vcc_lo
	global_load_b128 v[11:14], v[0:1], off
	s_waitcnt vmcnt(0)
	v_mul_f64 v[0:1], v[6:7], v[13:14]
	v_mul_f64 v[2:3], v[4:5], -v[13:14]
	s_delay_alu instid0(VALU_DEP_2) | instskip(NEXT) | instid1(VALU_DEP_2)
	v_fma_f64 v[0:1], v[4:5], v[11:12], v[0:1]
	v_fma_f64 v[2:3], v[6:7], v[11:12], v[2:3]
.LBB116_12:
	s_or_b32 exec_lo, exec_lo, s1
.LBB116_13:
	s_waitcnt vmcnt(0)
	v_lshlrev_b64 v[4:5], 4, v[9:10]
	s_waitcnt lgkmcnt(0)
	v_cmp_ge_i64_e64 s1, s[8:9], s[10:11]
	s_delay_alu instid0(VALU_DEP_2) | instskip(NEXT) | instid1(VALU_DEP_3)
	v_add_co_u32 v24, vcc_lo, s22, v4
	v_add_co_ci_u32_e32 v25, vcc_lo, s23, v5, vcc_lo
	s_delay_alu instid0(VALU_DEP_3)
	s_and_b32 vcc_lo, exec_lo, s1
	v_cmp_eq_u32_e64 s1, 0, v8
	s_cbranch_vccnz .LBB116_58
; %bb.14:
	s_clause 0x1
	s_load_b128 s[24:27], s[2:3], 0x30
	s_load_b64 s[22:23], s[2:3], 0x60
	v_dual_mov_b32 v9, 0 :: v_dual_lshlrev_b32 v4, 3, v8
	s_lshl_b64 s[2:3], s[4:5], 2
	v_dual_mov_b32 v10, 0 :: v_dual_lshlrev_b32 v5, 4, v8
	s_add_u32 s19, s6, s2
	s_addc_u32 s28, s7, s3
	s_sub_u32 s8, s8, s16
	s_subb_u32 s9, s9, 0
	s_sub_u32 s10, s10, s16
	s_subb_u32 s11, s11, 0
	v_dual_mov_b32 v12, 0 :: v_dual_lshlrev_b32 v31, 4, v8
	v_lshl_or_b32 v26, v8, 3, 0x800
	s_cmp_eq_u32 s18, 0
	v_mov_b32_e32 v11, 0
	v_mov_b32_e32 v13, 0x3ff00000
	s_cselect_b32 s29, -1, 0
	s_waitcnt lgkmcnt(0)
	v_add_co_u32 v27, s2, s24, v4
	s_delay_alu instid0(VALU_DEP_1) | instskip(SKIP_1) | instid1(VALU_DEP_1)
	v_add_co_ci_u32_e64 v28, null, s25, 0, s2
	v_add_co_u32 v29, s2, s26, v5
	v_add_co_ci_u32_e64 v30, null, s27, 0, s2
	s_add_u32 s24, s12, s16
	s_addc_u32 s25, s13, 0
	s_mov_b64 s[26:27], s[8:9]
	s_branch .LBB116_17
.LBB116_15:                             ;   in Loop: Header=BB116_17 Depth=1
	s_add_u32 s26, s26, 1
	s_addc_u32 s27, s27, 0
	s_delay_alu instid0(SALU_CYCLE_1)
	v_cmp_ge_i64_e64 s3, s[26:27], s[10:11]
.LBB116_16:                             ;   in Loop: Header=BB116_17 Depth=1
	s_delay_alu instid0(VALU_DEP_3) | instskip(NEXT) | instid1(VALU_DEP_4)
	v_dual_mov_b32 v2, v20 :: v_dual_mov_b32 v3, v21
	v_dual_mov_b32 v0, v22 :: v_dual_mov_b32 v1, v23
	s_delay_alu instid0(VALU_DEP_4) | instskip(NEXT) | instid1(VALU_DEP_4)
	v_dual_mov_b32 v10, v16 :: v_dual_mov_b32 v11, v17
	v_dual_mov_b32 v12, v18 :: v_dual_mov_b32 v13, v19
	s_and_not1_b32 vcc_lo, exec_lo, s3
	s_cbranch_vccz .LBB116_59
.LBB116_17:                             ; =>This Loop Header: Depth=1
                                        ;     Child Loop BB116_56 Depth 2
                                        ;       Child Loop BB116_57 Depth 3
	s_sub_i32 s2, s26, s8
	s_delay_alu instid0(SALU_CYCLE_1) | instskip(NEXT) | instid1(SALU_CYCLE_1)
	s_and_b32 s2, s2, 0x7f
	s_cmp_lg_u32 s2, 0
	s_cbranch_scc1 .LBB116_21
; %bb.18:                               ;   in Loop: Header=BB116_17 Depth=1
	v_mov_b32_e32 v14, -1
	v_dual_mov_b32 v15, -1 :: v_dual_mov_b32 v6, 0
	v_dual_mov_b32 v4, 0 :: v_dual_mov_b32 v7, 0
	v_mov_b32_e32 v5, 0xbff00000
	s_sub_u32 s30, s10, s26
	s_subb_u32 s31, s11, s27
	s_mov_b32 s3, exec_lo
	v_cmpx_gt_i64_e64 s[30:31], v[8:9]
	s_cbranch_execz .LBB116_20
; %bb.19:                               ;   in Loop: Header=BB116_17 Depth=1
	s_lshl_b64 s[30:31], s[26:27], 3
	s_delay_alu instid0(SALU_CYCLE_1)
	v_add_co_u32 v4, vcc_lo, v27, s30
	v_add_co_ci_u32_e32 v5, vcc_lo, s31, v28, vcc_lo
	s_lshl_b64 s[30:31], s[26:27], 4
	global_load_b64 v[14:15], v[4:5], off
	v_add_co_u32 v4, vcc_lo, v29, s30
	v_add_co_ci_u32_e32 v5, vcc_lo, s31, v30, vcc_lo
	global_load_b128 v[4:7], v[4:5], off
	s_waitcnt vmcnt(1)
	v_sub_co_u32 v14, vcc_lo, v14, s16
	v_subrev_co_ci_u32_e32 v15, vcc_lo, 0, v15, vcc_lo
.LBB116_20:                             ;   in Loop: Header=BB116_17 Depth=1
	s_or_b32 exec_lo, exec_lo, s3
	ds_store_b64 v26, v[14:15]
	s_waitcnt vmcnt(0)
	ds_store_b128 v31, v[4:7]
.LBB116_21:                             ;   in Loop: Header=BB116_17 Depth=1
	s_lshl_b32 s3, s2, 4
	s_waitcnt lgkmcnt(0)
	v_mov_b32_e32 v4, s3
	s_waitcnt_vscnt null, 0x0
	s_barrier
	buffer_gl0_inv
	s_lshl_b32 s2, s2, 3
	ds_load_b128 v[16:19], v4
	v_mov_b32_e32 v4, s2
	ds_load_b64 v[14:15], v4 offset:2048
	s_waitcnt lgkmcnt(1)
	v_cmp_eq_f64_e32 vcc_lo, 0, v[16:17]
	v_cmp_eq_f64_e64 s3, 0, v[18:19]
	s_waitcnt lgkmcnt(0)
	v_cmp_eq_u64_e64 s2, s[12:13], v[14:15]
	v_cmp_ne_u64_e64 s9, s[12:13], v[14:15]
	s_delay_alu instid0(VALU_DEP_3)
	s_and_b32 s3, vcc_lo, s3
	s_delay_alu instid0(VALU_DEP_2) | instid1(SALU_CYCLE_1)
	s_and_b32 s3, s3, s2
	s_delay_alu instid0(SALU_CYCLE_1) | instskip(NEXT) | instid1(SALU_CYCLE_1)
	s_and_b32 s3, s29, s3
	v_cndmask_b32_e64 v5, v19, 0, s3
	v_cndmask_b32_e64 v4, v18, 0, s3
	;; [unrolled: 1-line block ×4, first 2 shown]
	s_and_b32 s30, s1, s3
	s_delay_alu instid0(SALU_CYCLE_1)
	s_and_saveexec_b32 s3, s30
	s_cbranch_execz .LBB116_25
; %bb.22:                               ;   in Loop: Header=BB116_17 Depth=1
	v_mbcnt_lo_u32_b32 v4, exec_lo, 0
	s_mov_b32 s30, exec_lo
	s_delay_alu instid0(VALU_DEP_1)
	v_cmpx_eq_u32_e32 0, v4
	s_cbranch_execz .LBB116_24
; %bb.23:                               ;   in Loop: Header=BB116_17 Depth=1
	v_dual_mov_b32 v4, s24 :: v_dual_mov_b32 v5, s25
	global_atomic_min_u64 v9, v[4:5], s[22:23]
.LBB116_24:                             ;   in Loop: Header=BB116_17 Depth=1
	s_or_b32 exec_lo, exec_lo, s30
	v_mov_b32_e32 v4, 0
	v_dual_mov_b32 v5, 0 :: v_dual_mov_b32 v6, 0
	v_mov_b32_e32 v7, 0x3ff00000
.LBB116_25:                             ;   in Loop: Header=BB116_17 Depth=1
	s_or_b32 exec_lo, exec_lo, s3
	s_cmp_lt_i32 s17, 1
	s_mov_b32 s3, 0
	s_cbranch_scc1 .LBB116_31
; %bb.26:                               ;   in Loop: Header=BB116_17 Depth=1
	s_cmp_eq_u32 s17, 1
	s_cbranch_scc0 .LBB116_32
; %bb.27:                               ;   in Loop: Header=BB116_17 Depth=1
	v_cmp_le_i64_e32 vcc_lo, s[12:13], v[14:15]
	v_dual_mov_b32 v17, v11 :: v_dual_mov_b32 v16, v10
	v_dual_mov_b32 v19, v13 :: v_dual_mov_b32 v18, v12
	s_mov_b32 s30, 0
	s_cbranch_vccz .LBB116_34
; %bb.28:                               ;   in Loop: Header=BB116_17 Depth=1
	s_and_b32 vcc_lo, exec_lo, s2
	s_cbranch_vccz .LBB116_33
; %bb.29:                               ;   in Loop: Header=BB116_17 Depth=1
	v_dual_mov_b32 v17, v11 :: v_dual_mov_b32 v16, v10
	v_dual_mov_b32 v19, v13 :: v_dual_mov_b32 v18, v12
	s_and_not1_b32 vcc_lo, exec_lo, s29
	s_cbranch_vccnz .LBB116_34
; %bb.30:                               ;   in Loop: Header=BB116_17 Depth=1
	v_mul_f64 v[16:17], v[4:5], v[4:5]
	s_delay_alu instid0(VALU_DEP_1) | instskip(NEXT) | instid1(VALU_DEP_1)
	v_fma_f64 v[16:17], v[6:7], v[6:7], v[16:17]
	v_div_scale_f64 v[18:19], null, v[16:17], v[16:17], 1.0
	v_div_scale_f64 v[32:33], vcc_lo, 1.0, v[16:17], 1.0
	s_delay_alu instid0(VALU_DEP_2) | instskip(SKIP_2) | instid1(VALU_DEP_1)
	v_rcp_f64_e32 v[20:21], v[18:19]
	s_waitcnt_depctr 0xfff
	v_fma_f64 v[22:23], -v[18:19], v[20:21], 1.0
	v_fma_f64 v[20:21], v[20:21], v[22:23], v[20:21]
	s_delay_alu instid0(VALU_DEP_1) | instskip(NEXT) | instid1(VALU_DEP_1)
	v_fma_f64 v[22:23], -v[18:19], v[20:21], 1.0
	v_fma_f64 v[20:21], v[20:21], v[22:23], v[20:21]
	s_delay_alu instid0(VALU_DEP_1) | instskip(NEXT) | instid1(VALU_DEP_1)
	v_mul_f64 v[22:23], v[32:33], v[20:21]
	v_fma_f64 v[18:19], -v[18:19], v[22:23], v[32:33]
	s_delay_alu instid0(VALU_DEP_1) | instskip(SKIP_2) | instid1(VALU_DEP_3)
	v_div_fmas_f64 v[18:19], v[18:19], v[20:21], v[22:23]
	v_fma_f64 v[20:21], v[4:5], 0, v[6:7]
	v_fma_f64 v[22:23], v[6:7], 0, -v[4:5]
	v_div_fixup_f64 v[16:17], v[18:19], v[16:17], 1.0
	s_delay_alu instid0(VALU_DEP_1) | instskip(NEXT) | instid1(VALU_DEP_3)
	v_mul_f64 v[18:19], v[20:21], v[16:17]
	v_mul_f64 v[16:17], v[22:23], v[16:17]
	s_branch .LBB116_34
.LBB116_31:                             ;   in Loop: Header=BB116_17 Depth=1
	s_mov_b32 s30, 0
                                        ; implicit-def: $sgpr2
                                        ; implicit-def: $vgpr20_vgpr21
                                        ; implicit-def: $vgpr22_vgpr23
                                        ; implicit-def: $vgpr16_vgpr17
                                        ; implicit-def: $vgpr18_vgpr19
	s_cbranch_execnz .LBB116_35
	s_branch .LBB116_37
.LBB116_32:                             ;   in Loop: Header=BB116_17 Depth=1
	s_mov_b32 s30, -1
                                        ; implicit-def: $sgpr2
                                        ; implicit-def: $vgpr20_vgpr21
                                        ; implicit-def: $vgpr22_vgpr23
                                        ; implicit-def: $vgpr16_vgpr17
                                        ; implicit-def: $vgpr18_vgpr19
	s_branch .LBB116_37
.LBB116_33:                             ;   in Loop: Header=BB116_17 Depth=1
	s_mov_b32 s30, -1
                                        ; implicit-def: $vgpr16_vgpr17
                                        ; implicit-def: $vgpr18_vgpr19
.LBB116_34:                             ;   in Loop: Header=BB116_17 Depth=1
	v_dual_mov_b32 v21, v3 :: v_dual_mov_b32 v20, v2
	v_dual_mov_b32 v23, v1 :: v_dual_mov_b32 v22, v0
	s_mov_b32 s2, 4
	s_branch .LBB116_37
.LBB116_35:                             ;   in Loop: Header=BB116_17 Depth=1
	s_cmp_eq_u32 s17, 0
	s_cbranch_scc1 .LBB116_41
; %bb.36:                               ;   in Loop: Header=BB116_17 Depth=1
	s_mov_b32 s30, -1
                                        ; implicit-def: $sgpr2
                                        ; implicit-def: $vgpr20_vgpr21
                                        ; implicit-def: $vgpr22_vgpr23
                                        ; implicit-def: $vgpr16_vgpr17
                                        ; implicit-def: $vgpr18_vgpr19
.LBB116_37:                             ;   in Loop: Header=BB116_17 Depth=1
	s_delay_alu instid0(SALU_CYCLE_1)
	s_and_b32 vcc_lo, exec_lo, s30
	s_cbranch_vccnz .LBB116_44
.LBB116_38:                             ;   in Loop: Header=BB116_17 Depth=1
	s_and_b32 vcc_lo, exec_lo, s3
	s_cbranch_vccnz .LBB116_49
.LBB116_39:                             ;   in Loop: Header=BB116_17 Depth=1
	s_cmp_gt_i32 s2, 3
	s_mov_b32 s3, -1
	s_cbranch_scc1 .LBB116_52
.LBB116_40:                             ;   in Loop: Header=BB116_17 Depth=1
	s_cmp_eq_u32 s2, 0
	s_cselect_b32 s2, -1, 0
	s_delay_alu instid0(SALU_CYCLE_1)
	s_and_not1_b32 vcc_lo, exec_lo, s2
	s_cbranch_vccz .LBB116_15
	s_branch .LBB116_53
.LBB116_41:                             ;   in Loop: Header=BB116_17 Depth=1
	v_cmp_ge_i64_e32 vcc_lo, s[12:13], v[14:15]
	s_mov_b32 s30, 0
	s_cbranch_vccz .LBB116_43
; %bb.42:                               ;   in Loop: Header=BB116_17 Depth=1
	s_mov_b32 s3, -1
	s_mov_b32 s30, s9
.LBB116_43:                             ;   in Loop: Header=BB116_17 Depth=1
	v_dual_mov_b32 v21, v3 :: v_dual_mov_b32 v20, v2
	v_dual_mov_b32 v23, v1 :: v_dual_mov_b32 v22, v0
	;; [unrolled: 1-line block ×4, first 2 shown]
	s_mov_b32 s2, 2
	s_and_b32 vcc_lo, exec_lo, s30
	s_cbranch_vccz .LBB116_38
.LBB116_44:                             ;   in Loop: Header=BB116_17 Depth=1
	s_and_saveexec_b32 s2, s1
	s_cbranch_execz .LBB116_46
; %bb.45:                               ;   in Loop: Header=BB116_17 Depth=1
	v_lshlrev_b64 v[16:17], 2, v[14:15]
	s_delay_alu instid0(VALU_DEP_1) | instskip(NEXT) | instid1(VALU_DEP_2)
	v_add_co_u32 v16, vcc_lo, s19, v16
	v_add_co_ci_u32_e32 v17, vcc_lo, s28, v17, vcc_lo
	global_load_b32 v18, v[16:17], off glc
	s_waitcnt vmcnt(0)
	v_cmp_ne_u32_e32 vcc_lo, 0, v18
	s_cbranch_vccz .LBB116_54
.LBB116_46:                             ;   in Loop: Header=BB116_17 Depth=1
	s_or_b32 exec_lo, exec_lo, s2
	v_mov_b32_e32 v20, 0
	v_mov_b32_e32 v21, 0
	s_waitcnt_vscnt null, 0x0
	s_barrier
	buffer_gl0_inv
	buffer_gl1_inv
	buffer_gl0_inv
	v_dual_mov_b32 v23, v21 :: v_dual_mov_b32 v22, v20
	s_and_saveexec_b32 s2, s0
	s_cbranch_execz .LBB116_48
; %bb.47:                               ;   in Loop: Header=BB116_17 Depth=1
	v_mul_lo_u32 v16, v14, s21
	v_mul_hi_u32 v17, v14, s20
	v_mul_lo_u32 v15, v15, s20
	v_mul_lo_u32 v14, v14, s20
	s_delay_alu instid0(VALU_DEP_3) | instskip(NEXT) | instid1(VALU_DEP_1)
	v_add_nc_u32_e32 v16, v17, v16
	v_add_nc_u32_e32 v15, v16, v15
	s_delay_alu instid0(VALU_DEP_1) | instskip(NEXT) | instid1(VALU_DEP_1)
	v_lshlrev_b64 v[14:15], 4, v[14:15]
	v_add_co_u32 v14, vcc_lo, v24, v14
	s_delay_alu instid0(VALU_DEP_2) | instskip(SKIP_4) | instid1(VALU_DEP_2)
	v_add_co_ci_u32_e32 v15, vcc_lo, v25, v15, vcc_lo
	global_load_b128 v[14:17], v[14:15], off
	s_waitcnt vmcnt(0)
	v_fma_f64 v[18:19], -v[6:7], v[14:15], v[0:1]
	v_fma_f64 v[14:15], -v[4:5], v[14:15], v[2:3]
	v_fma_f64 v[22:23], v[4:5], v[16:17], v[18:19]
	s_delay_alu instid0(VALU_DEP_2)
	v_fma_f64 v[20:21], -v[6:7], v[16:17], v[14:15]
.LBB116_48:                             ;   in Loop: Header=BB116_17 Depth=1
	s_or_b32 exec_lo, exec_lo, s2
	v_dual_mov_b32 v17, v11 :: v_dual_mov_b32 v16, v10
	v_dual_mov_b32 v19, v13 :: v_dual_mov_b32 v18, v12
	s_mov_b32 s2, 0
	s_branch .LBB116_39
.LBB116_49:                             ;   in Loop: Header=BB116_17 Depth=1
	s_and_not1_b32 vcc_lo, exec_lo, s29
	s_cbranch_vccnz .LBB116_51
; %bb.50:                               ;   in Loop: Header=BB116_17 Depth=1
	v_mul_f64 v[10:11], v[4:5], v[4:5]
	s_delay_alu instid0(VALU_DEP_1) | instskip(NEXT) | instid1(VALU_DEP_1)
	v_fma_f64 v[10:11], v[6:7], v[6:7], v[10:11]
	v_div_scale_f64 v[12:13], null, v[10:11], v[10:11], 1.0
	v_div_scale_f64 v[18:19], vcc_lo, 1.0, v[10:11], 1.0
	s_delay_alu instid0(VALU_DEP_2) | instskip(SKIP_2) | instid1(VALU_DEP_1)
	v_rcp_f64_e32 v[14:15], v[12:13]
	s_waitcnt_depctr 0xfff
	v_fma_f64 v[16:17], -v[12:13], v[14:15], 1.0
	v_fma_f64 v[14:15], v[14:15], v[16:17], v[14:15]
	s_delay_alu instid0(VALU_DEP_1) | instskip(NEXT) | instid1(VALU_DEP_1)
	v_fma_f64 v[16:17], -v[12:13], v[14:15], 1.0
	v_fma_f64 v[14:15], v[14:15], v[16:17], v[14:15]
	s_delay_alu instid0(VALU_DEP_1) | instskip(NEXT) | instid1(VALU_DEP_1)
	v_mul_f64 v[16:17], v[18:19], v[14:15]
	v_fma_f64 v[12:13], -v[12:13], v[16:17], v[18:19]
	s_delay_alu instid0(VALU_DEP_1) | instskip(SKIP_2) | instid1(VALU_DEP_3)
	v_div_fmas_f64 v[12:13], v[12:13], v[14:15], v[16:17]
	v_fma_f64 v[14:15], v[4:5], 0, v[6:7]
	v_fma_f64 v[4:5], v[6:7], 0, -v[4:5]
	v_div_fixup_f64 v[10:11], v[12:13], v[10:11], 1.0
	s_delay_alu instid0(VALU_DEP_1) | instskip(NEXT) | instid1(VALU_DEP_3)
	v_mul_f64 v[12:13], v[14:15], v[10:11]
	v_mul_f64 v[10:11], v[4:5], v[10:11]
.LBB116_51:                             ;   in Loop: Header=BB116_17 Depth=1
	s_delay_alu instid0(VALU_DEP_2) | instskip(NEXT) | instid1(VALU_DEP_2)
	v_dual_mov_b32 v19, v13 :: v_dual_mov_b32 v18, v12
	v_dual_mov_b32 v17, v11 :: v_dual_mov_b32 v16, v10
	v_dual_mov_b32 v23, v1 :: v_dual_mov_b32 v22, v0
	v_dual_mov_b32 v21, v3 :: v_dual_mov_b32 v20, v2
	s_mov_b32 s2, 2
	s_delay_alu instid0(SALU_CYCLE_1)
	s_cmp_gt_i32 s2, 3
	s_mov_b32 s3, -1
	s_cbranch_scc0 .LBB116_40
.LBB116_52:                             ;   in Loop: Header=BB116_17 Depth=1
	s_branch .LBB116_15
.LBB116_53:                             ;   in Loop: Header=BB116_17 Depth=1
                                        ; implicit-def: $sgpr26_sgpr27
	s_branch .LBB116_16
.LBB116_54:                             ;   in Loop: Header=BB116_17 Depth=1
	s_mov_b32 s3, 0
	s_branch .LBB116_56
	.p2align	6
.LBB116_55:                             ;   in Loop: Header=BB116_56 Depth=2
	global_load_b32 v18, v[16:17], off glc
	s_cmpk_lt_u32 s3, 0xf43
	s_cselect_b32 s9, -1, 0
	s_delay_alu instid0(SALU_CYCLE_1)
	s_cmp_lg_u32 s9, 0
	s_addc_u32 s3, s3, 0
	s_waitcnt vmcnt(0)
	v_cmp_ne_u32_e32 vcc_lo, 0, v18
	s_cbranch_vccnz .LBB116_46
.LBB116_56:                             ;   Parent Loop BB116_17 Depth=1
                                        ; =>  This Loop Header: Depth=2
                                        ;       Child Loop BB116_57 Depth 3
	s_cmp_eq_u32 s3, 0
	s_mov_b32 s9, s3
	s_cbranch_scc1 .LBB116_55
.LBB116_57:                             ;   Parent Loop BB116_17 Depth=1
                                        ;     Parent Loop BB116_56 Depth=2
                                        ; =>    This Inner Loop Header: Depth=3
	s_add_i32 s9, s9, -1
	s_sleep 1
	s_cmp_eq_u32 s9, 0
	s_cbranch_scc0 .LBB116_57
	s_branch .LBB116_55
.LBB116_58:
	v_mov_b32_e32 v16, 0
	v_dual_mov_b32 v17, 0 :: v_dual_mov_b32 v18, 0
	v_mov_b32_e32 v19, 0x3ff00000
	s_cmp_lg_u32 s18, 0
	s_cbranch_scc1 .LBB116_61
	s_branch .LBB116_60
.LBB116_59:
	v_dual_mov_b32 v2, v20 :: v_dual_mov_b32 v3, v21
	v_dual_mov_b32 v0, v22 :: v_dual_mov_b32 v1, v23
	s_cmp_lg_u32 s18, 0
	s_cbranch_scc1 .LBB116_61
.LBB116_60:
	s_delay_alu instid0(VALU_DEP_2) | instskip(NEXT) | instid1(VALU_DEP_2)
	v_mul_f64 v[4:5], v[16:17], -v[2:3]
	v_mul_f64 v[6:7], v[16:17], v[0:1]
	s_delay_alu instid0(VALU_DEP_2) | instskip(NEXT) | instid1(VALU_DEP_2)
	v_fma_f64 v[0:1], v[0:1], v[18:19], v[4:5]
	v_fma_f64 v[2:3], v[2:3], v[18:19], v[6:7]
.LBB116_61:
	s_and_saveexec_b32 s1, s0
	s_cbranch_execz .LBB116_63
; %bb.62:
	s_lshl_b64 s[2:3], s[14:15], 4
	s_delay_alu instid0(SALU_CYCLE_1)
	v_add_co_u32 v4, vcc_lo, v24, s2
	v_add_co_ci_u32_e32 v5, vcc_lo, s3, v25, vcc_lo
	global_store_b128 v[4:5], v[0:3], off
.LBB116_63:
	s_or_b32 exec_lo, exec_lo, s1
	s_waitcnt_vscnt null, 0x0
	buffer_gl1_inv
	buffer_gl0_inv
	s_barrier
	buffer_gl0_inv
	s_mov_b32 s0, exec_lo
	v_cmpx_eq_u32_e32 0, v8
	s_cbranch_execz .LBB116_65
; %bb.64:
	s_lshl_b64 s[0:1], s[12:13], 2
	v_dual_mov_b32 v0, 0 :: v_dual_mov_b32 v1, 1
	s_add_u32 s2, s6, s0
	s_addc_u32 s3, s7, s1
	s_lshl_b64 s[0:1], s[4:5], 2
	s_delay_alu instid0(SALU_CYCLE_1)
	s_add_u32 s0, s2, s0
	s_addc_u32 s1, s3, s1
	global_store_b32 v0, v1, s[0:1]
.LBB116_65:
	s_nop 0
	s_sendmsg sendmsg(MSG_DEALLOC_VGPRS)
	s_endpgm
.LBB116_66:
                                        ; implicit-def: $sgpr24_sgpr25
	s_load_b64 s[22:23], s[2:3], 0x40
	s_branch .LBB116_4
	.section	.rodata,"a",@progbits
	.p2align	6, 0x0
	.amdhsa_kernel _ZN9rocsparseL5csrsmILj128ELj64ELb1Ell21rocsparse_complex_numIdEEEv20rocsparse_operation_T3_S4_NS_24const_host_device_scalarIT4_EEPKT2_PKS4_PKS6_PS6_lPiSC_PS4_21rocsparse_index_base_20rocsparse_fill_mode_20rocsparse_diag_type_b
		.amdhsa_group_segment_fixed_size 4096
		.amdhsa_private_segment_fixed_size 0
		.amdhsa_kernarg_size 120
		.amdhsa_user_sgpr_count 15
		.amdhsa_user_sgpr_dispatch_ptr 1
		.amdhsa_user_sgpr_queue_ptr 0
		.amdhsa_user_sgpr_kernarg_segment_ptr 1
		.amdhsa_user_sgpr_dispatch_id 0
		.amdhsa_user_sgpr_private_segment_size 0
		.amdhsa_wavefront_size32 1
		.amdhsa_uses_dynamic_stack 0
		.amdhsa_enable_private_segment 0
		.amdhsa_system_sgpr_workgroup_id_x 1
		.amdhsa_system_sgpr_workgroup_id_y 0
		.amdhsa_system_sgpr_workgroup_id_z 0
		.amdhsa_system_sgpr_workgroup_info 0
		.amdhsa_system_vgpr_workitem_id 2
		.amdhsa_next_free_vgpr 34
		.amdhsa_next_free_sgpr 32
		.amdhsa_reserve_vcc 1
		.amdhsa_float_round_mode_32 0
		.amdhsa_float_round_mode_16_64 0
		.amdhsa_float_denorm_mode_32 3
		.amdhsa_float_denorm_mode_16_64 3
		.amdhsa_dx10_clamp 1
		.amdhsa_ieee_mode 1
		.amdhsa_fp16_overflow 0
		.amdhsa_workgroup_processor_mode 1
		.amdhsa_memory_ordered 1
		.amdhsa_forward_progress 0
		.amdhsa_shared_vgpr_count 0
		.amdhsa_exception_fp_ieee_invalid_op 0
		.amdhsa_exception_fp_denorm_src 0
		.amdhsa_exception_fp_ieee_div_zero 0
		.amdhsa_exception_fp_ieee_overflow 0
		.amdhsa_exception_fp_ieee_underflow 0
		.amdhsa_exception_fp_ieee_inexact 0
		.amdhsa_exception_int_div_zero 0
	.end_amdhsa_kernel
	.section	.text._ZN9rocsparseL5csrsmILj128ELj64ELb1Ell21rocsparse_complex_numIdEEEv20rocsparse_operation_T3_S4_NS_24const_host_device_scalarIT4_EEPKT2_PKS4_PKS6_PS6_lPiSC_PS4_21rocsparse_index_base_20rocsparse_fill_mode_20rocsparse_diag_type_b,"axG",@progbits,_ZN9rocsparseL5csrsmILj128ELj64ELb1Ell21rocsparse_complex_numIdEEEv20rocsparse_operation_T3_S4_NS_24const_host_device_scalarIT4_EEPKT2_PKS4_PKS6_PS6_lPiSC_PS4_21rocsparse_index_base_20rocsparse_fill_mode_20rocsparse_diag_type_b,comdat
.Lfunc_end116:
	.size	_ZN9rocsparseL5csrsmILj128ELj64ELb1Ell21rocsparse_complex_numIdEEEv20rocsparse_operation_T3_S4_NS_24const_host_device_scalarIT4_EEPKT2_PKS4_PKS6_PS6_lPiSC_PS4_21rocsparse_index_base_20rocsparse_fill_mode_20rocsparse_diag_type_b, .Lfunc_end116-_ZN9rocsparseL5csrsmILj128ELj64ELb1Ell21rocsparse_complex_numIdEEEv20rocsparse_operation_T3_S4_NS_24const_host_device_scalarIT4_EEPKT2_PKS4_PKS6_PS6_lPiSC_PS4_21rocsparse_index_base_20rocsparse_fill_mode_20rocsparse_diag_type_b
                                        ; -- End function
	.section	.AMDGPU.csdata,"",@progbits
; Kernel info:
; codeLenInByte = 3268
; NumSgprs: 34
; NumVgprs: 34
; ScratchSize: 0
; MemoryBound: 1
; FloatMode: 240
; IeeeMode: 1
; LDSByteSize: 4096 bytes/workgroup (compile time only)
; SGPRBlocks: 4
; VGPRBlocks: 4
; NumSGPRsForWavesPerEU: 34
; NumVGPRsForWavesPerEU: 34
; Occupancy: 16
; WaveLimiterHint : 1
; COMPUTE_PGM_RSRC2:SCRATCH_EN: 0
; COMPUTE_PGM_RSRC2:USER_SGPR: 15
; COMPUTE_PGM_RSRC2:TRAP_HANDLER: 0
; COMPUTE_PGM_RSRC2:TGID_X_EN: 1
; COMPUTE_PGM_RSRC2:TGID_Y_EN: 0
; COMPUTE_PGM_RSRC2:TGID_Z_EN: 0
; COMPUTE_PGM_RSRC2:TIDIG_COMP_CNT: 2
	.section	.text._ZN9rocsparseL5csrsmILj128ELj64ELb0Ell21rocsparse_complex_numIdEEEv20rocsparse_operation_T3_S4_NS_24const_host_device_scalarIT4_EEPKT2_PKS4_PKS6_PS6_lPiSC_PS4_21rocsparse_index_base_20rocsparse_fill_mode_20rocsparse_diag_type_b,"axG",@progbits,_ZN9rocsparseL5csrsmILj128ELj64ELb0Ell21rocsparse_complex_numIdEEEv20rocsparse_operation_T3_S4_NS_24const_host_device_scalarIT4_EEPKT2_PKS4_PKS6_PS6_lPiSC_PS4_21rocsparse_index_base_20rocsparse_fill_mode_20rocsparse_diag_type_b,comdat
	.globl	_ZN9rocsparseL5csrsmILj128ELj64ELb0Ell21rocsparse_complex_numIdEEEv20rocsparse_operation_T3_S4_NS_24const_host_device_scalarIT4_EEPKT2_PKS4_PKS6_PS6_lPiSC_PS4_21rocsparse_index_base_20rocsparse_fill_mode_20rocsparse_diag_type_b ; -- Begin function _ZN9rocsparseL5csrsmILj128ELj64ELb0Ell21rocsparse_complex_numIdEEEv20rocsparse_operation_T3_S4_NS_24const_host_device_scalarIT4_EEPKT2_PKS4_PKS6_PS6_lPiSC_PS4_21rocsparse_index_base_20rocsparse_fill_mode_20rocsparse_diag_type_b
	.p2align	8
	.type	_ZN9rocsparseL5csrsmILj128ELj64ELb0Ell21rocsparse_complex_numIdEEEv20rocsparse_operation_T3_S4_NS_24const_host_device_scalarIT4_EEPKT2_PKS4_PKS6_PS6_lPiSC_PS4_21rocsparse_index_base_20rocsparse_fill_mode_20rocsparse_diag_type_b,@function
_ZN9rocsparseL5csrsmILj128ELj64ELb0Ell21rocsparse_complex_numIdEEEv20rocsparse_operation_T3_S4_NS_24const_host_device_scalarIT4_EEPKT2_PKS4_PKS6_PS6_lPiSC_PS4_21rocsparse_index_base_20rocsparse_fill_mode_20rocsparse_diag_type_b: ; @_ZN9rocsparseL5csrsmILj128ELj64ELb0Ell21rocsparse_complex_numIdEEEv20rocsparse_operation_T3_S4_NS_24const_host_device_scalarIT4_EEPKT2_PKS4_PKS6_PS6_lPiSC_PS4_21rocsparse_index_base_20rocsparse_fill_mode_20rocsparse_diag_type_b
; %bb.0:
	s_load_b64 s[0:1], s[0:1], 0x4
	s_clause 0x1
	s_load_b128 s[16:19], s[2:3], 0x68
	s_load_b256 s[4:11], s[2:3], 0x8
	v_bfe_u32 v1, v0, 10, 10
	v_and_b32_e32 v8, 0x3ff, v0
	v_bfe_u32 v0, v0, 20, 10
	s_waitcnt lgkmcnt(0)
	s_delay_alu instid0(VALU_DEP_3)
	v_mul_u32_u24_e32 v1, s1, v1
	s_lshr_b32 s0, s0, 16
	v_mov_b32_e32 v2, s8
	s_mul_i32 s0, s0, s1
	v_mov_b32_e32 v3, s9
	v_mad_u32_u24 v1, s0, v8, v1
	s_and_b32 s0, 1, s19
	v_dual_mov_b32 v6, s10 :: v_dual_mov_b32 v7, s11
	s_cmp_eq_u32 s0, 1
	s_delay_alu instid0(VALU_DEP_2) | instskip(SKIP_2) | instid1(VALU_DEP_1)
	v_add_lshl_u32 v4, v1, v0, 3
	s_cselect_b32 vcc_lo, -1, 0
	s_mov_b64 s[0:1], src_shared_base
	v_add_nc_u32_e32 v0, 0xc00, v4
	ds_store_b64 v4, v[2:3] offset:3072
	v_cndmask_b32_e32 v0, s8, v0, vcc_lo
	s_and_b32 vcc_lo, exec_lo, vcc_lo
	s_cselect_b32 s0, s1, s9
	s_delay_alu instid0(SALU_CYCLE_1)
	v_mov_b32_e32 v1, s0
	flat_load_b64 v[4:5], v[0:1]
	s_cbranch_vccnz .LBB117_2
; %bb.1:
	v_dual_mov_b32 v0, s8 :: v_dual_mov_b32 v1, s9
	flat_load_b64 v[6:7], v[0:1] offset:8
.LBB117_2:
	s_clause 0x1
	s_load_b64 s[8:9], s[2:3], 0x58
	s_load_b64 s[0:1], s[2:3], 0x28
	s_mov_b32 s10, 0
	s_mov_b32 s11, s5
	s_delay_alu instid0(SALU_CYCLE_1)
	s_cmp_lg_u64 s[10:11], 0
	s_cbranch_scc0 .LBB117_63
; %bb.3:
	s_ashr_i32 s12, s5, 31
	s_delay_alu instid0(SALU_CYCLE_1) | instskip(SKIP_2) | instid1(SALU_CYCLE_1)
	s_add_u32 s20, s4, s12
	s_mov_b32 s13, s12
	s_addc_u32 s21, s5, s12
	s_xor_b64 s[20:21], s[20:21], s[12:13]
	s_delay_alu instid0(SALU_CYCLE_1) | instskip(SKIP_3) | instid1(VALU_DEP_1)
	v_cvt_f32_u32_e32 v0, s20
	v_cvt_f32_u32_e32 v1, s21
	s_sub_u32 s19, 0, s20
	s_subb_u32 s22, 0, s21
	v_fmamk_f32 v0, v1, 0x4f800000, v0
	s_delay_alu instid0(VALU_DEP_1) | instskip(SKIP_2) | instid1(VALU_DEP_1)
	v_rcp_f32_e32 v0, v0
	s_waitcnt_depctr 0xfff
	v_mul_f32_e32 v0, 0x5f7ffffc, v0
	v_mul_f32_e32 v1, 0x2f800000, v0
	s_delay_alu instid0(VALU_DEP_1) | instskip(NEXT) | instid1(VALU_DEP_1)
	v_trunc_f32_e32 v1, v1
	v_fmamk_f32 v0, v1, 0xcf800000, v0
	v_cvt_u32_f32_e32 v1, v1
	s_delay_alu instid0(VALU_DEP_2) | instskip(NEXT) | instid1(VALU_DEP_2)
	v_cvt_u32_f32_e32 v0, v0
	v_readfirstlane_b32 s11, v1
	s_delay_alu instid0(VALU_DEP_2) | instskip(NEXT) | instid1(VALU_DEP_2)
	v_readfirstlane_b32 s14, v0
	s_mul_i32 s23, s19, s11
	s_delay_alu instid0(VALU_DEP_1)
	s_mul_hi_u32 s25, s19, s14
	s_mul_i32 s24, s22, s14
	s_add_i32 s23, s25, s23
	s_mul_i32 s26, s19, s14
	s_add_i32 s23, s23, s24
	s_mul_hi_u32 s25, s14, s26
	s_mul_hi_u32 s27, s11, s26
	s_mul_i32 s24, s11, s26
	s_mul_hi_u32 s26, s14, s23
	s_mul_i32 s14, s14, s23
	s_mul_hi_u32 s28, s11, s23
	s_add_u32 s14, s25, s14
	s_addc_u32 s25, 0, s26
	s_add_u32 s14, s14, s24
	s_mul_i32 s23, s11, s23
	s_addc_u32 s14, s25, s27
	s_addc_u32 s24, s28, 0
	s_add_u32 s14, s14, s23
	s_addc_u32 s23, 0, s24
	v_add_co_u32 v0, s14, v0, s14
	s_delay_alu instid0(VALU_DEP_1) | instskip(SKIP_1) | instid1(VALU_DEP_1)
	s_cmp_lg_u32 s14, 0
	s_addc_u32 s11, s11, s23
	v_readfirstlane_b32 s14, v0
	s_mul_i32 s23, s19, s11
	s_delay_alu instid0(VALU_DEP_1)
	s_mul_hi_u32 s24, s19, s14
	s_mul_i32 s22, s22, s14
	s_add_i32 s23, s24, s23
	s_mul_i32 s19, s19, s14
	s_add_i32 s23, s23, s22
	s_mul_hi_u32 s24, s11, s19
	s_mul_i32 s25, s11, s19
	s_mul_hi_u32 s19, s14, s19
	s_mul_hi_u32 s26, s14, s23
	s_mul_i32 s14, s14, s23
	s_mul_hi_u32 s22, s11, s23
	s_add_u32 s14, s19, s14
	s_addc_u32 s19, 0, s26
	s_add_u32 s14, s14, s25
	s_mul_i32 s23, s11, s23
	s_addc_u32 s14, s19, s24
	s_addc_u32 s19, s22, 0
	s_add_u32 s14, s14, s23
	s_addc_u32 s19, 0, s19
	v_add_co_u32 v0, s14, v0, s14
	s_delay_alu instid0(VALU_DEP_1) | instskip(SKIP_1) | instid1(VALU_DEP_1)
	s_cmp_lg_u32 s14, 0
	s_addc_u32 s11, s11, s19
	v_readfirstlane_b32 s14, v0
	s_mul_i32 s19, s15, s11
	s_mul_hi_u32 s11, s15, s11
	s_delay_alu instid0(VALU_DEP_1) | instskip(NEXT) | instid1(SALU_CYCLE_1)
	s_mul_hi_u32 s14, s15, s14
	s_add_u32 s14, s14, s19
	s_addc_u32 s11, 0, s11
	s_add_u32 s14, s14, 0
	s_addc_u32 s11, s11, 0
	s_addc_u32 s14, 0, 0
	s_add_u32 s11, s11, 0
	s_addc_u32 s14, 0, s14
	s_mul_hi_u32 s19, s20, s11
	s_mul_i32 s23, s20, s14
	s_mul_i32 s24, s20, s11
	s_add_i32 s19, s19, s23
	v_sub_co_u32 v0, s23, s15, s24
	s_mul_i32 s22, s21, s11
	s_delay_alu instid0(SALU_CYCLE_1) | instskip(NEXT) | instid1(VALU_DEP_1)
	s_add_i32 s19, s19, s22
	v_sub_co_u32 v1, s24, v0, s20
	s_sub_i32 s22, 0, s19
	s_cmp_lg_u32 s23, 0
	s_subb_u32 s22, s22, s21
	s_cmp_lg_u32 s24, 0
	v_readfirstlane_b32 s24, v1
	s_subb_u32 s22, s22, 0
	s_delay_alu instid0(SALU_CYCLE_1) | instskip(SKIP_1) | instid1(VALU_DEP_1)
	s_cmp_ge_u32 s22, s21
	s_cselect_b32 s25, -1, 0
	s_cmp_ge_u32 s24, s20
	s_cselect_b32 s24, -1, 0
	s_cmp_eq_u32 s22, s21
	s_cselect_b32 s22, s24, s25
	s_add_u32 s24, s11, 1
	s_addc_u32 s25, s14, 0
	s_add_u32 s26, s11, 2
	s_addc_u32 s27, s14, 0
	s_cmp_lg_u32 s22, 0
	s_cselect_b32 s22, s26, s24
	s_cselect_b32 s24, s27, s25
	s_cmp_lg_u32 s23, 0
	v_readfirstlane_b32 s23, v0
	s_subb_u32 s19, 0, s19
	s_delay_alu instid0(SALU_CYCLE_1) | instskip(SKIP_1) | instid1(VALU_DEP_1)
	s_cmp_ge_u32 s19, s21
	s_cselect_b32 s25, -1, 0
	s_cmp_ge_u32 s23, s20
	s_cselect_b32 s20, -1, 0
	s_cmp_eq_u32 s19, s21
	s_cselect_b32 s19, s20, s25
	s_delay_alu instid0(SALU_CYCLE_1) | instskip(SKIP_2) | instid1(SALU_CYCLE_1)
	s_cmp_lg_u32 s19, 0
	s_cselect_b32 s21, s24, s14
	s_cselect_b32 s20, s22, s11
	s_xor_b64 s[20:21], s[20:21], s[12:13]
	s_delay_alu instid0(SALU_CYCLE_1)
	s_sub_u32 s24, s20, s12
	s_subb_u32 s25, s21, s12
	s_load_b64 s[22:23], s[2:3], 0x40
	s_and_not1_b32 vcc_lo, exec_lo, s10
	s_cbranch_vccnz .LBB117_5
.LBB117_4:
	v_cvt_f32_u32_e32 v0, s4
	s_sub_i32 s11, 0, s4
	s_mov_b32 s25, 0
	s_delay_alu instid0(VALU_DEP_1) | instskip(SKIP_2) | instid1(VALU_DEP_1)
	v_rcp_iflag_f32_e32 v0, v0
	s_waitcnt_depctr 0xfff
	v_mul_f32_e32 v0, 0x4f7ffffe, v0
	v_cvt_u32_f32_e32 v0, v0
	s_delay_alu instid0(VALU_DEP_1) | instskip(NEXT) | instid1(VALU_DEP_1)
	v_readfirstlane_b32 s10, v0
	s_mul_i32 s11, s11, s10
	s_delay_alu instid0(SALU_CYCLE_1) | instskip(NEXT) | instid1(SALU_CYCLE_1)
	s_mul_hi_u32 s11, s10, s11
	s_add_i32 s10, s10, s11
	s_delay_alu instid0(SALU_CYCLE_1) | instskip(NEXT) | instid1(SALU_CYCLE_1)
	s_mul_hi_u32 s10, s15, s10
	s_mul_i32 s11, s10, s4
	s_add_i32 s12, s10, 1
	s_sub_i32 s11, s15, s11
	s_delay_alu instid0(SALU_CYCLE_1)
	s_sub_i32 s13, s11, s4
	s_cmp_ge_u32 s11, s4
	s_cselect_b32 s10, s12, s10
	s_cselect_b32 s11, s13, s11
	s_add_i32 s12, s10, 1
	s_cmp_ge_u32 s11, s4
	s_cselect_b32 s24, s12, s10
.LBB117_5:
	s_delay_alu instid0(SALU_CYCLE_1)
	s_mul_i32 s5, s24, s5
	s_mul_hi_u32 s10, s24, s4
	s_load_b32 s19, s[2:3], 0x0
	s_add_i32 s5, s10, s5
	s_mul_i32 s10, s25, s4
	s_mul_i32 s4, s24, s4
	s_add_i32 s5, s5, s10
	s_sub_u32 s10, s15, s4
	s_subb_u32 s11, 0, s5
	s_delay_alu instid0(SALU_CYCLE_1)
	s_lshl_b64 s[10:11], s[10:11], 3
	s_waitcnt lgkmcnt(0)
	s_add_u32 s8, s8, s10
	s_addc_u32 s9, s9, s11
	s_load_b64 s[12:13], s[8:9], 0x0
	s_load_b64 s[20:21], s[2:3], 0x48
	s_waitcnt lgkmcnt(0)
	s_lshl_b64 s[8:9], s[12:13], 3
	s_mul_i32 s14, s12, s20
	s_add_u32 s0, s0, s8
	s_addc_u32 s1, s1, s9
	s_lshl_b64 s[24:25], s[24:25], 7
	s_load_b128 s[8:11], s[0:1], 0x0
	v_or_b32_e32 v9, s24, v8
	s_mul_i32 s0, s12, s21
	s_mul_hi_u32 s1, s12, s20
	v_mov_b32_e32 v10, s25
	v_mov_b32_e32 v0, s25
	s_add_i32 s0, s1, s0
	s_mul_i32 s1, s13, s20
	v_add_co_u32 v11, vcc_lo, v9, s14
	s_add_i32 s15, s0, s1
	v_cmp_gt_i64_e64 s0, s[6:7], v[9:10]
	v_add_co_ci_u32_e32 v12, vcc_lo, s15, v0, vcc_lo
	s_cmpk_lg_i32 s19, 0x71
	s_cbranch_scc0 .LBB117_9
; %bb.6:
	v_mov_b32_e32 v2, 0
	v_mov_b32_e32 v3, 0
	s_delay_alu instid0(VALU_DEP_1)
	v_dual_mov_b32 v0, v2 :: v_dual_mov_b32 v1, v3
	s_and_saveexec_b32 s1, s0
	s_cbranch_execz .LBB117_8
; %bb.7:
	v_lshlrev_b64 v[0:1], 4, v[11:12]
	s_delay_alu instid0(VALU_DEP_1) | instskip(NEXT) | instid1(VALU_DEP_2)
	v_add_co_u32 v0, vcc_lo, s22, v0
	v_add_co_ci_u32_e32 v1, vcc_lo, s23, v1, vcc_lo
	global_load_b128 v[13:16], v[0:1], off
	s_waitcnt vmcnt(0)
	v_mul_f64 v[0:1], v[15:16], -v[6:7]
	v_mul_f64 v[2:3], v[4:5], v[15:16]
	s_delay_alu instid0(VALU_DEP_2) | instskip(NEXT) | instid1(VALU_DEP_2)
	v_fma_f64 v[0:1], v[4:5], v[13:14], v[0:1]
	v_fma_f64 v[2:3], v[6:7], v[13:14], v[2:3]
.LBB117_8:
	s_or_b32 exec_lo, exec_lo, s1
	s_load_b64 s[6:7], s[2:3], 0x50
	s_cbranch_execz .LBB117_10
	s_branch .LBB117_13
.LBB117_9:
                                        ; implicit-def: $vgpr2_vgpr3
	s_load_b64 s[6:7], s[2:3], 0x50
.LBB117_10:
	v_mov_b32_e32 v2, 0
	v_mov_b32_e32 v3, 0
	s_delay_alu instid0(VALU_DEP_1)
	v_dual_mov_b32 v0, v2 :: v_dual_mov_b32 v1, v3
	s_and_saveexec_b32 s1, s0
	s_cbranch_execz .LBB117_12
; %bb.11:
	v_lshlrev_b64 v[0:1], 4, v[11:12]
	s_delay_alu instid0(VALU_DEP_1) | instskip(NEXT) | instid1(VALU_DEP_2)
	v_add_co_u32 v0, vcc_lo, s22, v0
	v_add_co_ci_u32_e32 v1, vcc_lo, s23, v1, vcc_lo
	global_load_b128 v[11:14], v[0:1], off
	s_waitcnt vmcnt(0)
	v_mul_f64 v[0:1], v[6:7], v[13:14]
	v_mul_f64 v[2:3], v[4:5], -v[13:14]
	s_delay_alu instid0(VALU_DEP_2) | instskip(NEXT) | instid1(VALU_DEP_2)
	v_fma_f64 v[0:1], v[4:5], v[11:12], v[0:1]
	v_fma_f64 v[2:3], v[6:7], v[11:12], v[2:3]
.LBB117_12:
	s_or_b32 exec_lo, exec_lo, s1
.LBB117_13:
	s_waitcnt vmcnt(0)
	v_lshlrev_b64 v[4:5], 4, v[9:10]
	s_waitcnt lgkmcnt(0)
	v_cmp_ge_i64_e64 s1, s[8:9], s[10:11]
	s_delay_alu instid0(VALU_DEP_2) | instskip(NEXT) | instid1(VALU_DEP_3)
	v_add_co_u32 v24, vcc_lo, s22, v4
	v_add_co_ci_u32_e32 v25, vcc_lo, s23, v5, vcc_lo
	s_delay_alu instid0(VALU_DEP_3)
	s_and_b32 vcc_lo, exec_lo, s1
	v_cmp_eq_u32_e64 s1, 0, v8
	s_cbranch_vccnz .LBB117_55
; %bb.14:
	s_clause 0x1
	s_load_b128 s[24:27], s[2:3], 0x30
	s_load_b64 s[22:23], s[2:3], 0x60
	v_dual_mov_b32 v9, 0 :: v_dual_lshlrev_b32 v4, 3, v8
	s_lshl_b64 s[2:3], s[4:5], 2
	v_dual_mov_b32 v10, 0 :: v_dual_lshlrev_b32 v5, 4, v8
	s_add_u32 s19, s6, s2
	s_addc_u32 s28, s7, s3
	s_sub_u32 s8, s8, s16
	s_subb_u32 s9, s9, 0
	s_sub_u32 s10, s10, s16
	s_subb_u32 s11, s11, 0
	v_dual_mov_b32 v12, 0 :: v_dual_lshlrev_b32 v31, 4, v8
	v_lshl_or_b32 v26, v8, 3, 0x800
	s_cmp_eq_u32 s18, 0
	v_mov_b32_e32 v11, 0
	v_mov_b32_e32 v13, 0x3ff00000
	s_cselect_b32 s29, -1, 0
	s_waitcnt lgkmcnt(0)
	v_add_co_u32 v27, s2, s24, v4
	s_delay_alu instid0(VALU_DEP_1) | instskip(SKIP_1) | instid1(VALU_DEP_1)
	v_add_co_ci_u32_e64 v28, null, s25, 0, s2
	v_add_co_u32 v29, s2, s26, v5
	v_add_co_ci_u32_e64 v30, null, s27, 0, s2
	s_add_u32 s24, s12, s16
	s_addc_u32 s25, s13, 0
	s_mov_b64 s[26:27], s[8:9]
	s_branch .LBB117_17
.LBB117_15:                             ;   in Loop: Header=BB117_17 Depth=1
	s_add_u32 s26, s26, 1
	s_addc_u32 s27, s27, 0
	s_delay_alu instid0(SALU_CYCLE_1)
	v_cmp_ge_i64_e64 s3, s[26:27], s[10:11]
.LBB117_16:                             ;   in Loop: Header=BB117_17 Depth=1
	s_delay_alu instid0(VALU_DEP_3) | instskip(NEXT) | instid1(VALU_DEP_4)
	v_dual_mov_b32 v2, v20 :: v_dual_mov_b32 v3, v21
	v_dual_mov_b32 v0, v22 :: v_dual_mov_b32 v1, v23
	s_delay_alu instid0(VALU_DEP_4) | instskip(NEXT) | instid1(VALU_DEP_4)
	v_dual_mov_b32 v10, v16 :: v_dual_mov_b32 v11, v17
	v_dual_mov_b32 v12, v18 :: v_dual_mov_b32 v13, v19
	s_and_not1_b32 vcc_lo, exec_lo, s3
	s_cbranch_vccz .LBB117_56
.LBB117_17:                             ; =>This Loop Header: Depth=1
                                        ;     Child Loop BB117_46 Depth 2
	s_sub_i32 s2, s26, s8
	s_delay_alu instid0(SALU_CYCLE_1) | instskip(NEXT) | instid1(SALU_CYCLE_1)
	s_and_b32 s2, s2, 0x7f
	s_cmp_lg_u32 s2, 0
	s_cbranch_scc1 .LBB117_21
; %bb.18:                               ;   in Loop: Header=BB117_17 Depth=1
	v_mov_b32_e32 v14, -1
	v_dual_mov_b32 v15, -1 :: v_dual_mov_b32 v6, 0
	v_dual_mov_b32 v4, 0 :: v_dual_mov_b32 v7, 0
	v_mov_b32_e32 v5, 0xbff00000
	s_sub_u32 s30, s10, s26
	s_subb_u32 s31, s11, s27
	s_mov_b32 s3, exec_lo
	v_cmpx_gt_i64_e64 s[30:31], v[8:9]
	s_cbranch_execz .LBB117_20
; %bb.19:                               ;   in Loop: Header=BB117_17 Depth=1
	s_lshl_b64 s[30:31], s[26:27], 3
	s_delay_alu instid0(SALU_CYCLE_1)
	v_add_co_u32 v4, vcc_lo, v27, s30
	v_add_co_ci_u32_e32 v5, vcc_lo, s31, v28, vcc_lo
	s_lshl_b64 s[30:31], s[26:27], 4
	global_load_b64 v[14:15], v[4:5], off
	v_add_co_u32 v4, vcc_lo, v29, s30
	v_add_co_ci_u32_e32 v5, vcc_lo, s31, v30, vcc_lo
	global_load_b128 v[4:7], v[4:5], off
	s_waitcnt vmcnt(1)
	v_sub_co_u32 v14, vcc_lo, v14, s16
	v_subrev_co_ci_u32_e32 v15, vcc_lo, 0, v15, vcc_lo
.LBB117_20:                             ;   in Loop: Header=BB117_17 Depth=1
	s_or_b32 exec_lo, exec_lo, s3
	ds_store_b64 v26, v[14:15]
	s_waitcnt vmcnt(0)
	ds_store_b128 v31, v[4:7]
.LBB117_21:                             ;   in Loop: Header=BB117_17 Depth=1
	s_lshl_b32 s3, s2, 4
	s_waitcnt lgkmcnt(0)
	v_mov_b32_e32 v4, s3
	s_waitcnt_vscnt null, 0x0
	s_barrier
	buffer_gl0_inv
	s_lshl_b32 s2, s2, 3
	ds_load_b128 v[16:19], v4
	v_mov_b32_e32 v4, s2
	ds_load_b64 v[14:15], v4 offset:2048
	s_waitcnt lgkmcnt(1)
	v_cmp_eq_f64_e32 vcc_lo, 0, v[16:17]
	v_cmp_eq_f64_e64 s3, 0, v[18:19]
	s_waitcnt lgkmcnt(0)
	v_cmp_eq_u64_e64 s2, s[12:13], v[14:15]
	v_cmp_ne_u64_e64 s9, s[12:13], v[14:15]
	s_delay_alu instid0(VALU_DEP_3)
	s_and_b32 s3, vcc_lo, s3
	s_delay_alu instid0(VALU_DEP_2) | instid1(SALU_CYCLE_1)
	s_and_b32 s3, s3, s2
	s_delay_alu instid0(SALU_CYCLE_1) | instskip(NEXT) | instid1(SALU_CYCLE_1)
	s_and_b32 s3, s29, s3
	v_cndmask_b32_e64 v5, v19, 0, s3
	v_cndmask_b32_e64 v4, v18, 0, s3
	;; [unrolled: 1-line block ×4, first 2 shown]
	s_and_b32 s30, s1, s3
	s_delay_alu instid0(SALU_CYCLE_1)
	s_and_saveexec_b32 s3, s30
	s_cbranch_execz .LBB117_25
; %bb.22:                               ;   in Loop: Header=BB117_17 Depth=1
	v_mbcnt_lo_u32_b32 v4, exec_lo, 0
	s_mov_b32 s30, exec_lo
	s_delay_alu instid0(VALU_DEP_1)
	v_cmpx_eq_u32_e32 0, v4
	s_cbranch_execz .LBB117_24
; %bb.23:                               ;   in Loop: Header=BB117_17 Depth=1
	v_dual_mov_b32 v4, s24 :: v_dual_mov_b32 v5, s25
	global_atomic_min_u64 v9, v[4:5], s[22:23]
.LBB117_24:                             ;   in Loop: Header=BB117_17 Depth=1
	s_or_b32 exec_lo, exec_lo, s30
	v_mov_b32_e32 v4, 0
	v_dual_mov_b32 v5, 0 :: v_dual_mov_b32 v6, 0
	v_mov_b32_e32 v7, 0x3ff00000
.LBB117_25:                             ;   in Loop: Header=BB117_17 Depth=1
	s_or_b32 exec_lo, exec_lo, s3
	s_cmp_lt_i32 s17, 1
	s_mov_b32 s3, 0
	s_cbranch_scc1 .LBB117_31
; %bb.26:                               ;   in Loop: Header=BB117_17 Depth=1
	s_cmp_eq_u32 s17, 1
	s_cbranch_scc0 .LBB117_32
; %bb.27:                               ;   in Loop: Header=BB117_17 Depth=1
	v_cmp_le_i64_e32 vcc_lo, s[12:13], v[14:15]
	v_dual_mov_b32 v17, v11 :: v_dual_mov_b32 v16, v10
	v_dual_mov_b32 v19, v13 :: v_dual_mov_b32 v18, v12
	s_mov_b32 s30, 0
	s_cbranch_vccz .LBB117_34
; %bb.28:                               ;   in Loop: Header=BB117_17 Depth=1
	s_and_b32 vcc_lo, exec_lo, s2
	s_cbranch_vccz .LBB117_33
; %bb.29:                               ;   in Loop: Header=BB117_17 Depth=1
	v_dual_mov_b32 v17, v11 :: v_dual_mov_b32 v16, v10
	v_dual_mov_b32 v19, v13 :: v_dual_mov_b32 v18, v12
	s_and_not1_b32 vcc_lo, exec_lo, s29
	s_cbranch_vccnz .LBB117_34
; %bb.30:                               ;   in Loop: Header=BB117_17 Depth=1
	v_mul_f64 v[16:17], v[4:5], v[4:5]
	s_delay_alu instid0(VALU_DEP_1) | instskip(NEXT) | instid1(VALU_DEP_1)
	v_fma_f64 v[16:17], v[6:7], v[6:7], v[16:17]
	v_div_scale_f64 v[18:19], null, v[16:17], v[16:17], 1.0
	v_div_scale_f64 v[32:33], vcc_lo, 1.0, v[16:17], 1.0
	s_delay_alu instid0(VALU_DEP_2) | instskip(SKIP_2) | instid1(VALU_DEP_1)
	v_rcp_f64_e32 v[20:21], v[18:19]
	s_waitcnt_depctr 0xfff
	v_fma_f64 v[22:23], -v[18:19], v[20:21], 1.0
	v_fma_f64 v[20:21], v[20:21], v[22:23], v[20:21]
	s_delay_alu instid0(VALU_DEP_1) | instskip(NEXT) | instid1(VALU_DEP_1)
	v_fma_f64 v[22:23], -v[18:19], v[20:21], 1.0
	v_fma_f64 v[20:21], v[20:21], v[22:23], v[20:21]
	s_delay_alu instid0(VALU_DEP_1) | instskip(NEXT) | instid1(VALU_DEP_1)
	v_mul_f64 v[22:23], v[32:33], v[20:21]
	v_fma_f64 v[18:19], -v[18:19], v[22:23], v[32:33]
	s_delay_alu instid0(VALU_DEP_1) | instskip(SKIP_2) | instid1(VALU_DEP_3)
	v_div_fmas_f64 v[18:19], v[18:19], v[20:21], v[22:23]
	v_fma_f64 v[20:21], v[4:5], 0, v[6:7]
	v_fma_f64 v[22:23], v[6:7], 0, -v[4:5]
	v_div_fixup_f64 v[16:17], v[18:19], v[16:17], 1.0
	s_delay_alu instid0(VALU_DEP_1) | instskip(NEXT) | instid1(VALU_DEP_3)
	v_mul_f64 v[18:19], v[20:21], v[16:17]
	v_mul_f64 v[16:17], v[22:23], v[16:17]
	s_branch .LBB117_34
.LBB117_31:                             ;   in Loop: Header=BB117_17 Depth=1
	s_mov_b32 s30, 0
                                        ; implicit-def: $sgpr2
                                        ; implicit-def: $vgpr20_vgpr21
                                        ; implicit-def: $vgpr22_vgpr23
                                        ; implicit-def: $vgpr16_vgpr17
                                        ; implicit-def: $vgpr18_vgpr19
	s_cbranch_execnz .LBB117_35
	s_branch .LBB117_37
.LBB117_32:                             ;   in Loop: Header=BB117_17 Depth=1
	s_mov_b32 s30, -1
                                        ; implicit-def: $sgpr2
                                        ; implicit-def: $vgpr20_vgpr21
                                        ; implicit-def: $vgpr22_vgpr23
                                        ; implicit-def: $vgpr16_vgpr17
                                        ; implicit-def: $vgpr18_vgpr19
	s_branch .LBB117_37
.LBB117_33:                             ;   in Loop: Header=BB117_17 Depth=1
	s_mov_b32 s30, -1
                                        ; implicit-def: $vgpr16_vgpr17
                                        ; implicit-def: $vgpr18_vgpr19
.LBB117_34:                             ;   in Loop: Header=BB117_17 Depth=1
	v_dual_mov_b32 v21, v3 :: v_dual_mov_b32 v20, v2
	v_dual_mov_b32 v23, v1 :: v_dual_mov_b32 v22, v0
	s_mov_b32 s2, 4
	s_branch .LBB117_37
.LBB117_35:                             ;   in Loop: Header=BB117_17 Depth=1
	s_cmp_eq_u32 s17, 0
	s_cbranch_scc1 .LBB117_41
; %bb.36:                               ;   in Loop: Header=BB117_17 Depth=1
	s_mov_b32 s30, -1
                                        ; implicit-def: $sgpr2
                                        ; implicit-def: $vgpr20_vgpr21
                                        ; implicit-def: $vgpr22_vgpr23
                                        ; implicit-def: $vgpr16_vgpr17
                                        ; implicit-def: $vgpr18_vgpr19
.LBB117_37:                             ;   in Loop: Header=BB117_17 Depth=1
	s_delay_alu instid0(SALU_CYCLE_1)
	s_and_b32 vcc_lo, exec_lo, s30
	s_cbranch_vccnz .LBB117_44
.LBB117_38:                             ;   in Loop: Header=BB117_17 Depth=1
	s_and_b32 vcc_lo, exec_lo, s3
	s_cbranch_vccnz .LBB117_50
.LBB117_39:                             ;   in Loop: Header=BB117_17 Depth=1
	s_cmp_gt_i32 s2, 3
	s_mov_b32 s3, -1
	s_cbranch_scc1 .LBB117_53
.LBB117_40:                             ;   in Loop: Header=BB117_17 Depth=1
	s_cmp_eq_u32 s2, 0
	s_cselect_b32 s2, -1, 0
	s_delay_alu instid0(SALU_CYCLE_1)
	s_and_not1_b32 vcc_lo, exec_lo, s2
	s_cbranch_vccz .LBB117_15
	s_branch .LBB117_54
.LBB117_41:                             ;   in Loop: Header=BB117_17 Depth=1
	v_cmp_ge_i64_e32 vcc_lo, s[12:13], v[14:15]
	s_mov_b32 s30, 0
	s_cbranch_vccz .LBB117_43
; %bb.42:                               ;   in Loop: Header=BB117_17 Depth=1
	s_mov_b32 s3, -1
	s_mov_b32 s30, s9
.LBB117_43:                             ;   in Loop: Header=BB117_17 Depth=1
	v_dual_mov_b32 v21, v3 :: v_dual_mov_b32 v20, v2
	v_dual_mov_b32 v23, v1 :: v_dual_mov_b32 v22, v0
	v_dual_mov_b32 v17, v11 :: v_dual_mov_b32 v16, v10
	v_dual_mov_b32 v19, v13 :: v_dual_mov_b32 v18, v12
	s_mov_b32 s2, 2
	s_and_b32 vcc_lo, exec_lo, s30
	s_cbranch_vccz .LBB117_38
.LBB117_44:                             ;   in Loop: Header=BB117_17 Depth=1
	s_and_saveexec_b32 s2, s1
	s_cbranch_execz .LBB117_47
; %bb.45:                               ;   in Loop: Header=BB117_17 Depth=1
	v_lshlrev_b64 v[16:17], 2, v[14:15]
	s_delay_alu instid0(VALU_DEP_1) | instskip(NEXT) | instid1(VALU_DEP_2)
	v_add_co_u32 v16, vcc_lo, s19, v16
	v_add_co_ci_u32_e32 v17, vcc_lo, s28, v17, vcc_lo
	global_load_b32 v18, v[16:17], off glc
	s_waitcnt vmcnt(0)
	v_cmp_ne_u32_e32 vcc_lo, 0, v18
	s_cbranch_vccnz .LBB117_47
.LBB117_46:                             ;   Parent Loop BB117_17 Depth=1
                                        ; =>  This Inner Loop Header: Depth=2
	global_load_b32 v18, v[16:17], off glc
	s_waitcnt vmcnt(0)
	v_cmp_eq_u32_e32 vcc_lo, 0, v18
	s_cbranch_vccnz .LBB117_46
.LBB117_47:                             ;   in Loop: Header=BB117_17 Depth=1
	s_or_b32 exec_lo, exec_lo, s2
	v_mov_b32_e32 v20, 0
	v_mov_b32_e32 v21, 0
	s_waitcnt_vscnt null, 0x0
	s_barrier
	buffer_gl0_inv
	buffer_gl1_inv
	buffer_gl0_inv
	v_dual_mov_b32 v23, v21 :: v_dual_mov_b32 v22, v20
	s_and_saveexec_b32 s2, s0
	s_cbranch_execz .LBB117_49
; %bb.48:                               ;   in Loop: Header=BB117_17 Depth=1
	v_mul_lo_u32 v16, v14, s21
	v_mul_hi_u32 v17, v14, s20
	v_mul_lo_u32 v15, v15, s20
	v_mul_lo_u32 v14, v14, s20
	s_delay_alu instid0(VALU_DEP_3) | instskip(NEXT) | instid1(VALU_DEP_1)
	v_add_nc_u32_e32 v16, v17, v16
	v_add_nc_u32_e32 v15, v16, v15
	s_delay_alu instid0(VALU_DEP_1) | instskip(NEXT) | instid1(VALU_DEP_1)
	v_lshlrev_b64 v[14:15], 4, v[14:15]
	v_add_co_u32 v14, vcc_lo, v24, v14
	s_delay_alu instid0(VALU_DEP_2) | instskip(SKIP_4) | instid1(VALU_DEP_2)
	v_add_co_ci_u32_e32 v15, vcc_lo, v25, v15, vcc_lo
	global_load_b128 v[14:17], v[14:15], off
	s_waitcnt vmcnt(0)
	v_fma_f64 v[18:19], -v[6:7], v[14:15], v[0:1]
	v_fma_f64 v[14:15], -v[4:5], v[14:15], v[2:3]
	v_fma_f64 v[22:23], v[4:5], v[16:17], v[18:19]
	s_delay_alu instid0(VALU_DEP_2)
	v_fma_f64 v[20:21], -v[6:7], v[16:17], v[14:15]
.LBB117_49:                             ;   in Loop: Header=BB117_17 Depth=1
	s_or_b32 exec_lo, exec_lo, s2
	v_dual_mov_b32 v17, v11 :: v_dual_mov_b32 v16, v10
	v_dual_mov_b32 v19, v13 :: v_dual_mov_b32 v18, v12
	s_mov_b32 s2, 0
	s_branch .LBB117_39
.LBB117_50:                             ;   in Loop: Header=BB117_17 Depth=1
	s_and_not1_b32 vcc_lo, exec_lo, s29
	s_cbranch_vccnz .LBB117_52
; %bb.51:                               ;   in Loop: Header=BB117_17 Depth=1
	v_mul_f64 v[10:11], v[4:5], v[4:5]
	s_delay_alu instid0(VALU_DEP_1) | instskip(NEXT) | instid1(VALU_DEP_1)
	v_fma_f64 v[10:11], v[6:7], v[6:7], v[10:11]
	v_div_scale_f64 v[12:13], null, v[10:11], v[10:11], 1.0
	v_div_scale_f64 v[18:19], vcc_lo, 1.0, v[10:11], 1.0
	s_delay_alu instid0(VALU_DEP_2) | instskip(SKIP_2) | instid1(VALU_DEP_1)
	v_rcp_f64_e32 v[14:15], v[12:13]
	s_waitcnt_depctr 0xfff
	v_fma_f64 v[16:17], -v[12:13], v[14:15], 1.0
	v_fma_f64 v[14:15], v[14:15], v[16:17], v[14:15]
	s_delay_alu instid0(VALU_DEP_1) | instskip(NEXT) | instid1(VALU_DEP_1)
	v_fma_f64 v[16:17], -v[12:13], v[14:15], 1.0
	v_fma_f64 v[14:15], v[14:15], v[16:17], v[14:15]
	s_delay_alu instid0(VALU_DEP_1) | instskip(NEXT) | instid1(VALU_DEP_1)
	v_mul_f64 v[16:17], v[18:19], v[14:15]
	v_fma_f64 v[12:13], -v[12:13], v[16:17], v[18:19]
	s_delay_alu instid0(VALU_DEP_1) | instskip(SKIP_2) | instid1(VALU_DEP_3)
	v_div_fmas_f64 v[12:13], v[12:13], v[14:15], v[16:17]
	v_fma_f64 v[14:15], v[4:5], 0, v[6:7]
	v_fma_f64 v[4:5], v[6:7], 0, -v[4:5]
	v_div_fixup_f64 v[10:11], v[12:13], v[10:11], 1.0
	s_delay_alu instid0(VALU_DEP_1) | instskip(NEXT) | instid1(VALU_DEP_3)
	v_mul_f64 v[12:13], v[14:15], v[10:11]
	v_mul_f64 v[10:11], v[4:5], v[10:11]
.LBB117_52:                             ;   in Loop: Header=BB117_17 Depth=1
	s_delay_alu instid0(VALU_DEP_2) | instskip(NEXT) | instid1(VALU_DEP_2)
	v_dual_mov_b32 v19, v13 :: v_dual_mov_b32 v18, v12
	v_dual_mov_b32 v17, v11 :: v_dual_mov_b32 v16, v10
	v_dual_mov_b32 v23, v1 :: v_dual_mov_b32 v22, v0
	v_dual_mov_b32 v21, v3 :: v_dual_mov_b32 v20, v2
	s_mov_b32 s2, 2
	s_delay_alu instid0(SALU_CYCLE_1)
	s_cmp_gt_i32 s2, 3
	s_mov_b32 s3, -1
	s_cbranch_scc0 .LBB117_40
.LBB117_53:                             ;   in Loop: Header=BB117_17 Depth=1
	s_branch .LBB117_15
.LBB117_54:                             ;   in Loop: Header=BB117_17 Depth=1
                                        ; implicit-def: $sgpr26_sgpr27
	s_branch .LBB117_16
.LBB117_55:
	v_mov_b32_e32 v16, 0
	v_dual_mov_b32 v17, 0 :: v_dual_mov_b32 v18, 0
	v_mov_b32_e32 v19, 0x3ff00000
	s_cmp_lg_u32 s18, 0
	s_cbranch_scc1 .LBB117_58
	s_branch .LBB117_57
.LBB117_56:
	v_dual_mov_b32 v2, v20 :: v_dual_mov_b32 v3, v21
	v_dual_mov_b32 v0, v22 :: v_dual_mov_b32 v1, v23
	s_cmp_lg_u32 s18, 0
	s_cbranch_scc1 .LBB117_58
.LBB117_57:
	s_delay_alu instid0(VALU_DEP_2) | instskip(NEXT) | instid1(VALU_DEP_2)
	v_mul_f64 v[4:5], v[16:17], -v[2:3]
	v_mul_f64 v[6:7], v[16:17], v[0:1]
	s_delay_alu instid0(VALU_DEP_2) | instskip(NEXT) | instid1(VALU_DEP_2)
	v_fma_f64 v[0:1], v[0:1], v[18:19], v[4:5]
	v_fma_f64 v[2:3], v[2:3], v[18:19], v[6:7]
.LBB117_58:
	s_and_saveexec_b32 s1, s0
	s_cbranch_execz .LBB117_60
; %bb.59:
	s_lshl_b64 s[2:3], s[14:15], 4
	s_delay_alu instid0(SALU_CYCLE_1)
	v_add_co_u32 v4, vcc_lo, v24, s2
	v_add_co_ci_u32_e32 v5, vcc_lo, s3, v25, vcc_lo
	global_store_b128 v[4:5], v[0:3], off
.LBB117_60:
	s_or_b32 exec_lo, exec_lo, s1
	s_waitcnt_vscnt null, 0x0
	buffer_gl1_inv
	buffer_gl0_inv
	s_barrier
	buffer_gl0_inv
	s_mov_b32 s0, exec_lo
	v_cmpx_eq_u32_e32 0, v8
	s_cbranch_execz .LBB117_62
; %bb.61:
	s_lshl_b64 s[0:1], s[12:13], 2
	v_dual_mov_b32 v0, 0 :: v_dual_mov_b32 v1, 1
	s_add_u32 s2, s6, s0
	s_addc_u32 s3, s7, s1
	s_lshl_b64 s[0:1], s[4:5], 2
	s_delay_alu instid0(SALU_CYCLE_1)
	s_add_u32 s0, s2, s0
	s_addc_u32 s1, s3, s1
	global_store_b32 v0, v1, s[0:1]
.LBB117_62:
	s_nop 0
	s_sendmsg sendmsg(MSG_DEALLOC_VGPRS)
	s_endpgm
.LBB117_63:
                                        ; implicit-def: $sgpr24_sgpr25
	s_load_b64 s[22:23], s[2:3], 0x40
	s_branch .LBB117_4
	.section	.rodata,"a",@progbits
	.p2align	6, 0x0
	.amdhsa_kernel _ZN9rocsparseL5csrsmILj128ELj64ELb0Ell21rocsparse_complex_numIdEEEv20rocsparse_operation_T3_S4_NS_24const_host_device_scalarIT4_EEPKT2_PKS4_PKS6_PS6_lPiSC_PS4_21rocsparse_index_base_20rocsparse_fill_mode_20rocsparse_diag_type_b
		.amdhsa_group_segment_fixed_size 4096
		.amdhsa_private_segment_fixed_size 0
		.amdhsa_kernarg_size 120
		.amdhsa_user_sgpr_count 15
		.amdhsa_user_sgpr_dispatch_ptr 1
		.amdhsa_user_sgpr_queue_ptr 0
		.amdhsa_user_sgpr_kernarg_segment_ptr 1
		.amdhsa_user_sgpr_dispatch_id 0
		.amdhsa_user_sgpr_private_segment_size 0
		.amdhsa_wavefront_size32 1
		.amdhsa_uses_dynamic_stack 0
		.amdhsa_enable_private_segment 0
		.amdhsa_system_sgpr_workgroup_id_x 1
		.amdhsa_system_sgpr_workgroup_id_y 0
		.amdhsa_system_sgpr_workgroup_id_z 0
		.amdhsa_system_sgpr_workgroup_info 0
		.amdhsa_system_vgpr_workitem_id 2
		.amdhsa_next_free_vgpr 34
		.amdhsa_next_free_sgpr 32
		.amdhsa_reserve_vcc 1
		.amdhsa_float_round_mode_32 0
		.amdhsa_float_round_mode_16_64 0
		.amdhsa_float_denorm_mode_32 3
		.amdhsa_float_denorm_mode_16_64 3
		.amdhsa_dx10_clamp 1
		.amdhsa_ieee_mode 1
		.amdhsa_fp16_overflow 0
		.amdhsa_workgroup_processor_mode 1
		.amdhsa_memory_ordered 1
		.amdhsa_forward_progress 0
		.amdhsa_shared_vgpr_count 0
		.amdhsa_exception_fp_ieee_invalid_op 0
		.amdhsa_exception_fp_denorm_src 0
		.amdhsa_exception_fp_ieee_div_zero 0
		.amdhsa_exception_fp_ieee_overflow 0
		.amdhsa_exception_fp_ieee_underflow 0
		.amdhsa_exception_fp_ieee_inexact 0
		.amdhsa_exception_int_div_zero 0
	.end_amdhsa_kernel
	.section	.text._ZN9rocsparseL5csrsmILj128ELj64ELb0Ell21rocsparse_complex_numIdEEEv20rocsparse_operation_T3_S4_NS_24const_host_device_scalarIT4_EEPKT2_PKS4_PKS6_PS6_lPiSC_PS4_21rocsparse_index_base_20rocsparse_fill_mode_20rocsparse_diag_type_b,"axG",@progbits,_ZN9rocsparseL5csrsmILj128ELj64ELb0Ell21rocsparse_complex_numIdEEEv20rocsparse_operation_T3_S4_NS_24const_host_device_scalarIT4_EEPKT2_PKS4_PKS6_PS6_lPiSC_PS4_21rocsparse_index_base_20rocsparse_fill_mode_20rocsparse_diag_type_b,comdat
.Lfunc_end117:
	.size	_ZN9rocsparseL5csrsmILj128ELj64ELb0Ell21rocsparse_complex_numIdEEEv20rocsparse_operation_T3_S4_NS_24const_host_device_scalarIT4_EEPKT2_PKS4_PKS6_PS6_lPiSC_PS4_21rocsparse_index_base_20rocsparse_fill_mode_20rocsparse_diag_type_b, .Lfunc_end117-_ZN9rocsparseL5csrsmILj128ELj64ELb0Ell21rocsparse_complex_numIdEEEv20rocsparse_operation_T3_S4_NS_24const_host_device_scalarIT4_EEPKT2_PKS4_PKS6_PS6_lPiSC_PS4_21rocsparse_index_base_20rocsparse_fill_mode_20rocsparse_diag_type_b
                                        ; -- End function
	.section	.AMDGPU.csdata,"",@progbits
; Kernel info:
; codeLenInByte = 3208
; NumSgprs: 34
; NumVgprs: 34
; ScratchSize: 0
; MemoryBound: 1
; FloatMode: 240
; IeeeMode: 1
; LDSByteSize: 4096 bytes/workgroup (compile time only)
; SGPRBlocks: 4
; VGPRBlocks: 4
; NumSGPRsForWavesPerEU: 34
; NumVGPRsForWavesPerEU: 34
; Occupancy: 16
; WaveLimiterHint : 1
; COMPUTE_PGM_RSRC2:SCRATCH_EN: 0
; COMPUTE_PGM_RSRC2:USER_SGPR: 15
; COMPUTE_PGM_RSRC2:TRAP_HANDLER: 0
; COMPUTE_PGM_RSRC2:TGID_X_EN: 1
; COMPUTE_PGM_RSRC2:TGID_Y_EN: 0
; COMPUTE_PGM_RSRC2:TGID_Z_EN: 0
; COMPUTE_PGM_RSRC2:TIDIG_COMP_CNT: 2
	.section	.text._ZN9rocsparseL5csrsmILj256ELj64ELb1Ell21rocsparse_complex_numIdEEEv20rocsparse_operation_T3_S4_NS_24const_host_device_scalarIT4_EEPKT2_PKS4_PKS6_PS6_lPiSC_PS4_21rocsparse_index_base_20rocsparse_fill_mode_20rocsparse_diag_type_b,"axG",@progbits,_ZN9rocsparseL5csrsmILj256ELj64ELb1Ell21rocsparse_complex_numIdEEEv20rocsparse_operation_T3_S4_NS_24const_host_device_scalarIT4_EEPKT2_PKS4_PKS6_PS6_lPiSC_PS4_21rocsparse_index_base_20rocsparse_fill_mode_20rocsparse_diag_type_b,comdat
	.globl	_ZN9rocsparseL5csrsmILj256ELj64ELb1Ell21rocsparse_complex_numIdEEEv20rocsparse_operation_T3_S4_NS_24const_host_device_scalarIT4_EEPKT2_PKS4_PKS6_PS6_lPiSC_PS4_21rocsparse_index_base_20rocsparse_fill_mode_20rocsparse_diag_type_b ; -- Begin function _ZN9rocsparseL5csrsmILj256ELj64ELb1Ell21rocsparse_complex_numIdEEEv20rocsparse_operation_T3_S4_NS_24const_host_device_scalarIT4_EEPKT2_PKS4_PKS6_PS6_lPiSC_PS4_21rocsparse_index_base_20rocsparse_fill_mode_20rocsparse_diag_type_b
	.p2align	8
	.type	_ZN9rocsparseL5csrsmILj256ELj64ELb1Ell21rocsparse_complex_numIdEEEv20rocsparse_operation_T3_S4_NS_24const_host_device_scalarIT4_EEPKT2_PKS4_PKS6_PS6_lPiSC_PS4_21rocsparse_index_base_20rocsparse_fill_mode_20rocsparse_diag_type_b,@function
_ZN9rocsparseL5csrsmILj256ELj64ELb1Ell21rocsparse_complex_numIdEEEv20rocsparse_operation_T3_S4_NS_24const_host_device_scalarIT4_EEPKT2_PKS4_PKS6_PS6_lPiSC_PS4_21rocsparse_index_base_20rocsparse_fill_mode_20rocsparse_diag_type_b: ; @_ZN9rocsparseL5csrsmILj256ELj64ELb1Ell21rocsparse_complex_numIdEEEv20rocsparse_operation_T3_S4_NS_24const_host_device_scalarIT4_EEPKT2_PKS4_PKS6_PS6_lPiSC_PS4_21rocsparse_index_base_20rocsparse_fill_mode_20rocsparse_diag_type_b
; %bb.0:
	s_load_b64 s[0:1], s[0:1], 0x4
	s_load_b256 s[4:11], s[2:3], 0x8
	v_and_b32_e32 v8, 0x3ff, v0
	s_load_b128 s[16:19], s[2:3], 0x68
	v_bfe_u32 v2, v0, 10, 10
	v_bfe_u32 v0, v0, 20, 10
	s_waitcnt lgkmcnt(0)
	s_lshr_b32 s0, s0, 16
	v_mov_b32_e32 v6, s10
	s_mul_i32 s0, s0, s1
	v_mov_b32_e32 v7, s11
	v_mul_lo_u32 v1, s0, v8
	s_and_b32 s0, 1, s19
	s_delay_alu instid0(SALU_CYCLE_1) | instskip(SKIP_1) | instid1(VALU_DEP_1)
	s_cmp_eq_u32 s0, 1
	s_cselect_b32 vcc_lo, -1, 0
	v_mad_u32_u24 v1, v2, s1, v1
	s_mov_b64 s[0:1], src_shared_base
	v_dual_mov_b32 v2, s8 :: v_dual_mov_b32 v3, s9
	s_delay_alu instid0(VALU_DEP_2) | instskip(NEXT) | instid1(VALU_DEP_1)
	v_add_lshl_u32 v4, v1, v0, 3
	v_add_nc_u32_e32 v0, 0x1800, v4
	ds_store_b64 v4, v[2:3] offset:6144
	v_cndmask_b32_e32 v0, s8, v0, vcc_lo
	s_and_b32 vcc_lo, exec_lo, vcc_lo
	s_cselect_b32 s0, s1, s9
	s_delay_alu instid0(SALU_CYCLE_1)
	v_mov_b32_e32 v1, s0
	flat_load_b64 v[4:5], v[0:1]
	s_cbranch_vccnz .LBB118_2
; %bb.1:
	v_dual_mov_b32 v0, s8 :: v_dual_mov_b32 v1, s9
	flat_load_b64 v[6:7], v[0:1] offset:8
.LBB118_2:
	s_clause 0x1
	s_load_b64 s[8:9], s[2:3], 0x58
	s_load_b64 s[0:1], s[2:3], 0x28
	s_mov_b32 s10, 0
	s_mov_b32 s11, s5
	s_delay_alu instid0(SALU_CYCLE_1)
	s_cmp_lg_u64 s[10:11], 0
	s_cbranch_scc0 .LBB118_66
; %bb.3:
	s_ashr_i32 s12, s5, 31
	s_delay_alu instid0(SALU_CYCLE_1) | instskip(SKIP_2) | instid1(SALU_CYCLE_1)
	s_add_u32 s20, s4, s12
	s_mov_b32 s13, s12
	s_addc_u32 s21, s5, s12
	s_xor_b64 s[20:21], s[20:21], s[12:13]
	s_delay_alu instid0(SALU_CYCLE_1) | instskip(SKIP_3) | instid1(VALU_DEP_1)
	v_cvt_f32_u32_e32 v0, s20
	v_cvt_f32_u32_e32 v1, s21
	s_sub_u32 s19, 0, s20
	s_subb_u32 s22, 0, s21
	v_fmamk_f32 v0, v1, 0x4f800000, v0
	s_delay_alu instid0(VALU_DEP_1) | instskip(SKIP_2) | instid1(VALU_DEP_1)
	v_rcp_f32_e32 v0, v0
	s_waitcnt_depctr 0xfff
	v_mul_f32_e32 v0, 0x5f7ffffc, v0
	v_mul_f32_e32 v1, 0x2f800000, v0
	s_delay_alu instid0(VALU_DEP_1) | instskip(NEXT) | instid1(VALU_DEP_1)
	v_trunc_f32_e32 v1, v1
	v_fmamk_f32 v0, v1, 0xcf800000, v0
	v_cvt_u32_f32_e32 v1, v1
	s_delay_alu instid0(VALU_DEP_2) | instskip(NEXT) | instid1(VALU_DEP_2)
	v_cvt_u32_f32_e32 v0, v0
	v_readfirstlane_b32 s11, v1
	s_delay_alu instid0(VALU_DEP_2) | instskip(NEXT) | instid1(VALU_DEP_2)
	v_readfirstlane_b32 s14, v0
	s_mul_i32 s23, s19, s11
	s_delay_alu instid0(VALU_DEP_1)
	s_mul_hi_u32 s25, s19, s14
	s_mul_i32 s24, s22, s14
	s_add_i32 s23, s25, s23
	s_mul_i32 s26, s19, s14
	s_add_i32 s23, s23, s24
	s_mul_hi_u32 s25, s14, s26
	s_mul_hi_u32 s27, s11, s26
	s_mul_i32 s24, s11, s26
	s_mul_hi_u32 s26, s14, s23
	s_mul_i32 s14, s14, s23
	s_mul_hi_u32 s28, s11, s23
	s_add_u32 s14, s25, s14
	s_addc_u32 s25, 0, s26
	s_add_u32 s14, s14, s24
	s_mul_i32 s23, s11, s23
	s_addc_u32 s14, s25, s27
	s_addc_u32 s24, s28, 0
	s_add_u32 s14, s14, s23
	s_addc_u32 s23, 0, s24
	v_add_co_u32 v0, s14, v0, s14
	s_delay_alu instid0(VALU_DEP_1) | instskip(SKIP_1) | instid1(VALU_DEP_1)
	s_cmp_lg_u32 s14, 0
	s_addc_u32 s11, s11, s23
	v_readfirstlane_b32 s14, v0
	s_mul_i32 s23, s19, s11
	s_delay_alu instid0(VALU_DEP_1)
	s_mul_hi_u32 s24, s19, s14
	s_mul_i32 s22, s22, s14
	s_add_i32 s23, s24, s23
	s_mul_i32 s19, s19, s14
	s_add_i32 s23, s23, s22
	s_mul_hi_u32 s24, s11, s19
	s_mul_i32 s25, s11, s19
	s_mul_hi_u32 s19, s14, s19
	s_mul_hi_u32 s26, s14, s23
	s_mul_i32 s14, s14, s23
	s_mul_hi_u32 s22, s11, s23
	s_add_u32 s14, s19, s14
	s_addc_u32 s19, 0, s26
	s_add_u32 s14, s14, s25
	s_mul_i32 s23, s11, s23
	s_addc_u32 s14, s19, s24
	s_addc_u32 s19, s22, 0
	s_add_u32 s14, s14, s23
	s_addc_u32 s19, 0, s19
	v_add_co_u32 v0, s14, v0, s14
	s_delay_alu instid0(VALU_DEP_1) | instskip(SKIP_1) | instid1(VALU_DEP_1)
	s_cmp_lg_u32 s14, 0
	s_addc_u32 s11, s11, s19
	v_readfirstlane_b32 s14, v0
	s_mul_i32 s19, s15, s11
	s_mul_hi_u32 s11, s15, s11
	s_delay_alu instid0(VALU_DEP_1) | instskip(NEXT) | instid1(SALU_CYCLE_1)
	s_mul_hi_u32 s14, s15, s14
	s_add_u32 s14, s14, s19
	s_addc_u32 s11, 0, s11
	s_add_u32 s14, s14, 0
	s_addc_u32 s11, s11, 0
	s_addc_u32 s14, 0, 0
	s_add_u32 s11, s11, 0
	s_addc_u32 s14, 0, s14
	s_mul_hi_u32 s19, s20, s11
	s_mul_i32 s23, s20, s14
	s_mul_i32 s24, s20, s11
	s_add_i32 s19, s19, s23
	v_sub_co_u32 v0, s23, s15, s24
	s_mul_i32 s22, s21, s11
	s_delay_alu instid0(SALU_CYCLE_1) | instskip(NEXT) | instid1(VALU_DEP_1)
	s_add_i32 s19, s19, s22
	v_sub_co_u32 v1, s24, v0, s20
	s_sub_i32 s22, 0, s19
	s_cmp_lg_u32 s23, 0
	s_subb_u32 s22, s22, s21
	s_cmp_lg_u32 s24, 0
	v_readfirstlane_b32 s24, v1
	s_subb_u32 s22, s22, 0
	s_delay_alu instid0(SALU_CYCLE_1) | instskip(SKIP_1) | instid1(VALU_DEP_1)
	s_cmp_ge_u32 s22, s21
	s_cselect_b32 s25, -1, 0
	s_cmp_ge_u32 s24, s20
	s_cselect_b32 s24, -1, 0
	s_cmp_eq_u32 s22, s21
	s_cselect_b32 s22, s24, s25
	s_add_u32 s24, s11, 1
	s_addc_u32 s25, s14, 0
	s_add_u32 s26, s11, 2
	s_addc_u32 s27, s14, 0
	s_cmp_lg_u32 s22, 0
	s_cselect_b32 s22, s26, s24
	s_cselect_b32 s24, s27, s25
	s_cmp_lg_u32 s23, 0
	v_readfirstlane_b32 s23, v0
	s_subb_u32 s19, 0, s19
	s_delay_alu instid0(SALU_CYCLE_1) | instskip(SKIP_1) | instid1(VALU_DEP_1)
	s_cmp_ge_u32 s19, s21
	s_cselect_b32 s25, -1, 0
	s_cmp_ge_u32 s23, s20
	s_cselect_b32 s20, -1, 0
	s_cmp_eq_u32 s19, s21
	s_cselect_b32 s19, s20, s25
	s_delay_alu instid0(SALU_CYCLE_1) | instskip(SKIP_2) | instid1(SALU_CYCLE_1)
	s_cmp_lg_u32 s19, 0
	s_cselect_b32 s21, s24, s14
	s_cselect_b32 s20, s22, s11
	s_xor_b64 s[20:21], s[20:21], s[12:13]
	s_delay_alu instid0(SALU_CYCLE_1)
	s_sub_u32 s24, s20, s12
	s_subb_u32 s25, s21, s12
	s_load_b64 s[22:23], s[2:3], 0x40
	s_and_not1_b32 vcc_lo, exec_lo, s10
	s_cbranch_vccnz .LBB118_5
.LBB118_4:
	v_cvt_f32_u32_e32 v0, s4
	s_sub_i32 s11, 0, s4
	s_mov_b32 s25, 0
	s_delay_alu instid0(VALU_DEP_1) | instskip(SKIP_2) | instid1(VALU_DEP_1)
	v_rcp_iflag_f32_e32 v0, v0
	s_waitcnt_depctr 0xfff
	v_mul_f32_e32 v0, 0x4f7ffffe, v0
	v_cvt_u32_f32_e32 v0, v0
	s_delay_alu instid0(VALU_DEP_1) | instskip(NEXT) | instid1(VALU_DEP_1)
	v_readfirstlane_b32 s10, v0
	s_mul_i32 s11, s11, s10
	s_delay_alu instid0(SALU_CYCLE_1) | instskip(NEXT) | instid1(SALU_CYCLE_1)
	s_mul_hi_u32 s11, s10, s11
	s_add_i32 s10, s10, s11
	s_delay_alu instid0(SALU_CYCLE_1) | instskip(NEXT) | instid1(SALU_CYCLE_1)
	s_mul_hi_u32 s10, s15, s10
	s_mul_i32 s11, s10, s4
	s_add_i32 s12, s10, 1
	s_sub_i32 s11, s15, s11
	s_delay_alu instid0(SALU_CYCLE_1)
	s_sub_i32 s13, s11, s4
	s_cmp_ge_u32 s11, s4
	s_cselect_b32 s10, s12, s10
	s_cselect_b32 s11, s13, s11
	s_add_i32 s12, s10, 1
	s_cmp_ge_u32 s11, s4
	s_cselect_b32 s24, s12, s10
.LBB118_5:
	s_delay_alu instid0(SALU_CYCLE_1)
	s_mul_i32 s5, s24, s5
	s_mul_hi_u32 s10, s24, s4
	s_load_b32 s19, s[2:3], 0x0
	s_add_i32 s5, s10, s5
	s_mul_i32 s10, s25, s4
	s_mul_i32 s4, s24, s4
	s_add_i32 s5, s5, s10
	s_sub_u32 s10, s15, s4
	s_subb_u32 s11, 0, s5
	s_delay_alu instid0(SALU_CYCLE_1)
	s_lshl_b64 s[10:11], s[10:11], 3
	s_waitcnt lgkmcnt(0)
	s_add_u32 s8, s8, s10
	s_addc_u32 s9, s9, s11
	s_load_b64 s[12:13], s[8:9], 0x0
	s_load_b64 s[20:21], s[2:3], 0x48
	s_waitcnt lgkmcnt(0)
	s_lshl_b64 s[8:9], s[12:13], 3
	s_mul_i32 s14, s12, s20
	s_add_u32 s0, s0, s8
	s_addc_u32 s1, s1, s9
	s_lshl_b64 s[24:25], s[24:25], 8
	s_load_b128 s[8:11], s[0:1], 0x0
	v_or_b32_e32 v9, s24, v8
	s_mul_i32 s0, s12, s21
	s_mul_hi_u32 s1, s12, s20
	v_mov_b32_e32 v10, s25
	v_mov_b32_e32 v0, s25
	s_add_i32 s0, s1, s0
	s_mul_i32 s1, s13, s20
	v_add_co_u32 v11, vcc_lo, v9, s14
	s_add_i32 s15, s0, s1
	v_cmp_gt_i64_e64 s0, s[6:7], v[9:10]
	v_add_co_ci_u32_e32 v12, vcc_lo, s15, v0, vcc_lo
	s_cmpk_lg_i32 s19, 0x71
	s_cbranch_scc0 .LBB118_9
; %bb.6:
	v_mov_b32_e32 v2, 0
	v_mov_b32_e32 v3, 0
	s_delay_alu instid0(VALU_DEP_1)
	v_dual_mov_b32 v0, v2 :: v_dual_mov_b32 v1, v3
	s_and_saveexec_b32 s1, s0
	s_cbranch_execz .LBB118_8
; %bb.7:
	v_lshlrev_b64 v[0:1], 4, v[11:12]
	s_delay_alu instid0(VALU_DEP_1) | instskip(NEXT) | instid1(VALU_DEP_2)
	v_add_co_u32 v0, vcc_lo, s22, v0
	v_add_co_ci_u32_e32 v1, vcc_lo, s23, v1, vcc_lo
	global_load_b128 v[13:16], v[0:1], off
	s_waitcnt vmcnt(0)
	v_mul_f64 v[0:1], v[15:16], -v[6:7]
	v_mul_f64 v[2:3], v[4:5], v[15:16]
	s_delay_alu instid0(VALU_DEP_2) | instskip(NEXT) | instid1(VALU_DEP_2)
	v_fma_f64 v[0:1], v[4:5], v[13:14], v[0:1]
	v_fma_f64 v[2:3], v[6:7], v[13:14], v[2:3]
.LBB118_8:
	s_or_b32 exec_lo, exec_lo, s1
	s_load_b64 s[6:7], s[2:3], 0x50
	s_cbranch_execz .LBB118_10
	s_branch .LBB118_13
.LBB118_9:
                                        ; implicit-def: $vgpr2_vgpr3
	s_load_b64 s[6:7], s[2:3], 0x50
.LBB118_10:
	v_mov_b32_e32 v2, 0
	v_mov_b32_e32 v3, 0
	s_delay_alu instid0(VALU_DEP_1)
	v_dual_mov_b32 v0, v2 :: v_dual_mov_b32 v1, v3
	s_and_saveexec_b32 s1, s0
	s_cbranch_execz .LBB118_12
; %bb.11:
	v_lshlrev_b64 v[0:1], 4, v[11:12]
	s_delay_alu instid0(VALU_DEP_1) | instskip(NEXT) | instid1(VALU_DEP_2)
	v_add_co_u32 v0, vcc_lo, s22, v0
	v_add_co_ci_u32_e32 v1, vcc_lo, s23, v1, vcc_lo
	global_load_b128 v[11:14], v[0:1], off
	s_waitcnt vmcnt(0)
	v_mul_f64 v[0:1], v[6:7], v[13:14]
	v_mul_f64 v[2:3], v[4:5], -v[13:14]
	s_delay_alu instid0(VALU_DEP_2) | instskip(NEXT) | instid1(VALU_DEP_2)
	v_fma_f64 v[0:1], v[4:5], v[11:12], v[0:1]
	v_fma_f64 v[2:3], v[6:7], v[11:12], v[2:3]
.LBB118_12:
	s_or_b32 exec_lo, exec_lo, s1
.LBB118_13:
	s_waitcnt vmcnt(0)
	v_lshlrev_b64 v[4:5], 4, v[9:10]
	s_waitcnt lgkmcnt(0)
	v_cmp_ge_i64_e64 s1, s[8:9], s[10:11]
	s_delay_alu instid0(VALU_DEP_2) | instskip(NEXT) | instid1(VALU_DEP_3)
	v_add_co_u32 v24, vcc_lo, s22, v4
	v_add_co_ci_u32_e32 v25, vcc_lo, s23, v5, vcc_lo
	s_delay_alu instid0(VALU_DEP_3)
	s_and_b32 vcc_lo, exec_lo, s1
	v_cmp_eq_u32_e64 s1, 0, v8
	s_cbranch_vccnz .LBB118_58
; %bb.14:
	s_clause 0x1
	s_load_b128 s[24:27], s[2:3], 0x30
	s_load_b64 s[22:23], s[2:3], 0x60
	v_dual_mov_b32 v9, 0 :: v_dual_lshlrev_b32 v4, 3, v8
	s_lshl_b64 s[2:3], s[4:5], 2
	v_dual_mov_b32 v10, 0 :: v_dual_lshlrev_b32 v5, 4, v8
	s_add_u32 s19, s6, s2
	s_addc_u32 s28, s7, s3
	s_sub_u32 s8, s8, s16
	s_subb_u32 s9, s9, 0
	s_sub_u32 s10, s10, s16
	s_subb_u32 s11, s11, 0
	v_dual_mov_b32 v12, 0 :: v_dual_lshlrev_b32 v31, 4, v8
	v_lshl_or_b32 v26, v8, 3, 0x1000
	s_cmp_eq_u32 s18, 0
	v_mov_b32_e32 v11, 0
	v_mov_b32_e32 v13, 0x3ff00000
	s_cselect_b32 s29, -1, 0
	s_waitcnt lgkmcnt(0)
	v_add_co_u32 v27, s2, s24, v4
	s_delay_alu instid0(VALU_DEP_1) | instskip(SKIP_1) | instid1(VALU_DEP_1)
	v_add_co_ci_u32_e64 v28, null, s25, 0, s2
	v_add_co_u32 v29, s2, s26, v5
	v_add_co_ci_u32_e64 v30, null, s27, 0, s2
	s_add_u32 s24, s12, s16
	s_addc_u32 s25, s13, 0
	s_mov_b64 s[26:27], s[8:9]
	s_branch .LBB118_17
.LBB118_15:                             ;   in Loop: Header=BB118_17 Depth=1
	s_add_u32 s26, s26, 1
	s_addc_u32 s27, s27, 0
	s_delay_alu instid0(SALU_CYCLE_1)
	v_cmp_ge_i64_e64 s3, s[26:27], s[10:11]
.LBB118_16:                             ;   in Loop: Header=BB118_17 Depth=1
	s_delay_alu instid0(VALU_DEP_3) | instskip(NEXT) | instid1(VALU_DEP_4)
	v_dual_mov_b32 v2, v20 :: v_dual_mov_b32 v3, v21
	v_dual_mov_b32 v0, v22 :: v_dual_mov_b32 v1, v23
	s_delay_alu instid0(VALU_DEP_4) | instskip(NEXT) | instid1(VALU_DEP_4)
	v_dual_mov_b32 v10, v16 :: v_dual_mov_b32 v11, v17
	v_dual_mov_b32 v12, v18 :: v_dual_mov_b32 v13, v19
	s_and_not1_b32 vcc_lo, exec_lo, s3
	s_cbranch_vccz .LBB118_59
.LBB118_17:                             ; =>This Loop Header: Depth=1
                                        ;     Child Loop BB118_56 Depth 2
                                        ;       Child Loop BB118_57 Depth 3
	s_sub_i32 s2, s26, s8
	s_delay_alu instid0(SALU_CYCLE_1) | instskip(NEXT) | instid1(SALU_CYCLE_1)
	s_and_b32 s2, s2, 0xff
	s_cmp_lg_u32 s2, 0
	s_cbranch_scc1 .LBB118_21
; %bb.18:                               ;   in Loop: Header=BB118_17 Depth=1
	v_mov_b32_e32 v14, -1
	v_dual_mov_b32 v15, -1 :: v_dual_mov_b32 v6, 0
	v_dual_mov_b32 v4, 0 :: v_dual_mov_b32 v7, 0
	v_mov_b32_e32 v5, 0xbff00000
	s_sub_u32 s30, s10, s26
	s_subb_u32 s31, s11, s27
	s_mov_b32 s3, exec_lo
	v_cmpx_gt_i64_e64 s[30:31], v[8:9]
	s_cbranch_execz .LBB118_20
; %bb.19:                               ;   in Loop: Header=BB118_17 Depth=1
	s_lshl_b64 s[30:31], s[26:27], 3
	s_delay_alu instid0(SALU_CYCLE_1)
	v_add_co_u32 v4, vcc_lo, v27, s30
	v_add_co_ci_u32_e32 v5, vcc_lo, s31, v28, vcc_lo
	s_lshl_b64 s[30:31], s[26:27], 4
	global_load_b64 v[14:15], v[4:5], off
	v_add_co_u32 v4, vcc_lo, v29, s30
	v_add_co_ci_u32_e32 v5, vcc_lo, s31, v30, vcc_lo
	global_load_b128 v[4:7], v[4:5], off
	s_waitcnt vmcnt(1)
	v_sub_co_u32 v14, vcc_lo, v14, s16
	v_subrev_co_ci_u32_e32 v15, vcc_lo, 0, v15, vcc_lo
.LBB118_20:                             ;   in Loop: Header=BB118_17 Depth=1
	s_or_b32 exec_lo, exec_lo, s3
	ds_store_b64 v26, v[14:15]
	s_waitcnt vmcnt(0)
	ds_store_b128 v31, v[4:7]
.LBB118_21:                             ;   in Loop: Header=BB118_17 Depth=1
	s_lshl_b32 s3, s2, 4
	s_waitcnt lgkmcnt(0)
	v_mov_b32_e32 v4, s3
	s_waitcnt_vscnt null, 0x0
	s_barrier
	buffer_gl0_inv
	s_lshl_b32 s2, s2, 3
	ds_load_b128 v[16:19], v4
	v_mov_b32_e32 v4, s2
	ds_load_b64 v[14:15], v4 offset:4096
	s_waitcnt lgkmcnt(1)
	v_cmp_eq_f64_e32 vcc_lo, 0, v[16:17]
	v_cmp_eq_f64_e64 s3, 0, v[18:19]
	s_waitcnt lgkmcnt(0)
	v_cmp_eq_u64_e64 s2, s[12:13], v[14:15]
	v_cmp_ne_u64_e64 s9, s[12:13], v[14:15]
	s_delay_alu instid0(VALU_DEP_3)
	s_and_b32 s3, vcc_lo, s3
	s_delay_alu instid0(VALU_DEP_2) | instid1(SALU_CYCLE_1)
	s_and_b32 s3, s3, s2
	s_delay_alu instid0(SALU_CYCLE_1) | instskip(NEXT) | instid1(SALU_CYCLE_1)
	s_and_b32 s3, s29, s3
	v_cndmask_b32_e64 v5, v19, 0, s3
	v_cndmask_b32_e64 v4, v18, 0, s3
	;; [unrolled: 1-line block ×4, first 2 shown]
	s_and_b32 s30, s1, s3
	s_delay_alu instid0(SALU_CYCLE_1)
	s_and_saveexec_b32 s3, s30
	s_cbranch_execz .LBB118_25
; %bb.22:                               ;   in Loop: Header=BB118_17 Depth=1
	v_mbcnt_lo_u32_b32 v4, exec_lo, 0
	s_mov_b32 s30, exec_lo
	s_delay_alu instid0(VALU_DEP_1)
	v_cmpx_eq_u32_e32 0, v4
	s_cbranch_execz .LBB118_24
; %bb.23:                               ;   in Loop: Header=BB118_17 Depth=1
	v_dual_mov_b32 v4, s24 :: v_dual_mov_b32 v5, s25
	global_atomic_min_u64 v9, v[4:5], s[22:23]
.LBB118_24:                             ;   in Loop: Header=BB118_17 Depth=1
	s_or_b32 exec_lo, exec_lo, s30
	v_mov_b32_e32 v4, 0
	v_dual_mov_b32 v5, 0 :: v_dual_mov_b32 v6, 0
	v_mov_b32_e32 v7, 0x3ff00000
.LBB118_25:                             ;   in Loop: Header=BB118_17 Depth=1
	s_or_b32 exec_lo, exec_lo, s3
	s_cmp_lt_i32 s17, 1
	s_mov_b32 s3, 0
	s_cbranch_scc1 .LBB118_31
; %bb.26:                               ;   in Loop: Header=BB118_17 Depth=1
	s_cmp_eq_u32 s17, 1
	s_cbranch_scc0 .LBB118_32
; %bb.27:                               ;   in Loop: Header=BB118_17 Depth=1
	v_cmp_le_i64_e32 vcc_lo, s[12:13], v[14:15]
	v_dual_mov_b32 v17, v11 :: v_dual_mov_b32 v16, v10
	v_dual_mov_b32 v19, v13 :: v_dual_mov_b32 v18, v12
	s_mov_b32 s30, 0
	s_cbranch_vccz .LBB118_34
; %bb.28:                               ;   in Loop: Header=BB118_17 Depth=1
	s_and_b32 vcc_lo, exec_lo, s2
	s_cbranch_vccz .LBB118_33
; %bb.29:                               ;   in Loop: Header=BB118_17 Depth=1
	v_dual_mov_b32 v17, v11 :: v_dual_mov_b32 v16, v10
	v_dual_mov_b32 v19, v13 :: v_dual_mov_b32 v18, v12
	s_and_not1_b32 vcc_lo, exec_lo, s29
	s_cbranch_vccnz .LBB118_34
; %bb.30:                               ;   in Loop: Header=BB118_17 Depth=1
	v_mul_f64 v[16:17], v[4:5], v[4:5]
	s_delay_alu instid0(VALU_DEP_1) | instskip(NEXT) | instid1(VALU_DEP_1)
	v_fma_f64 v[16:17], v[6:7], v[6:7], v[16:17]
	v_div_scale_f64 v[18:19], null, v[16:17], v[16:17], 1.0
	v_div_scale_f64 v[32:33], vcc_lo, 1.0, v[16:17], 1.0
	s_delay_alu instid0(VALU_DEP_2) | instskip(SKIP_2) | instid1(VALU_DEP_1)
	v_rcp_f64_e32 v[20:21], v[18:19]
	s_waitcnt_depctr 0xfff
	v_fma_f64 v[22:23], -v[18:19], v[20:21], 1.0
	v_fma_f64 v[20:21], v[20:21], v[22:23], v[20:21]
	s_delay_alu instid0(VALU_DEP_1) | instskip(NEXT) | instid1(VALU_DEP_1)
	v_fma_f64 v[22:23], -v[18:19], v[20:21], 1.0
	v_fma_f64 v[20:21], v[20:21], v[22:23], v[20:21]
	s_delay_alu instid0(VALU_DEP_1) | instskip(NEXT) | instid1(VALU_DEP_1)
	v_mul_f64 v[22:23], v[32:33], v[20:21]
	v_fma_f64 v[18:19], -v[18:19], v[22:23], v[32:33]
	s_delay_alu instid0(VALU_DEP_1) | instskip(SKIP_2) | instid1(VALU_DEP_3)
	v_div_fmas_f64 v[18:19], v[18:19], v[20:21], v[22:23]
	v_fma_f64 v[20:21], v[4:5], 0, v[6:7]
	v_fma_f64 v[22:23], v[6:7], 0, -v[4:5]
	v_div_fixup_f64 v[16:17], v[18:19], v[16:17], 1.0
	s_delay_alu instid0(VALU_DEP_1) | instskip(NEXT) | instid1(VALU_DEP_3)
	v_mul_f64 v[18:19], v[20:21], v[16:17]
	v_mul_f64 v[16:17], v[22:23], v[16:17]
	s_branch .LBB118_34
.LBB118_31:                             ;   in Loop: Header=BB118_17 Depth=1
	s_mov_b32 s30, 0
                                        ; implicit-def: $sgpr2
                                        ; implicit-def: $vgpr20_vgpr21
                                        ; implicit-def: $vgpr22_vgpr23
                                        ; implicit-def: $vgpr16_vgpr17
                                        ; implicit-def: $vgpr18_vgpr19
	s_cbranch_execnz .LBB118_35
	s_branch .LBB118_37
.LBB118_32:                             ;   in Loop: Header=BB118_17 Depth=1
	s_mov_b32 s30, -1
                                        ; implicit-def: $sgpr2
                                        ; implicit-def: $vgpr20_vgpr21
                                        ; implicit-def: $vgpr22_vgpr23
                                        ; implicit-def: $vgpr16_vgpr17
                                        ; implicit-def: $vgpr18_vgpr19
	s_branch .LBB118_37
.LBB118_33:                             ;   in Loop: Header=BB118_17 Depth=1
	s_mov_b32 s30, -1
                                        ; implicit-def: $vgpr16_vgpr17
                                        ; implicit-def: $vgpr18_vgpr19
.LBB118_34:                             ;   in Loop: Header=BB118_17 Depth=1
	v_dual_mov_b32 v21, v3 :: v_dual_mov_b32 v20, v2
	v_dual_mov_b32 v23, v1 :: v_dual_mov_b32 v22, v0
	s_mov_b32 s2, 4
	s_branch .LBB118_37
.LBB118_35:                             ;   in Loop: Header=BB118_17 Depth=1
	s_cmp_eq_u32 s17, 0
	s_cbranch_scc1 .LBB118_41
; %bb.36:                               ;   in Loop: Header=BB118_17 Depth=1
	s_mov_b32 s30, -1
                                        ; implicit-def: $sgpr2
                                        ; implicit-def: $vgpr20_vgpr21
                                        ; implicit-def: $vgpr22_vgpr23
                                        ; implicit-def: $vgpr16_vgpr17
                                        ; implicit-def: $vgpr18_vgpr19
.LBB118_37:                             ;   in Loop: Header=BB118_17 Depth=1
	s_delay_alu instid0(SALU_CYCLE_1)
	s_and_b32 vcc_lo, exec_lo, s30
	s_cbranch_vccnz .LBB118_44
.LBB118_38:                             ;   in Loop: Header=BB118_17 Depth=1
	s_and_b32 vcc_lo, exec_lo, s3
	s_cbranch_vccnz .LBB118_49
.LBB118_39:                             ;   in Loop: Header=BB118_17 Depth=1
	s_cmp_gt_i32 s2, 3
	s_mov_b32 s3, -1
	s_cbranch_scc1 .LBB118_52
.LBB118_40:                             ;   in Loop: Header=BB118_17 Depth=1
	s_cmp_eq_u32 s2, 0
	s_cselect_b32 s2, -1, 0
	s_delay_alu instid0(SALU_CYCLE_1)
	s_and_not1_b32 vcc_lo, exec_lo, s2
	s_cbranch_vccz .LBB118_15
	s_branch .LBB118_53
.LBB118_41:                             ;   in Loop: Header=BB118_17 Depth=1
	v_cmp_ge_i64_e32 vcc_lo, s[12:13], v[14:15]
	s_mov_b32 s30, 0
	s_cbranch_vccz .LBB118_43
; %bb.42:                               ;   in Loop: Header=BB118_17 Depth=1
	s_mov_b32 s3, -1
	s_mov_b32 s30, s9
.LBB118_43:                             ;   in Loop: Header=BB118_17 Depth=1
	v_dual_mov_b32 v21, v3 :: v_dual_mov_b32 v20, v2
	v_dual_mov_b32 v23, v1 :: v_dual_mov_b32 v22, v0
	;; [unrolled: 1-line block ×4, first 2 shown]
	s_mov_b32 s2, 2
	s_and_b32 vcc_lo, exec_lo, s30
	s_cbranch_vccz .LBB118_38
.LBB118_44:                             ;   in Loop: Header=BB118_17 Depth=1
	s_and_saveexec_b32 s2, s1
	s_cbranch_execz .LBB118_46
; %bb.45:                               ;   in Loop: Header=BB118_17 Depth=1
	v_lshlrev_b64 v[16:17], 2, v[14:15]
	s_delay_alu instid0(VALU_DEP_1) | instskip(NEXT) | instid1(VALU_DEP_2)
	v_add_co_u32 v16, vcc_lo, s19, v16
	v_add_co_ci_u32_e32 v17, vcc_lo, s28, v17, vcc_lo
	global_load_b32 v18, v[16:17], off glc
	s_waitcnt vmcnt(0)
	v_cmp_ne_u32_e32 vcc_lo, 0, v18
	s_cbranch_vccz .LBB118_54
.LBB118_46:                             ;   in Loop: Header=BB118_17 Depth=1
	s_or_b32 exec_lo, exec_lo, s2
	v_mov_b32_e32 v20, 0
	v_mov_b32_e32 v21, 0
	s_waitcnt_vscnt null, 0x0
	s_barrier
	buffer_gl0_inv
	buffer_gl1_inv
	buffer_gl0_inv
	v_dual_mov_b32 v23, v21 :: v_dual_mov_b32 v22, v20
	s_and_saveexec_b32 s2, s0
	s_cbranch_execz .LBB118_48
; %bb.47:                               ;   in Loop: Header=BB118_17 Depth=1
	v_mul_lo_u32 v16, v14, s21
	v_mul_hi_u32 v17, v14, s20
	v_mul_lo_u32 v15, v15, s20
	v_mul_lo_u32 v14, v14, s20
	s_delay_alu instid0(VALU_DEP_3) | instskip(NEXT) | instid1(VALU_DEP_1)
	v_add_nc_u32_e32 v16, v17, v16
	v_add_nc_u32_e32 v15, v16, v15
	s_delay_alu instid0(VALU_DEP_1) | instskip(NEXT) | instid1(VALU_DEP_1)
	v_lshlrev_b64 v[14:15], 4, v[14:15]
	v_add_co_u32 v14, vcc_lo, v24, v14
	s_delay_alu instid0(VALU_DEP_2) | instskip(SKIP_4) | instid1(VALU_DEP_2)
	v_add_co_ci_u32_e32 v15, vcc_lo, v25, v15, vcc_lo
	global_load_b128 v[14:17], v[14:15], off
	s_waitcnt vmcnt(0)
	v_fma_f64 v[18:19], -v[6:7], v[14:15], v[0:1]
	v_fma_f64 v[14:15], -v[4:5], v[14:15], v[2:3]
	v_fma_f64 v[22:23], v[4:5], v[16:17], v[18:19]
	s_delay_alu instid0(VALU_DEP_2)
	v_fma_f64 v[20:21], -v[6:7], v[16:17], v[14:15]
.LBB118_48:                             ;   in Loop: Header=BB118_17 Depth=1
	s_or_b32 exec_lo, exec_lo, s2
	v_dual_mov_b32 v17, v11 :: v_dual_mov_b32 v16, v10
	v_dual_mov_b32 v19, v13 :: v_dual_mov_b32 v18, v12
	s_mov_b32 s2, 0
	s_branch .LBB118_39
.LBB118_49:                             ;   in Loop: Header=BB118_17 Depth=1
	s_and_not1_b32 vcc_lo, exec_lo, s29
	s_cbranch_vccnz .LBB118_51
; %bb.50:                               ;   in Loop: Header=BB118_17 Depth=1
	v_mul_f64 v[10:11], v[4:5], v[4:5]
	s_delay_alu instid0(VALU_DEP_1) | instskip(NEXT) | instid1(VALU_DEP_1)
	v_fma_f64 v[10:11], v[6:7], v[6:7], v[10:11]
	v_div_scale_f64 v[12:13], null, v[10:11], v[10:11], 1.0
	v_div_scale_f64 v[18:19], vcc_lo, 1.0, v[10:11], 1.0
	s_delay_alu instid0(VALU_DEP_2) | instskip(SKIP_2) | instid1(VALU_DEP_1)
	v_rcp_f64_e32 v[14:15], v[12:13]
	s_waitcnt_depctr 0xfff
	v_fma_f64 v[16:17], -v[12:13], v[14:15], 1.0
	v_fma_f64 v[14:15], v[14:15], v[16:17], v[14:15]
	s_delay_alu instid0(VALU_DEP_1) | instskip(NEXT) | instid1(VALU_DEP_1)
	v_fma_f64 v[16:17], -v[12:13], v[14:15], 1.0
	v_fma_f64 v[14:15], v[14:15], v[16:17], v[14:15]
	s_delay_alu instid0(VALU_DEP_1) | instskip(NEXT) | instid1(VALU_DEP_1)
	v_mul_f64 v[16:17], v[18:19], v[14:15]
	v_fma_f64 v[12:13], -v[12:13], v[16:17], v[18:19]
	s_delay_alu instid0(VALU_DEP_1) | instskip(SKIP_2) | instid1(VALU_DEP_3)
	v_div_fmas_f64 v[12:13], v[12:13], v[14:15], v[16:17]
	v_fma_f64 v[14:15], v[4:5], 0, v[6:7]
	v_fma_f64 v[4:5], v[6:7], 0, -v[4:5]
	v_div_fixup_f64 v[10:11], v[12:13], v[10:11], 1.0
	s_delay_alu instid0(VALU_DEP_1) | instskip(NEXT) | instid1(VALU_DEP_3)
	v_mul_f64 v[12:13], v[14:15], v[10:11]
	v_mul_f64 v[10:11], v[4:5], v[10:11]
.LBB118_51:                             ;   in Loop: Header=BB118_17 Depth=1
	s_delay_alu instid0(VALU_DEP_2) | instskip(NEXT) | instid1(VALU_DEP_2)
	v_dual_mov_b32 v19, v13 :: v_dual_mov_b32 v18, v12
	v_dual_mov_b32 v17, v11 :: v_dual_mov_b32 v16, v10
	;; [unrolled: 1-line block ×4, first 2 shown]
	s_mov_b32 s2, 2
	s_delay_alu instid0(SALU_CYCLE_1)
	s_cmp_gt_i32 s2, 3
	s_mov_b32 s3, -1
	s_cbranch_scc0 .LBB118_40
.LBB118_52:                             ;   in Loop: Header=BB118_17 Depth=1
	s_branch .LBB118_15
.LBB118_53:                             ;   in Loop: Header=BB118_17 Depth=1
                                        ; implicit-def: $sgpr26_sgpr27
	s_branch .LBB118_16
.LBB118_54:                             ;   in Loop: Header=BB118_17 Depth=1
	s_mov_b32 s3, 0
	s_branch .LBB118_56
	.p2align	6
.LBB118_55:                             ;   in Loop: Header=BB118_56 Depth=2
	global_load_b32 v18, v[16:17], off glc
	s_cmpk_lt_u32 s3, 0xf43
	s_cselect_b32 s9, -1, 0
	s_delay_alu instid0(SALU_CYCLE_1)
	s_cmp_lg_u32 s9, 0
	s_addc_u32 s3, s3, 0
	s_waitcnt vmcnt(0)
	v_cmp_ne_u32_e32 vcc_lo, 0, v18
	s_cbranch_vccnz .LBB118_46
.LBB118_56:                             ;   Parent Loop BB118_17 Depth=1
                                        ; =>  This Loop Header: Depth=2
                                        ;       Child Loop BB118_57 Depth 3
	s_cmp_eq_u32 s3, 0
	s_mov_b32 s9, s3
	s_cbranch_scc1 .LBB118_55
.LBB118_57:                             ;   Parent Loop BB118_17 Depth=1
                                        ;     Parent Loop BB118_56 Depth=2
                                        ; =>    This Inner Loop Header: Depth=3
	s_add_i32 s9, s9, -1
	s_sleep 1
	s_cmp_eq_u32 s9, 0
	s_cbranch_scc0 .LBB118_57
	s_branch .LBB118_55
.LBB118_58:
	v_mov_b32_e32 v16, 0
	v_dual_mov_b32 v17, 0 :: v_dual_mov_b32 v18, 0
	v_mov_b32_e32 v19, 0x3ff00000
	s_cmp_lg_u32 s18, 0
	s_cbranch_scc1 .LBB118_61
	s_branch .LBB118_60
.LBB118_59:
	v_dual_mov_b32 v2, v20 :: v_dual_mov_b32 v3, v21
	v_dual_mov_b32 v0, v22 :: v_dual_mov_b32 v1, v23
	s_cmp_lg_u32 s18, 0
	s_cbranch_scc1 .LBB118_61
.LBB118_60:
	s_delay_alu instid0(VALU_DEP_2) | instskip(NEXT) | instid1(VALU_DEP_2)
	v_mul_f64 v[4:5], v[16:17], -v[2:3]
	v_mul_f64 v[6:7], v[16:17], v[0:1]
	s_delay_alu instid0(VALU_DEP_2) | instskip(NEXT) | instid1(VALU_DEP_2)
	v_fma_f64 v[0:1], v[0:1], v[18:19], v[4:5]
	v_fma_f64 v[2:3], v[2:3], v[18:19], v[6:7]
.LBB118_61:
	s_and_saveexec_b32 s1, s0
	s_cbranch_execz .LBB118_63
; %bb.62:
	s_lshl_b64 s[2:3], s[14:15], 4
	s_delay_alu instid0(SALU_CYCLE_1)
	v_add_co_u32 v4, vcc_lo, v24, s2
	v_add_co_ci_u32_e32 v5, vcc_lo, s3, v25, vcc_lo
	global_store_b128 v[4:5], v[0:3], off
.LBB118_63:
	s_or_b32 exec_lo, exec_lo, s1
	s_waitcnt_vscnt null, 0x0
	buffer_gl1_inv
	buffer_gl0_inv
	s_barrier
	buffer_gl0_inv
	s_mov_b32 s0, exec_lo
	v_cmpx_eq_u32_e32 0, v8
	s_cbranch_execz .LBB118_65
; %bb.64:
	s_lshl_b64 s[0:1], s[12:13], 2
	v_dual_mov_b32 v0, 0 :: v_dual_mov_b32 v1, 1
	s_add_u32 s2, s6, s0
	s_addc_u32 s3, s7, s1
	s_lshl_b64 s[0:1], s[4:5], 2
	s_delay_alu instid0(SALU_CYCLE_1)
	s_add_u32 s0, s2, s0
	s_addc_u32 s1, s3, s1
	global_store_b32 v0, v1, s[0:1]
.LBB118_65:
	s_nop 0
	s_sendmsg sendmsg(MSG_DEALLOC_VGPRS)
	s_endpgm
.LBB118_66:
                                        ; implicit-def: $sgpr24_sgpr25
	s_load_b64 s[22:23], s[2:3], 0x40
	s_branch .LBB118_4
	.section	.rodata,"a",@progbits
	.p2align	6, 0x0
	.amdhsa_kernel _ZN9rocsparseL5csrsmILj256ELj64ELb1Ell21rocsparse_complex_numIdEEEv20rocsparse_operation_T3_S4_NS_24const_host_device_scalarIT4_EEPKT2_PKS4_PKS6_PS6_lPiSC_PS4_21rocsparse_index_base_20rocsparse_fill_mode_20rocsparse_diag_type_b
		.amdhsa_group_segment_fixed_size 8192
		.amdhsa_private_segment_fixed_size 0
		.amdhsa_kernarg_size 120
		.amdhsa_user_sgpr_count 15
		.amdhsa_user_sgpr_dispatch_ptr 1
		.amdhsa_user_sgpr_queue_ptr 0
		.amdhsa_user_sgpr_kernarg_segment_ptr 1
		.amdhsa_user_sgpr_dispatch_id 0
		.amdhsa_user_sgpr_private_segment_size 0
		.amdhsa_wavefront_size32 1
		.amdhsa_uses_dynamic_stack 0
		.amdhsa_enable_private_segment 0
		.amdhsa_system_sgpr_workgroup_id_x 1
		.amdhsa_system_sgpr_workgroup_id_y 0
		.amdhsa_system_sgpr_workgroup_id_z 0
		.amdhsa_system_sgpr_workgroup_info 0
		.amdhsa_system_vgpr_workitem_id 2
		.amdhsa_next_free_vgpr 34
		.amdhsa_next_free_sgpr 32
		.amdhsa_reserve_vcc 1
		.amdhsa_float_round_mode_32 0
		.amdhsa_float_round_mode_16_64 0
		.amdhsa_float_denorm_mode_32 3
		.amdhsa_float_denorm_mode_16_64 3
		.amdhsa_dx10_clamp 1
		.amdhsa_ieee_mode 1
		.amdhsa_fp16_overflow 0
		.amdhsa_workgroup_processor_mode 1
		.amdhsa_memory_ordered 1
		.amdhsa_forward_progress 0
		.amdhsa_shared_vgpr_count 0
		.amdhsa_exception_fp_ieee_invalid_op 0
		.amdhsa_exception_fp_denorm_src 0
		.amdhsa_exception_fp_ieee_div_zero 0
		.amdhsa_exception_fp_ieee_overflow 0
		.amdhsa_exception_fp_ieee_underflow 0
		.amdhsa_exception_fp_ieee_inexact 0
		.amdhsa_exception_int_div_zero 0
	.end_amdhsa_kernel
	.section	.text._ZN9rocsparseL5csrsmILj256ELj64ELb1Ell21rocsparse_complex_numIdEEEv20rocsparse_operation_T3_S4_NS_24const_host_device_scalarIT4_EEPKT2_PKS4_PKS6_PS6_lPiSC_PS4_21rocsparse_index_base_20rocsparse_fill_mode_20rocsparse_diag_type_b,"axG",@progbits,_ZN9rocsparseL5csrsmILj256ELj64ELb1Ell21rocsparse_complex_numIdEEEv20rocsparse_operation_T3_S4_NS_24const_host_device_scalarIT4_EEPKT2_PKS4_PKS6_PS6_lPiSC_PS4_21rocsparse_index_base_20rocsparse_fill_mode_20rocsparse_diag_type_b,comdat
.Lfunc_end118:
	.size	_ZN9rocsparseL5csrsmILj256ELj64ELb1Ell21rocsparse_complex_numIdEEEv20rocsparse_operation_T3_S4_NS_24const_host_device_scalarIT4_EEPKT2_PKS4_PKS6_PS6_lPiSC_PS4_21rocsparse_index_base_20rocsparse_fill_mode_20rocsparse_diag_type_b, .Lfunc_end118-_ZN9rocsparseL5csrsmILj256ELj64ELb1Ell21rocsparse_complex_numIdEEEv20rocsparse_operation_T3_S4_NS_24const_host_device_scalarIT4_EEPKT2_PKS4_PKS6_PS6_lPiSC_PS4_21rocsparse_index_base_20rocsparse_fill_mode_20rocsparse_diag_type_b
                                        ; -- End function
	.section	.AMDGPU.csdata,"",@progbits
; Kernel info:
; codeLenInByte = 3268
; NumSgprs: 34
; NumVgprs: 34
; ScratchSize: 0
; MemoryBound: 1
; FloatMode: 240
; IeeeMode: 1
; LDSByteSize: 8192 bytes/workgroup (compile time only)
; SGPRBlocks: 4
; VGPRBlocks: 4
; NumSGPRsForWavesPerEU: 34
; NumVGPRsForWavesPerEU: 34
; Occupancy: 16
; WaveLimiterHint : 1
; COMPUTE_PGM_RSRC2:SCRATCH_EN: 0
; COMPUTE_PGM_RSRC2:USER_SGPR: 15
; COMPUTE_PGM_RSRC2:TRAP_HANDLER: 0
; COMPUTE_PGM_RSRC2:TGID_X_EN: 1
; COMPUTE_PGM_RSRC2:TGID_Y_EN: 0
; COMPUTE_PGM_RSRC2:TGID_Z_EN: 0
; COMPUTE_PGM_RSRC2:TIDIG_COMP_CNT: 2
	.section	.text._ZN9rocsparseL5csrsmILj256ELj64ELb0Ell21rocsparse_complex_numIdEEEv20rocsparse_operation_T3_S4_NS_24const_host_device_scalarIT4_EEPKT2_PKS4_PKS6_PS6_lPiSC_PS4_21rocsparse_index_base_20rocsparse_fill_mode_20rocsparse_diag_type_b,"axG",@progbits,_ZN9rocsparseL5csrsmILj256ELj64ELb0Ell21rocsparse_complex_numIdEEEv20rocsparse_operation_T3_S4_NS_24const_host_device_scalarIT4_EEPKT2_PKS4_PKS6_PS6_lPiSC_PS4_21rocsparse_index_base_20rocsparse_fill_mode_20rocsparse_diag_type_b,comdat
	.globl	_ZN9rocsparseL5csrsmILj256ELj64ELb0Ell21rocsparse_complex_numIdEEEv20rocsparse_operation_T3_S4_NS_24const_host_device_scalarIT4_EEPKT2_PKS4_PKS6_PS6_lPiSC_PS4_21rocsparse_index_base_20rocsparse_fill_mode_20rocsparse_diag_type_b ; -- Begin function _ZN9rocsparseL5csrsmILj256ELj64ELb0Ell21rocsparse_complex_numIdEEEv20rocsparse_operation_T3_S4_NS_24const_host_device_scalarIT4_EEPKT2_PKS4_PKS6_PS6_lPiSC_PS4_21rocsparse_index_base_20rocsparse_fill_mode_20rocsparse_diag_type_b
	.p2align	8
	.type	_ZN9rocsparseL5csrsmILj256ELj64ELb0Ell21rocsparse_complex_numIdEEEv20rocsparse_operation_T3_S4_NS_24const_host_device_scalarIT4_EEPKT2_PKS4_PKS6_PS6_lPiSC_PS4_21rocsparse_index_base_20rocsparse_fill_mode_20rocsparse_diag_type_b,@function
_ZN9rocsparseL5csrsmILj256ELj64ELb0Ell21rocsparse_complex_numIdEEEv20rocsparse_operation_T3_S4_NS_24const_host_device_scalarIT4_EEPKT2_PKS4_PKS6_PS6_lPiSC_PS4_21rocsparse_index_base_20rocsparse_fill_mode_20rocsparse_diag_type_b: ; @_ZN9rocsparseL5csrsmILj256ELj64ELb0Ell21rocsparse_complex_numIdEEEv20rocsparse_operation_T3_S4_NS_24const_host_device_scalarIT4_EEPKT2_PKS4_PKS6_PS6_lPiSC_PS4_21rocsparse_index_base_20rocsparse_fill_mode_20rocsparse_diag_type_b
; %bb.0:
	s_load_b64 s[0:1], s[0:1], 0x4
	s_load_b256 s[4:11], s[2:3], 0x8
	v_and_b32_e32 v8, 0x3ff, v0
	s_load_b128 s[16:19], s[2:3], 0x68
	v_bfe_u32 v2, v0, 10, 10
	v_bfe_u32 v0, v0, 20, 10
	s_waitcnt lgkmcnt(0)
	s_lshr_b32 s0, s0, 16
	v_mov_b32_e32 v6, s10
	s_mul_i32 s0, s0, s1
	v_mov_b32_e32 v7, s11
	v_mul_lo_u32 v1, s0, v8
	s_and_b32 s0, 1, s19
	s_delay_alu instid0(SALU_CYCLE_1) | instskip(SKIP_1) | instid1(VALU_DEP_1)
	s_cmp_eq_u32 s0, 1
	s_cselect_b32 vcc_lo, -1, 0
	v_mad_u32_u24 v1, v2, s1, v1
	s_mov_b64 s[0:1], src_shared_base
	v_dual_mov_b32 v2, s8 :: v_dual_mov_b32 v3, s9
	s_delay_alu instid0(VALU_DEP_2) | instskip(NEXT) | instid1(VALU_DEP_1)
	v_add_lshl_u32 v4, v1, v0, 3
	v_add_nc_u32_e32 v0, 0x1800, v4
	ds_store_b64 v4, v[2:3] offset:6144
	v_cndmask_b32_e32 v0, s8, v0, vcc_lo
	s_and_b32 vcc_lo, exec_lo, vcc_lo
	s_cselect_b32 s0, s1, s9
	s_delay_alu instid0(SALU_CYCLE_1)
	v_mov_b32_e32 v1, s0
	flat_load_b64 v[4:5], v[0:1]
	s_cbranch_vccnz .LBB119_2
; %bb.1:
	v_dual_mov_b32 v0, s8 :: v_dual_mov_b32 v1, s9
	flat_load_b64 v[6:7], v[0:1] offset:8
.LBB119_2:
	s_clause 0x1
	s_load_b64 s[8:9], s[2:3], 0x58
	s_load_b64 s[0:1], s[2:3], 0x28
	s_mov_b32 s10, 0
	s_mov_b32 s11, s5
	s_delay_alu instid0(SALU_CYCLE_1)
	s_cmp_lg_u64 s[10:11], 0
	s_cbranch_scc0 .LBB119_63
; %bb.3:
	s_ashr_i32 s12, s5, 31
	s_delay_alu instid0(SALU_CYCLE_1) | instskip(SKIP_2) | instid1(SALU_CYCLE_1)
	s_add_u32 s20, s4, s12
	s_mov_b32 s13, s12
	s_addc_u32 s21, s5, s12
	s_xor_b64 s[20:21], s[20:21], s[12:13]
	s_delay_alu instid0(SALU_CYCLE_1) | instskip(SKIP_3) | instid1(VALU_DEP_1)
	v_cvt_f32_u32_e32 v0, s20
	v_cvt_f32_u32_e32 v1, s21
	s_sub_u32 s19, 0, s20
	s_subb_u32 s22, 0, s21
	v_fmamk_f32 v0, v1, 0x4f800000, v0
	s_delay_alu instid0(VALU_DEP_1) | instskip(SKIP_2) | instid1(VALU_DEP_1)
	v_rcp_f32_e32 v0, v0
	s_waitcnt_depctr 0xfff
	v_mul_f32_e32 v0, 0x5f7ffffc, v0
	v_mul_f32_e32 v1, 0x2f800000, v0
	s_delay_alu instid0(VALU_DEP_1) | instskip(NEXT) | instid1(VALU_DEP_1)
	v_trunc_f32_e32 v1, v1
	v_fmamk_f32 v0, v1, 0xcf800000, v0
	v_cvt_u32_f32_e32 v1, v1
	s_delay_alu instid0(VALU_DEP_2) | instskip(NEXT) | instid1(VALU_DEP_2)
	v_cvt_u32_f32_e32 v0, v0
	v_readfirstlane_b32 s11, v1
	s_delay_alu instid0(VALU_DEP_2) | instskip(NEXT) | instid1(VALU_DEP_2)
	v_readfirstlane_b32 s14, v0
	s_mul_i32 s23, s19, s11
	s_delay_alu instid0(VALU_DEP_1)
	s_mul_hi_u32 s25, s19, s14
	s_mul_i32 s24, s22, s14
	s_add_i32 s23, s25, s23
	s_mul_i32 s26, s19, s14
	s_add_i32 s23, s23, s24
	s_mul_hi_u32 s25, s14, s26
	s_mul_hi_u32 s27, s11, s26
	s_mul_i32 s24, s11, s26
	s_mul_hi_u32 s26, s14, s23
	s_mul_i32 s14, s14, s23
	s_mul_hi_u32 s28, s11, s23
	s_add_u32 s14, s25, s14
	s_addc_u32 s25, 0, s26
	s_add_u32 s14, s14, s24
	s_mul_i32 s23, s11, s23
	s_addc_u32 s14, s25, s27
	s_addc_u32 s24, s28, 0
	s_add_u32 s14, s14, s23
	s_addc_u32 s23, 0, s24
	v_add_co_u32 v0, s14, v0, s14
	s_delay_alu instid0(VALU_DEP_1) | instskip(SKIP_1) | instid1(VALU_DEP_1)
	s_cmp_lg_u32 s14, 0
	s_addc_u32 s11, s11, s23
	v_readfirstlane_b32 s14, v0
	s_mul_i32 s23, s19, s11
	s_delay_alu instid0(VALU_DEP_1)
	s_mul_hi_u32 s24, s19, s14
	s_mul_i32 s22, s22, s14
	s_add_i32 s23, s24, s23
	s_mul_i32 s19, s19, s14
	s_add_i32 s23, s23, s22
	s_mul_hi_u32 s24, s11, s19
	s_mul_i32 s25, s11, s19
	s_mul_hi_u32 s19, s14, s19
	s_mul_hi_u32 s26, s14, s23
	s_mul_i32 s14, s14, s23
	s_mul_hi_u32 s22, s11, s23
	s_add_u32 s14, s19, s14
	s_addc_u32 s19, 0, s26
	s_add_u32 s14, s14, s25
	s_mul_i32 s23, s11, s23
	s_addc_u32 s14, s19, s24
	s_addc_u32 s19, s22, 0
	s_add_u32 s14, s14, s23
	s_addc_u32 s19, 0, s19
	v_add_co_u32 v0, s14, v0, s14
	s_delay_alu instid0(VALU_DEP_1) | instskip(SKIP_1) | instid1(VALU_DEP_1)
	s_cmp_lg_u32 s14, 0
	s_addc_u32 s11, s11, s19
	v_readfirstlane_b32 s14, v0
	s_mul_i32 s19, s15, s11
	s_mul_hi_u32 s11, s15, s11
	s_delay_alu instid0(VALU_DEP_1) | instskip(NEXT) | instid1(SALU_CYCLE_1)
	s_mul_hi_u32 s14, s15, s14
	s_add_u32 s14, s14, s19
	s_addc_u32 s11, 0, s11
	s_add_u32 s14, s14, 0
	s_addc_u32 s11, s11, 0
	s_addc_u32 s14, 0, 0
	s_add_u32 s11, s11, 0
	s_addc_u32 s14, 0, s14
	s_mul_hi_u32 s19, s20, s11
	s_mul_i32 s23, s20, s14
	s_mul_i32 s24, s20, s11
	s_add_i32 s19, s19, s23
	v_sub_co_u32 v0, s23, s15, s24
	s_mul_i32 s22, s21, s11
	s_delay_alu instid0(SALU_CYCLE_1) | instskip(NEXT) | instid1(VALU_DEP_1)
	s_add_i32 s19, s19, s22
	v_sub_co_u32 v1, s24, v0, s20
	s_sub_i32 s22, 0, s19
	s_cmp_lg_u32 s23, 0
	s_subb_u32 s22, s22, s21
	s_cmp_lg_u32 s24, 0
	v_readfirstlane_b32 s24, v1
	s_subb_u32 s22, s22, 0
	s_delay_alu instid0(SALU_CYCLE_1) | instskip(SKIP_1) | instid1(VALU_DEP_1)
	s_cmp_ge_u32 s22, s21
	s_cselect_b32 s25, -1, 0
	s_cmp_ge_u32 s24, s20
	s_cselect_b32 s24, -1, 0
	s_cmp_eq_u32 s22, s21
	s_cselect_b32 s22, s24, s25
	s_add_u32 s24, s11, 1
	s_addc_u32 s25, s14, 0
	s_add_u32 s26, s11, 2
	s_addc_u32 s27, s14, 0
	s_cmp_lg_u32 s22, 0
	s_cselect_b32 s22, s26, s24
	s_cselect_b32 s24, s27, s25
	s_cmp_lg_u32 s23, 0
	v_readfirstlane_b32 s23, v0
	s_subb_u32 s19, 0, s19
	s_delay_alu instid0(SALU_CYCLE_1) | instskip(SKIP_1) | instid1(VALU_DEP_1)
	s_cmp_ge_u32 s19, s21
	s_cselect_b32 s25, -1, 0
	s_cmp_ge_u32 s23, s20
	s_cselect_b32 s20, -1, 0
	s_cmp_eq_u32 s19, s21
	s_cselect_b32 s19, s20, s25
	s_delay_alu instid0(SALU_CYCLE_1) | instskip(SKIP_2) | instid1(SALU_CYCLE_1)
	s_cmp_lg_u32 s19, 0
	s_cselect_b32 s21, s24, s14
	s_cselect_b32 s20, s22, s11
	s_xor_b64 s[20:21], s[20:21], s[12:13]
	s_delay_alu instid0(SALU_CYCLE_1)
	s_sub_u32 s24, s20, s12
	s_subb_u32 s25, s21, s12
	s_load_b64 s[22:23], s[2:3], 0x40
	s_and_not1_b32 vcc_lo, exec_lo, s10
	s_cbranch_vccnz .LBB119_5
.LBB119_4:
	v_cvt_f32_u32_e32 v0, s4
	s_sub_i32 s11, 0, s4
	s_mov_b32 s25, 0
	s_delay_alu instid0(VALU_DEP_1) | instskip(SKIP_2) | instid1(VALU_DEP_1)
	v_rcp_iflag_f32_e32 v0, v0
	s_waitcnt_depctr 0xfff
	v_mul_f32_e32 v0, 0x4f7ffffe, v0
	v_cvt_u32_f32_e32 v0, v0
	s_delay_alu instid0(VALU_DEP_1) | instskip(NEXT) | instid1(VALU_DEP_1)
	v_readfirstlane_b32 s10, v0
	s_mul_i32 s11, s11, s10
	s_delay_alu instid0(SALU_CYCLE_1) | instskip(NEXT) | instid1(SALU_CYCLE_1)
	s_mul_hi_u32 s11, s10, s11
	s_add_i32 s10, s10, s11
	s_delay_alu instid0(SALU_CYCLE_1) | instskip(NEXT) | instid1(SALU_CYCLE_1)
	s_mul_hi_u32 s10, s15, s10
	s_mul_i32 s11, s10, s4
	s_add_i32 s12, s10, 1
	s_sub_i32 s11, s15, s11
	s_delay_alu instid0(SALU_CYCLE_1)
	s_sub_i32 s13, s11, s4
	s_cmp_ge_u32 s11, s4
	s_cselect_b32 s10, s12, s10
	s_cselect_b32 s11, s13, s11
	s_add_i32 s12, s10, 1
	s_cmp_ge_u32 s11, s4
	s_cselect_b32 s24, s12, s10
.LBB119_5:
	s_delay_alu instid0(SALU_CYCLE_1)
	s_mul_i32 s5, s24, s5
	s_mul_hi_u32 s10, s24, s4
	s_load_b32 s19, s[2:3], 0x0
	s_add_i32 s5, s10, s5
	s_mul_i32 s10, s25, s4
	s_mul_i32 s4, s24, s4
	s_add_i32 s5, s5, s10
	s_sub_u32 s10, s15, s4
	s_subb_u32 s11, 0, s5
	s_delay_alu instid0(SALU_CYCLE_1)
	s_lshl_b64 s[10:11], s[10:11], 3
	s_waitcnt lgkmcnt(0)
	s_add_u32 s8, s8, s10
	s_addc_u32 s9, s9, s11
	s_load_b64 s[12:13], s[8:9], 0x0
	s_load_b64 s[20:21], s[2:3], 0x48
	s_waitcnt lgkmcnt(0)
	s_lshl_b64 s[8:9], s[12:13], 3
	s_mul_i32 s14, s12, s20
	s_add_u32 s0, s0, s8
	s_addc_u32 s1, s1, s9
	s_lshl_b64 s[24:25], s[24:25], 8
	s_load_b128 s[8:11], s[0:1], 0x0
	v_or_b32_e32 v9, s24, v8
	s_mul_i32 s0, s12, s21
	s_mul_hi_u32 s1, s12, s20
	v_mov_b32_e32 v10, s25
	v_mov_b32_e32 v0, s25
	s_add_i32 s0, s1, s0
	s_mul_i32 s1, s13, s20
	v_add_co_u32 v11, vcc_lo, v9, s14
	s_add_i32 s15, s0, s1
	v_cmp_gt_i64_e64 s0, s[6:7], v[9:10]
	v_add_co_ci_u32_e32 v12, vcc_lo, s15, v0, vcc_lo
	s_cmpk_lg_i32 s19, 0x71
	s_cbranch_scc0 .LBB119_9
; %bb.6:
	v_mov_b32_e32 v2, 0
	v_mov_b32_e32 v3, 0
	s_delay_alu instid0(VALU_DEP_1)
	v_dual_mov_b32 v0, v2 :: v_dual_mov_b32 v1, v3
	s_and_saveexec_b32 s1, s0
	s_cbranch_execz .LBB119_8
; %bb.7:
	v_lshlrev_b64 v[0:1], 4, v[11:12]
	s_delay_alu instid0(VALU_DEP_1) | instskip(NEXT) | instid1(VALU_DEP_2)
	v_add_co_u32 v0, vcc_lo, s22, v0
	v_add_co_ci_u32_e32 v1, vcc_lo, s23, v1, vcc_lo
	global_load_b128 v[13:16], v[0:1], off
	s_waitcnt vmcnt(0)
	v_mul_f64 v[0:1], v[15:16], -v[6:7]
	v_mul_f64 v[2:3], v[4:5], v[15:16]
	s_delay_alu instid0(VALU_DEP_2) | instskip(NEXT) | instid1(VALU_DEP_2)
	v_fma_f64 v[0:1], v[4:5], v[13:14], v[0:1]
	v_fma_f64 v[2:3], v[6:7], v[13:14], v[2:3]
.LBB119_8:
	s_or_b32 exec_lo, exec_lo, s1
	s_load_b64 s[6:7], s[2:3], 0x50
	s_cbranch_execz .LBB119_10
	s_branch .LBB119_13
.LBB119_9:
                                        ; implicit-def: $vgpr2_vgpr3
	s_load_b64 s[6:7], s[2:3], 0x50
.LBB119_10:
	v_mov_b32_e32 v2, 0
	v_mov_b32_e32 v3, 0
	s_delay_alu instid0(VALU_DEP_1)
	v_dual_mov_b32 v0, v2 :: v_dual_mov_b32 v1, v3
	s_and_saveexec_b32 s1, s0
	s_cbranch_execz .LBB119_12
; %bb.11:
	v_lshlrev_b64 v[0:1], 4, v[11:12]
	s_delay_alu instid0(VALU_DEP_1) | instskip(NEXT) | instid1(VALU_DEP_2)
	v_add_co_u32 v0, vcc_lo, s22, v0
	v_add_co_ci_u32_e32 v1, vcc_lo, s23, v1, vcc_lo
	global_load_b128 v[11:14], v[0:1], off
	s_waitcnt vmcnt(0)
	v_mul_f64 v[0:1], v[6:7], v[13:14]
	v_mul_f64 v[2:3], v[4:5], -v[13:14]
	s_delay_alu instid0(VALU_DEP_2) | instskip(NEXT) | instid1(VALU_DEP_2)
	v_fma_f64 v[0:1], v[4:5], v[11:12], v[0:1]
	v_fma_f64 v[2:3], v[6:7], v[11:12], v[2:3]
.LBB119_12:
	s_or_b32 exec_lo, exec_lo, s1
.LBB119_13:
	s_waitcnt vmcnt(0)
	v_lshlrev_b64 v[4:5], 4, v[9:10]
	s_waitcnt lgkmcnt(0)
	v_cmp_ge_i64_e64 s1, s[8:9], s[10:11]
	s_delay_alu instid0(VALU_DEP_2) | instskip(NEXT) | instid1(VALU_DEP_3)
	v_add_co_u32 v24, vcc_lo, s22, v4
	v_add_co_ci_u32_e32 v25, vcc_lo, s23, v5, vcc_lo
	s_delay_alu instid0(VALU_DEP_3)
	s_and_b32 vcc_lo, exec_lo, s1
	v_cmp_eq_u32_e64 s1, 0, v8
	s_cbranch_vccnz .LBB119_55
; %bb.14:
	s_clause 0x1
	s_load_b128 s[24:27], s[2:3], 0x30
	s_load_b64 s[22:23], s[2:3], 0x60
	v_dual_mov_b32 v9, 0 :: v_dual_lshlrev_b32 v4, 3, v8
	s_lshl_b64 s[2:3], s[4:5], 2
	v_dual_mov_b32 v10, 0 :: v_dual_lshlrev_b32 v5, 4, v8
	s_add_u32 s19, s6, s2
	s_addc_u32 s28, s7, s3
	s_sub_u32 s8, s8, s16
	s_subb_u32 s9, s9, 0
	s_sub_u32 s10, s10, s16
	s_subb_u32 s11, s11, 0
	v_dual_mov_b32 v12, 0 :: v_dual_lshlrev_b32 v31, 4, v8
	v_lshl_or_b32 v26, v8, 3, 0x1000
	s_cmp_eq_u32 s18, 0
	v_mov_b32_e32 v11, 0
	v_mov_b32_e32 v13, 0x3ff00000
	s_cselect_b32 s29, -1, 0
	s_waitcnt lgkmcnt(0)
	v_add_co_u32 v27, s2, s24, v4
	s_delay_alu instid0(VALU_DEP_1) | instskip(SKIP_1) | instid1(VALU_DEP_1)
	v_add_co_ci_u32_e64 v28, null, s25, 0, s2
	v_add_co_u32 v29, s2, s26, v5
	v_add_co_ci_u32_e64 v30, null, s27, 0, s2
	s_add_u32 s24, s12, s16
	s_addc_u32 s25, s13, 0
	s_mov_b64 s[26:27], s[8:9]
	s_branch .LBB119_17
.LBB119_15:                             ;   in Loop: Header=BB119_17 Depth=1
	s_add_u32 s26, s26, 1
	s_addc_u32 s27, s27, 0
	s_delay_alu instid0(SALU_CYCLE_1)
	v_cmp_ge_i64_e64 s3, s[26:27], s[10:11]
.LBB119_16:                             ;   in Loop: Header=BB119_17 Depth=1
	s_delay_alu instid0(VALU_DEP_3) | instskip(NEXT) | instid1(VALU_DEP_4)
	v_dual_mov_b32 v2, v20 :: v_dual_mov_b32 v3, v21
	v_dual_mov_b32 v0, v22 :: v_dual_mov_b32 v1, v23
	s_delay_alu instid0(VALU_DEP_4) | instskip(NEXT) | instid1(VALU_DEP_4)
	v_dual_mov_b32 v10, v16 :: v_dual_mov_b32 v11, v17
	v_dual_mov_b32 v12, v18 :: v_dual_mov_b32 v13, v19
	s_and_not1_b32 vcc_lo, exec_lo, s3
	s_cbranch_vccz .LBB119_56
.LBB119_17:                             ; =>This Loop Header: Depth=1
                                        ;     Child Loop BB119_46 Depth 2
	s_sub_i32 s2, s26, s8
	s_delay_alu instid0(SALU_CYCLE_1) | instskip(NEXT) | instid1(SALU_CYCLE_1)
	s_and_b32 s2, s2, 0xff
	s_cmp_lg_u32 s2, 0
	s_cbranch_scc1 .LBB119_21
; %bb.18:                               ;   in Loop: Header=BB119_17 Depth=1
	v_mov_b32_e32 v14, -1
	v_dual_mov_b32 v15, -1 :: v_dual_mov_b32 v6, 0
	v_dual_mov_b32 v4, 0 :: v_dual_mov_b32 v7, 0
	v_mov_b32_e32 v5, 0xbff00000
	s_sub_u32 s30, s10, s26
	s_subb_u32 s31, s11, s27
	s_mov_b32 s3, exec_lo
	v_cmpx_gt_i64_e64 s[30:31], v[8:9]
	s_cbranch_execz .LBB119_20
; %bb.19:                               ;   in Loop: Header=BB119_17 Depth=1
	s_lshl_b64 s[30:31], s[26:27], 3
	s_delay_alu instid0(SALU_CYCLE_1)
	v_add_co_u32 v4, vcc_lo, v27, s30
	v_add_co_ci_u32_e32 v5, vcc_lo, s31, v28, vcc_lo
	s_lshl_b64 s[30:31], s[26:27], 4
	global_load_b64 v[14:15], v[4:5], off
	v_add_co_u32 v4, vcc_lo, v29, s30
	v_add_co_ci_u32_e32 v5, vcc_lo, s31, v30, vcc_lo
	global_load_b128 v[4:7], v[4:5], off
	s_waitcnt vmcnt(1)
	v_sub_co_u32 v14, vcc_lo, v14, s16
	v_subrev_co_ci_u32_e32 v15, vcc_lo, 0, v15, vcc_lo
.LBB119_20:                             ;   in Loop: Header=BB119_17 Depth=1
	s_or_b32 exec_lo, exec_lo, s3
	ds_store_b64 v26, v[14:15]
	s_waitcnt vmcnt(0)
	ds_store_b128 v31, v[4:7]
.LBB119_21:                             ;   in Loop: Header=BB119_17 Depth=1
	s_lshl_b32 s3, s2, 4
	s_waitcnt lgkmcnt(0)
	v_mov_b32_e32 v4, s3
	s_waitcnt_vscnt null, 0x0
	s_barrier
	buffer_gl0_inv
	s_lshl_b32 s2, s2, 3
	ds_load_b128 v[16:19], v4
	v_mov_b32_e32 v4, s2
	ds_load_b64 v[14:15], v4 offset:4096
	s_waitcnt lgkmcnt(1)
	v_cmp_eq_f64_e32 vcc_lo, 0, v[16:17]
	v_cmp_eq_f64_e64 s3, 0, v[18:19]
	s_waitcnt lgkmcnt(0)
	v_cmp_eq_u64_e64 s2, s[12:13], v[14:15]
	v_cmp_ne_u64_e64 s9, s[12:13], v[14:15]
	s_delay_alu instid0(VALU_DEP_3)
	s_and_b32 s3, vcc_lo, s3
	s_delay_alu instid0(VALU_DEP_2) | instid1(SALU_CYCLE_1)
	s_and_b32 s3, s3, s2
	s_delay_alu instid0(SALU_CYCLE_1) | instskip(NEXT) | instid1(SALU_CYCLE_1)
	s_and_b32 s3, s29, s3
	v_cndmask_b32_e64 v5, v19, 0, s3
	v_cndmask_b32_e64 v4, v18, 0, s3
	;; [unrolled: 1-line block ×4, first 2 shown]
	s_and_b32 s30, s1, s3
	s_delay_alu instid0(SALU_CYCLE_1)
	s_and_saveexec_b32 s3, s30
	s_cbranch_execz .LBB119_25
; %bb.22:                               ;   in Loop: Header=BB119_17 Depth=1
	v_mbcnt_lo_u32_b32 v4, exec_lo, 0
	s_mov_b32 s30, exec_lo
	s_delay_alu instid0(VALU_DEP_1)
	v_cmpx_eq_u32_e32 0, v4
	s_cbranch_execz .LBB119_24
; %bb.23:                               ;   in Loop: Header=BB119_17 Depth=1
	v_dual_mov_b32 v4, s24 :: v_dual_mov_b32 v5, s25
	global_atomic_min_u64 v9, v[4:5], s[22:23]
.LBB119_24:                             ;   in Loop: Header=BB119_17 Depth=1
	s_or_b32 exec_lo, exec_lo, s30
	v_mov_b32_e32 v4, 0
	v_dual_mov_b32 v5, 0 :: v_dual_mov_b32 v6, 0
	v_mov_b32_e32 v7, 0x3ff00000
.LBB119_25:                             ;   in Loop: Header=BB119_17 Depth=1
	s_or_b32 exec_lo, exec_lo, s3
	s_cmp_lt_i32 s17, 1
	s_mov_b32 s3, 0
	s_cbranch_scc1 .LBB119_31
; %bb.26:                               ;   in Loop: Header=BB119_17 Depth=1
	s_cmp_eq_u32 s17, 1
	s_cbranch_scc0 .LBB119_32
; %bb.27:                               ;   in Loop: Header=BB119_17 Depth=1
	v_cmp_le_i64_e32 vcc_lo, s[12:13], v[14:15]
	v_dual_mov_b32 v17, v11 :: v_dual_mov_b32 v16, v10
	v_dual_mov_b32 v19, v13 :: v_dual_mov_b32 v18, v12
	s_mov_b32 s30, 0
	s_cbranch_vccz .LBB119_34
; %bb.28:                               ;   in Loop: Header=BB119_17 Depth=1
	s_and_b32 vcc_lo, exec_lo, s2
	s_cbranch_vccz .LBB119_33
; %bb.29:                               ;   in Loop: Header=BB119_17 Depth=1
	v_dual_mov_b32 v17, v11 :: v_dual_mov_b32 v16, v10
	v_dual_mov_b32 v19, v13 :: v_dual_mov_b32 v18, v12
	s_and_not1_b32 vcc_lo, exec_lo, s29
	s_cbranch_vccnz .LBB119_34
; %bb.30:                               ;   in Loop: Header=BB119_17 Depth=1
	v_mul_f64 v[16:17], v[4:5], v[4:5]
	s_delay_alu instid0(VALU_DEP_1) | instskip(NEXT) | instid1(VALU_DEP_1)
	v_fma_f64 v[16:17], v[6:7], v[6:7], v[16:17]
	v_div_scale_f64 v[18:19], null, v[16:17], v[16:17], 1.0
	v_div_scale_f64 v[32:33], vcc_lo, 1.0, v[16:17], 1.0
	s_delay_alu instid0(VALU_DEP_2) | instskip(SKIP_2) | instid1(VALU_DEP_1)
	v_rcp_f64_e32 v[20:21], v[18:19]
	s_waitcnt_depctr 0xfff
	v_fma_f64 v[22:23], -v[18:19], v[20:21], 1.0
	v_fma_f64 v[20:21], v[20:21], v[22:23], v[20:21]
	s_delay_alu instid0(VALU_DEP_1) | instskip(NEXT) | instid1(VALU_DEP_1)
	v_fma_f64 v[22:23], -v[18:19], v[20:21], 1.0
	v_fma_f64 v[20:21], v[20:21], v[22:23], v[20:21]
	s_delay_alu instid0(VALU_DEP_1) | instskip(NEXT) | instid1(VALU_DEP_1)
	v_mul_f64 v[22:23], v[32:33], v[20:21]
	v_fma_f64 v[18:19], -v[18:19], v[22:23], v[32:33]
	s_delay_alu instid0(VALU_DEP_1) | instskip(SKIP_2) | instid1(VALU_DEP_3)
	v_div_fmas_f64 v[18:19], v[18:19], v[20:21], v[22:23]
	v_fma_f64 v[20:21], v[4:5], 0, v[6:7]
	v_fma_f64 v[22:23], v[6:7], 0, -v[4:5]
	v_div_fixup_f64 v[16:17], v[18:19], v[16:17], 1.0
	s_delay_alu instid0(VALU_DEP_1) | instskip(NEXT) | instid1(VALU_DEP_3)
	v_mul_f64 v[18:19], v[20:21], v[16:17]
	v_mul_f64 v[16:17], v[22:23], v[16:17]
	s_branch .LBB119_34
.LBB119_31:                             ;   in Loop: Header=BB119_17 Depth=1
	s_mov_b32 s30, 0
                                        ; implicit-def: $sgpr2
                                        ; implicit-def: $vgpr20_vgpr21
                                        ; implicit-def: $vgpr22_vgpr23
                                        ; implicit-def: $vgpr16_vgpr17
                                        ; implicit-def: $vgpr18_vgpr19
	s_cbranch_execnz .LBB119_35
	s_branch .LBB119_37
.LBB119_32:                             ;   in Loop: Header=BB119_17 Depth=1
	s_mov_b32 s30, -1
                                        ; implicit-def: $sgpr2
                                        ; implicit-def: $vgpr20_vgpr21
                                        ; implicit-def: $vgpr22_vgpr23
                                        ; implicit-def: $vgpr16_vgpr17
                                        ; implicit-def: $vgpr18_vgpr19
	s_branch .LBB119_37
.LBB119_33:                             ;   in Loop: Header=BB119_17 Depth=1
	s_mov_b32 s30, -1
                                        ; implicit-def: $vgpr16_vgpr17
                                        ; implicit-def: $vgpr18_vgpr19
.LBB119_34:                             ;   in Loop: Header=BB119_17 Depth=1
	v_dual_mov_b32 v21, v3 :: v_dual_mov_b32 v20, v2
	v_dual_mov_b32 v23, v1 :: v_dual_mov_b32 v22, v0
	s_mov_b32 s2, 4
	s_branch .LBB119_37
.LBB119_35:                             ;   in Loop: Header=BB119_17 Depth=1
	s_cmp_eq_u32 s17, 0
	s_cbranch_scc1 .LBB119_41
; %bb.36:                               ;   in Loop: Header=BB119_17 Depth=1
	s_mov_b32 s30, -1
                                        ; implicit-def: $sgpr2
                                        ; implicit-def: $vgpr20_vgpr21
                                        ; implicit-def: $vgpr22_vgpr23
                                        ; implicit-def: $vgpr16_vgpr17
                                        ; implicit-def: $vgpr18_vgpr19
.LBB119_37:                             ;   in Loop: Header=BB119_17 Depth=1
	s_delay_alu instid0(SALU_CYCLE_1)
	s_and_b32 vcc_lo, exec_lo, s30
	s_cbranch_vccnz .LBB119_44
.LBB119_38:                             ;   in Loop: Header=BB119_17 Depth=1
	s_and_b32 vcc_lo, exec_lo, s3
	s_cbranch_vccnz .LBB119_50
.LBB119_39:                             ;   in Loop: Header=BB119_17 Depth=1
	s_cmp_gt_i32 s2, 3
	s_mov_b32 s3, -1
	s_cbranch_scc1 .LBB119_53
.LBB119_40:                             ;   in Loop: Header=BB119_17 Depth=1
	s_cmp_eq_u32 s2, 0
	s_cselect_b32 s2, -1, 0
	s_delay_alu instid0(SALU_CYCLE_1)
	s_and_not1_b32 vcc_lo, exec_lo, s2
	s_cbranch_vccz .LBB119_15
	s_branch .LBB119_54
.LBB119_41:                             ;   in Loop: Header=BB119_17 Depth=1
	v_cmp_ge_i64_e32 vcc_lo, s[12:13], v[14:15]
	s_mov_b32 s30, 0
	s_cbranch_vccz .LBB119_43
; %bb.42:                               ;   in Loop: Header=BB119_17 Depth=1
	s_mov_b32 s3, -1
	s_mov_b32 s30, s9
.LBB119_43:                             ;   in Loop: Header=BB119_17 Depth=1
	v_dual_mov_b32 v21, v3 :: v_dual_mov_b32 v20, v2
	v_dual_mov_b32 v23, v1 :: v_dual_mov_b32 v22, v0
	;; [unrolled: 1-line block ×4, first 2 shown]
	s_mov_b32 s2, 2
	s_and_b32 vcc_lo, exec_lo, s30
	s_cbranch_vccz .LBB119_38
.LBB119_44:                             ;   in Loop: Header=BB119_17 Depth=1
	s_and_saveexec_b32 s2, s1
	s_cbranch_execz .LBB119_47
; %bb.45:                               ;   in Loop: Header=BB119_17 Depth=1
	v_lshlrev_b64 v[16:17], 2, v[14:15]
	s_delay_alu instid0(VALU_DEP_1) | instskip(NEXT) | instid1(VALU_DEP_2)
	v_add_co_u32 v16, vcc_lo, s19, v16
	v_add_co_ci_u32_e32 v17, vcc_lo, s28, v17, vcc_lo
	global_load_b32 v18, v[16:17], off glc
	s_waitcnt vmcnt(0)
	v_cmp_ne_u32_e32 vcc_lo, 0, v18
	s_cbranch_vccnz .LBB119_47
.LBB119_46:                             ;   Parent Loop BB119_17 Depth=1
                                        ; =>  This Inner Loop Header: Depth=2
	global_load_b32 v18, v[16:17], off glc
	s_waitcnt vmcnt(0)
	v_cmp_eq_u32_e32 vcc_lo, 0, v18
	s_cbranch_vccnz .LBB119_46
.LBB119_47:                             ;   in Loop: Header=BB119_17 Depth=1
	s_or_b32 exec_lo, exec_lo, s2
	v_mov_b32_e32 v20, 0
	v_mov_b32_e32 v21, 0
	s_waitcnt_vscnt null, 0x0
	s_barrier
	buffer_gl0_inv
	buffer_gl1_inv
	buffer_gl0_inv
	v_dual_mov_b32 v23, v21 :: v_dual_mov_b32 v22, v20
	s_and_saveexec_b32 s2, s0
	s_cbranch_execz .LBB119_49
; %bb.48:                               ;   in Loop: Header=BB119_17 Depth=1
	v_mul_lo_u32 v16, v14, s21
	v_mul_hi_u32 v17, v14, s20
	v_mul_lo_u32 v15, v15, s20
	v_mul_lo_u32 v14, v14, s20
	s_delay_alu instid0(VALU_DEP_3) | instskip(NEXT) | instid1(VALU_DEP_1)
	v_add_nc_u32_e32 v16, v17, v16
	v_add_nc_u32_e32 v15, v16, v15
	s_delay_alu instid0(VALU_DEP_1) | instskip(NEXT) | instid1(VALU_DEP_1)
	v_lshlrev_b64 v[14:15], 4, v[14:15]
	v_add_co_u32 v14, vcc_lo, v24, v14
	s_delay_alu instid0(VALU_DEP_2) | instskip(SKIP_4) | instid1(VALU_DEP_2)
	v_add_co_ci_u32_e32 v15, vcc_lo, v25, v15, vcc_lo
	global_load_b128 v[14:17], v[14:15], off
	s_waitcnt vmcnt(0)
	v_fma_f64 v[18:19], -v[6:7], v[14:15], v[0:1]
	v_fma_f64 v[14:15], -v[4:5], v[14:15], v[2:3]
	v_fma_f64 v[22:23], v[4:5], v[16:17], v[18:19]
	s_delay_alu instid0(VALU_DEP_2)
	v_fma_f64 v[20:21], -v[6:7], v[16:17], v[14:15]
.LBB119_49:                             ;   in Loop: Header=BB119_17 Depth=1
	s_or_b32 exec_lo, exec_lo, s2
	v_dual_mov_b32 v17, v11 :: v_dual_mov_b32 v16, v10
	v_dual_mov_b32 v19, v13 :: v_dual_mov_b32 v18, v12
	s_mov_b32 s2, 0
	s_branch .LBB119_39
.LBB119_50:                             ;   in Loop: Header=BB119_17 Depth=1
	s_and_not1_b32 vcc_lo, exec_lo, s29
	s_cbranch_vccnz .LBB119_52
; %bb.51:                               ;   in Loop: Header=BB119_17 Depth=1
	v_mul_f64 v[10:11], v[4:5], v[4:5]
	s_delay_alu instid0(VALU_DEP_1) | instskip(NEXT) | instid1(VALU_DEP_1)
	v_fma_f64 v[10:11], v[6:7], v[6:7], v[10:11]
	v_div_scale_f64 v[12:13], null, v[10:11], v[10:11], 1.0
	v_div_scale_f64 v[18:19], vcc_lo, 1.0, v[10:11], 1.0
	s_delay_alu instid0(VALU_DEP_2) | instskip(SKIP_2) | instid1(VALU_DEP_1)
	v_rcp_f64_e32 v[14:15], v[12:13]
	s_waitcnt_depctr 0xfff
	v_fma_f64 v[16:17], -v[12:13], v[14:15], 1.0
	v_fma_f64 v[14:15], v[14:15], v[16:17], v[14:15]
	s_delay_alu instid0(VALU_DEP_1) | instskip(NEXT) | instid1(VALU_DEP_1)
	v_fma_f64 v[16:17], -v[12:13], v[14:15], 1.0
	v_fma_f64 v[14:15], v[14:15], v[16:17], v[14:15]
	s_delay_alu instid0(VALU_DEP_1) | instskip(NEXT) | instid1(VALU_DEP_1)
	v_mul_f64 v[16:17], v[18:19], v[14:15]
	v_fma_f64 v[12:13], -v[12:13], v[16:17], v[18:19]
	s_delay_alu instid0(VALU_DEP_1) | instskip(SKIP_2) | instid1(VALU_DEP_3)
	v_div_fmas_f64 v[12:13], v[12:13], v[14:15], v[16:17]
	v_fma_f64 v[14:15], v[4:5], 0, v[6:7]
	v_fma_f64 v[4:5], v[6:7], 0, -v[4:5]
	v_div_fixup_f64 v[10:11], v[12:13], v[10:11], 1.0
	s_delay_alu instid0(VALU_DEP_1) | instskip(NEXT) | instid1(VALU_DEP_3)
	v_mul_f64 v[12:13], v[14:15], v[10:11]
	v_mul_f64 v[10:11], v[4:5], v[10:11]
.LBB119_52:                             ;   in Loop: Header=BB119_17 Depth=1
	s_delay_alu instid0(VALU_DEP_2) | instskip(NEXT) | instid1(VALU_DEP_2)
	v_dual_mov_b32 v19, v13 :: v_dual_mov_b32 v18, v12
	v_dual_mov_b32 v17, v11 :: v_dual_mov_b32 v16, v10
	;; [unrolled: 1-line block ×4, first 2 shown]
	s_mov_b32 s2, 2
	s_delay_alu instid0(SALU_CYCLE_1)
	s_cmp_gt_i32 s2, 3
	s_mov_b32 s3, -1
	s_cbranch_scc0 .LBB119_40
.LBB119_53:                             ;   in Loop: Header=BB119_17 Depth=1
	s_branch .LBB119_15
.LBB119_54:                             ;   in Loop: Header=BB119_17 Depth=1
                                        ; implicit-def: $sgpr26_sgpr27
	s_branch .LBB119_16
.LBB119_55:
	v_mov_b32_e32 v16, 0
	v_dual_mov_b32 v17, 0 :: v_dual_mov_b32 v18, 0
	v_mov_b32_e32 v19, 0x3ff00000
	s_cmp_lg_u32 s18, 0
	s_cbranch_scc1 .LBB119_58
	s_branch .LBB119_57
.LBB119_56:
	v_dual_mov_b32 v2, v20 :: v_dual_mov_b32 v3, v21
	v_dual_mov_b32 v0, v22 :: v_dual_mov_b32 v1, v23
	s_cmp_lg_u32 s18, 0
	s_cbranch_scc1 .LBB119_58
.LBB119_57:
	s_delay_alu instid0(VALU_DEP_2) | instskip(NEXT) | instid1(VALU_DEP_2)
	v_mul_f64 v[4:5], v[16:17], -v[2:3]
	v_mul_f64 v[6:7], v[16:17], v[0:1]
	s_delay_alu instid0(VALU_DEP_2) | instskip(NEXT) | instid1(VALU_DEP_2)
	v_fma_f64 v[0:1], v[0:1], v[18:19], v[4:5]
	v_fma_f64 v[2:3], v[2:3], v[18:19], v[6:7]
.LBB119_58:
	s_and_saveexec_b32 s1, s0
	s_cbranch_execz .LBB119_60
; %bb.59:
	s_lshl_b64 s[2:3], s[14:15], 4
	s_delay_alu instid0(SALU_CYCLE_1)
	v_add_co_u32 v4, vcc_lo, v24, s2
	v_add_co_ci_u32_e32 v5, vcc_lo, s3, v25, vcc_lo
	global_store_b128 v[4:5], v[0:3], off
.LBB119_60:
	s_or_b32 exec_lo, exec_lo, s1
	s_waitcnt_vscnt null, 0x0
	buffer_gl1_inv
	buffer_gl0_inv
	s_barrier
	buffer_gl0_inv
	s_mov_b32 s0, exec_lo
	v_cmpx_eq_u32_e32 0, v8
	s_cbranch_execz .LBB119_62
; %bb.61:
	s_lshl_b64 s[0:1], s[12:13], 2
	v_dual_mov_b32 v0, 0 :: v_dual_mov_b32 v1, 1
	s_add_u32 s2, s6, s0
	s_addc_u32 s3, s7, s1
	s_lshl_b64 s[0:1], s[4:5], 2
	s_delay_alu instid0(SALU_CYCLE_1)
	s_add_u32 s0, s2, s0
	s_addc_u32 s1, s3, s1
	global_store_b32 v0, v1, s[0:1]
.LBB119_62:
	s_nop 0
	s_sendmsg sendmsg(MSG_DEALLOC_VGPRS)
	s_endpgm
.LBB119_63:
                                        ; implicit-def: $sgpr24_sgpr25
	s_load_b64 s[22:23], s[2:3], 0x40
	s_branch .LBB119_4
	.section	.rodata,"a",@progbits
	.p2align	6, 0x0
	.amdhsa_kernel _ZN9rocsparseL5csrsmILj256ELj64ELb0Ell21rocsparse_complex_numIdEEEv20rocsparse_operation_T3_S4_NS_24const_host_device_scalarIT4_EEPKT2_PKS4_PKS6_PS6_lPiSC_PS4_21rocsparse_index_base_20rocsparse_fill_mode_20rocsparse_diag_type_b
		.amdhsa_group_segment_fixed_size 8192
		.amdhsa_private_segment_fixed_size 0
		.amdhsa_kernarg_size 120
		.amdhsa_user_sgpr_count 15
		.amdhsa_user_sgpr_dispatch_ptr 1
		.amdhsa_user_sgpr_queue_ptr 0
		.amdhsa_user_sgpr_kernarg_segment_ptr 1
		.amdhsa_user_sgpr_dispatch_id 0
		.amdhsa_user_sgpr_private_segment_size 0
		.amdhsa_wavefront_size32 1
		.amdhsa_uses_dynamic_stack 0
		.amdhsa_enable_private_segment 0
		.amdhsa_system_sgpr_workgroup_id_x 1
		.amdhsa_system_sgpr_workgroup_id_y 0
		.amdhsa_system_sgpr_workgroup_id_z 0
		.amdhsa_system_sgpr_workgroup_info 0
		.amdhsa_system_vgpr_workitem_id 2
		.amdhsa_next_free_vgpr 34
		.amdhsa_next_free_sgpr 32
		.amdhsa_reserve_vcc 1
		.amdhsa_float_round_mode_32 0
		.amdhsa_float_round_mode_16_64 0
		.amdhsa_float_denorm_mode_32 3
		.amdhsa_float_denorm_mode_16_64 3
		.amdhsa_dx10_clamp 1
		.amdhsa_ieee_mode 1
		.amdhsa_fp16_overflow 0
		.amdhsa_workgroup_processor_mode 1
		.amdhsa_memory_ordered 1
		.amdhsa_forward_progress 0
		.amdhsa_shared_vgpr_count 0
		.amdhsa_exception_fp_ieee_invalid_op 0
		.amdhsa_exception_fp_denorm_src 0
		.amdhsa_exception_fp_ieee_div_zero 0
		.amdhsa_exception_fp_ieee_overflow 0
		.amdhsa_exception_fp_ieee_underflow 0
		.amdhsa_exception_fp_ieee_inexact 0
		.amdhsa_exception_int_div_zero 0
	.end_amdhsa_kernel
	.section	.text._ZN9rocsparseL5csrsmILj256ELj64ELb0Ell21rocsparse_complex_numIdEEEv20rocsparse_operation_T3_S4_NS_24const_host_device_scalarIT4_EEPKT2_PKS4_PKS6_PS6_lPiSC_PS4_21rocsparse_index_base_20rocsparse_fill_mode_20rocsparse_diag_type_b,"axG",@progbits,_ZN9rocsparseL5csrsmILj256ELj64ELb0Ell21rocsparse_complex_numIdEEEv20rocsparse_operation_T3_S4_NS_24const_host_device_scalarIT4_EEPKT2_PKS4_PKS6_PS6_lPiSC_PS4_21rocsparse_index_base_20rocsparse_fill_mode_20rocsparse_diag_type_b,comdat
.Lfunc_end119:
	.size	_ZN9rocsparseL5csrsmILj256ELj64ELb0Ell21rocsparse_complex_numIdEEEv20rocsparse_operation_T3_S4_NS_24const_host_device_scalarIT4_EEPKT2_PKS4_PKS6_PS6_lPiSC_PS4_21rocsparse_index_base_20rocsparse_fill_mode_20rocsparse_diag_type_b, .Lfunc_end119-_ZN9rocsparseL5csrsmILj256ELj64ELb0Ell21rocsparse_complex_numIdEEEv20rocsparse_operation_T3_S4_NS_24const_host_device_scalarIT4_EEPKT2_PKS4_PKS6_PS6_lPiSC_PS4_21rocsparse_index_base_20rocsparse_fill_mode_20rocsparse_diag_type_b
                                        ; -- End function
	.section	.AMDGPU.csdata,"",@progbits
; Kernel info:
; codeLenInByte = 3208
; NumSgprs: 34
; NumVgprs: 34
; ScratchSize: 0
; MemoryBound: 1
; FloatMode: 240
; IeeeMode: 1
; LDSByteSize: 8192 bytes/workgroup (compile time only)
; SGPRBlocks: 4
; VGPRBlocks: 4
; NumSGPRsForWavesPerEU: 34
; NumVGPRsForWavesPerEU: 34
; Occupancy: 16
; WaveLimiterHint : 1
; COMPUTE_PGM_RSRC2:SCRATCH_EN: 0
; COMPUTE_PGM_RSRC2:USER_SGPR: 15
; COMPUTE_PGM_RSRC2:TRAP_HANDLER: 0
; COMPUTE_PGM_RSRC2:TGID_X_EN: 1
; COMPUTE_PGM_RSRC2:TGID_Y_EN: 0
; COMPUTE_PGM_RSRC2:TGID_Z_EN: 0
; COMPUTE_PGM_RSRC2:TIDIG_COMP_CNT: 2
	.section	.text._ZN9rocsparseL5csrsmILj512ELj64ELb1Ell21rocsparse_complex_numIdEEEv20rocsparse_operation_T3_S4_NS_24const_host_device_scalarIT4_EEPKT2_PKS4_PKS6_PS6_lPiSC_PS4_21rocsparse_index_base_20rocsparse_fill_mode_20rocsparse_diag_type_b,"axG",@progbits,_ZN9rocsparseL5csrsmILj512ELj64ELb1Ell21rocsparse_complex_numIdEEEv20rocsparse_operation_T3_S4_NS_24const_host_device_scalarIT4_EEPKT2_PKS4_PKS6_PS6_lPiSC_PS4_21rocsparse_index_base_20rocsparse_fill_mode_20rocsparse_diag_type_b,comdat
	.globl	_ZN9rocsparseL5csrsmILj512ELj64ELb1Ell21rocsparse_complex_numIdEEEv20rocsparse_operation_T3_S4_NS_24const_host_device_scalarIT4_EEPKT2_PKS4_PKS6_PS6_lPiSC_PS4_21rocsparse_index_base_20rocsparse_fill_mode_20rocsparse_diag_type_b ; -- Begin function _ZN9rocsparseL5csrsmILj512ELj64ELb1Ell21rocsparse_complex_numIdEEEv20rocsparse_operation_T3_S4_NS_24const_host_device_scalarIT4_EEPKT2_PKS4_PKS6_PS6_lPiSC_PS4_21rocsparse_index_base_20rocsparse_fill_mode_20rocsparse_diag_type_b
	.p2align	8
	.type	_ZN9rocsparseL5csrsmILj512ELj64ELb1Ell21rocsparse_complex_numIdEEEv20rocsparse_operation_T3_S4_NS_24const_host_device_scalarIT4_EEPKT2_PKS4_PKS6_PS6_lPiSC_PS4_21rocsparse_index_base_20rocsparse_fill_mode_20rocsparse_diag_type_b,@function
_ZN9rocsparseL5csrsmILj512ELj64ELb1Ell21rocsparse_complex_numIdEEEv20rocsparse_operation_T3_S4_NS_24const_host_device_scalarIT4_EEPKT2_PKS4_PKS6_PS6_lPiSC_PS4_21rocsparse_index_base_20rocsparse_fill_mode_20rocsparse_diag_type_b: ; @_ZN9rocsparseL5csrsmILj512ELj64ELb1Ell21rocsparse_complex_numIdEEEv20rocsparse_operation_T3_S4_NS_24const_host_device_scalarIT4_EEPKT2_PKS4_PKS6_PS6_lPiSC_PS4_21rocsparse_index_base_20rocsparse_fill_mode_20rocsparse_diag_type_b
; %bb.0:
	s_load_b64 s[0:1], s[0:1], 0x4
	s_load_b256 s[4:11], s[2:3], 0x8
	v_and_b32_e32 v8, 0x3ff, v0
	s_load_b128 s[16:19], s[2:3], 0x68
	v_bfe_u32 v2, v0, 10, 10
	v_bfe_u32 v0, v0, 20, 10
	s_waitcnt lgkmcnt(0)
	s_lshr_b32 s0, s0, 16
	v_mov_b32_e32 v6, s10
	s_mul_i32 s0, s0, s1
	v_mov_b32_e32 v7, s11
	v_mul_lo_u32 v1, s0, v8
	s_and_b32 s0, 1, s19
	s_delay_alu instid0(SALU_CYCLE_1) | instskip(SKIP_1) | instid1(VALU_DEP_1)
	s_cmp_eq_u32 s0, 1
	s_cselect_b32 vcc_lo, -1, 0
	v_mad_u32_u24 v1, v2, s1, v1
	s_mov_b64 s[0:1], src_shared_base
	v_dual_mov_b32 v2, s8 :: v_dual_mov_b32 v3, s9
	s_delay_alu instid0(VALU_DEP_2) | instskip(NEXT) | instid1(VALU_DEP_1)
	v_add_lshl_u32 v4, v1, v0, 3
	v_add_nc_u32_e32 v0, 0x3000, v4
	ds_store_b64 v4, v[2:3] offset:12288
	v_cndmask_b32_e32 v0, s8, v0, vcc_lo
	s_and_b32 vcc_lo, exec_lo, vcc_lo
	s_cselect_b32 s0, s1, s9
	s_delay_alu instid0(SALU_CYCLE_1)
	v_mov_b32_e32 v1, s0
	flat_load_b64 v[4:5], v[0:1]
	s_cbranch_vccnz .LBB120_2
; %bb.1:
	v_dual_mov_b32 v0, s8 :: v_dual_mov_b32 v1, s9
	flat_load_b64 v[6:7], v[0:1] offset:8
.LBB120_2:
	s_clause 0x1
	s_load_b64 s[8:9], s[2:3], 0x58
	s_load_b64 s[0:1], s[2:3], 0x28
	s_mov_b32 s10, 0
	s_mov_b32 s11, s5
	s_delay_alu instid0(SALU_CYCLE_1)
	s_cmp_lg_u64 s[10:11], 0
	s_cbranch_scc0 .LBB120_66
; %bb.3:
	s_ashr_i32 s12, s5, 31
	s_delay_alu instid0(SALU_CYCLE_1) | instskip(SKIP_2) | instid1(SALU_CYCLE_1)
	s_add_u32 s20, s4, s12
	s_mov_b32 s13, s12
	s_addc_u32 s21, s5, s12
	s_xor_b64 s[20:21], s[20:21], s[12:13]
	s_delay_alu instid0(SALU_CYCLE_1) | instskip(SKIP_3) | instid1(VALU_DEP_1)
	v_cvt_f32_u32_e32 v0, s20
	v_cvt_f32_u32_e32 v1, s21
	s_sub_u32 s19, 0, s20
	s_subb_u32 s22, 0, s21
	v_fmamk_f32 v0, v1, 0x4f800000, v0
	s_delay_alu instid0(VALU_DEP_1) | instskip(SKIP_2) | instid1(VALU_DEP_1)
	v_rcp_f32_e32 v0, v0
	s_waitcnt_depctr 0xfff
	v_mul_f32_e32 v0, 0x5f7ffffc, v0
	v_mul_f32_e32 v1, 0x2f800000, v0
	s_delay_alu instid0(VALU_DEP_1) | instskip(NEXT) | instid1(VALU_DEP_1)
	v_trunc_f32_e32 v1, v1
	v_fmamk_f32 v0, v1, 0xcf800000, v0
	v_cvt_u32_f32_e32 v1, v1
	s_delay_alu instid0(VALU_DEP_2) | instskip(NEXT) | instid1(VALU_DEP_2)
	v_cvt_u32_f32_e32 v0, v0
	v_readfirstlane_b32 s11, v1
	s_delay_alu instid0(VALU_DEP_2) | instskip(NEXT) | instid1(VALU_DEP_2)
	v_readfirstlane_b32 s14, v0
	s_mul_i32 s23, s19, s11
	s_delay_alu instid0(VALU_DEP_1)
	s_mul_hi_u32 s25, s19, s14
	s_mul_i32 s24, s22, s14
	s_add_i32 s23, s25, s23
	s_mul_i32 s26, s19, s14
	s_add_i32 s23, s23, s24
	s_mul_hi_u32 s25, s14, s26
	s_mul_hi_u32 s27, s11, s26
	s_mul_i32 s24, s11, s26
	s_mul_hi_u32 s26, s14, s23
	s_mul_i32 s14, s14, s23
	s_mul_hi_u32 s28, s11, s23
	s_add_u32 s14, s25, s14
	s_addc_u32 s25, 0, s26
	s_add_u32 s14, s14, s24
	s_mul_i32 s23, s11, s23
	s_addc_u32 s14, s25, s27
	s_addc_u32 s24, s28, 0
	s_add_u32 s14, s14, s23
	s_addc_u32 s23, 0, s24
	v_add_co_u32 v0, s14, v0, s14
	s_delay_alu instid0(VALU_DEP_1) | instskip(SKIP_1) | instid1(VALU_DEP_1)
	s_cmp_lg_u32 s14, 0
	s_addc_u32 s11, s11, s23
	v_readfirstlane_b32 s14, v0
	s_mul_i32 s23, s19, s11
	s_delay_alu instid0(VALU_DEP_1)
	s_mul_hi_u32 s24, s19, s14
	s_mul_i32 s22, s22, s14
	s_add_i32 s23, s24, s23
	s_mul_i32 s19, s19, s14
	s_add_i32 s23, s23, s22
	s_mul_hi_u32 s24, s11, s19
	s_mul_i32 s25, s11, s19
	s_mul_hi_u32 s19, s14, s19
	s_mul_hi_u32 s26, s14, s23
	s_mul_i32 s14, s14, s23
	s_mul_hi_u32 s22, s11, s23
	s_add_u32 s14, s19, s14
	s_addc_u32 s19, 0, s26
	s_add_u32 s14, s14, s25
	s_mul_i32 s23, s11, s23
	s_addc_u32 s14, s19, s24
	s_addc_u32 s19, s22, 0
	s_add_u32 s14, s14, s23
	s_addc_u32 s19, 0, s19
	v_add_co_u32 v0, s14, v0, s14
	s_delay_alu instid0(VALU_DEP_1) | instskip(SKIP_1) | instid1(VALU_DEP_1)
	s_cmp_lg_u32 s14, 0
	s_addc_u32 s11, s11, s19
	v_readfirstlane_b32 s14, v0
	s_mul_i32 s19, s15, s11
	s_mul_hi_u32 s11, s15, s11
	s_delay_alu instid0(VALU_DEP_1) | instskip(NEXT) | instid1(SALU_CYCLE_1)
	s_mul_hi_u32 s14, s15, s14
	s_add_u32 s14, s14, s19
	s_addc_u32 s11, 0, s11
	s_add_u32 s14, s14, 0
	s_addc_u32 s11, s11, 0
	s_addc_u32 s14, 0, 0
	s_add_u32 s11, s11, 0
	s_addc_u32 s14, 0, s14
	s_mul_hi_u32 s19, s20, s11
	s_mul_i32 s23, s20, s14
	s_mul_i32 s24, s20, s11
	s_add_i32 s19, s19, s23
	v_sub_co_u32 v0, s23, s15, s24
	s_mul_i32 s22, s21, s11
	s_delay_alu instid0(SALU_CYCLE_1) | instskip(NEXT) | instid1(VALU_DEP_1)
	s_add_i32 s19, s19, s22
	v_sub_co_u32 v1, s24, v0, s20
	s_sub_i32 s22, 0, s19
	s_cmp_lg_u32 s23, 0
	s_subb_u32 s22, s22, s21
	s_cmp_lg_u32 s24, 0
	v_readfirstlane_b32 s24, v1
	s_subb_u32 s22, s22, 0
	s_delay_alu instid0(SALU_CYCLE_1) | instskip(SKIP_1) | instid1(VALU_DEP_1)
	s_cmp_ge_u32 s22, s21
	s_cselect_b32 s25, -1, 0
	s_cmp_ge_u32 s24, s20
	s_cselect_b32 s24, -1, 0
	s_cmp_eq_u32 s22, s21
	s_cselect_b32 s22, s24, s25
	s_add_u32 s24, s11, 1
	s_addc_u32 s25, s14, 0
	s_add_u32 s26, s11, 2
	s_addc_u32 s27, s14, 0
	s_cmp_lg_u32 s22, 0
	s_cselect_b32 s22, s26, s24
	s_cselect_b32 s24, s27, s25
	s_cmp_lg_u32 s23, 0
	v_readfirstlane_b32 s23, v0
	s_subb_u32 s19, 0, s19
	s_delay_alu instid0(SALU_CYCLE_1) | instskip(SKIP_1) | instid1(VALU_DEP_1)
	s_cmp_ge_u32 s19, s21
	s_cselect_b32 s25, -1, 0
	s_cmp_ge_u32 s23, s20
	s_cselect_b32 s20, -1, 0
	s_cmp_eq_u32 s19, s21
	s_cselect_b32 s19, s20, s25
	s_delay_alu instid0(SALU_CYCLE_1) | instskip(SKIP_2) | instid1(SALU_CYCLE_1)
	s_cmp_lg_u32 s19, 0
	s_cselect_b32 s21, s24, s14
	s_cselect_b32 s20, s22, s11
	s_xor_b64 s[20:21], s[20:21], s[12:13]
	s_delay_alu instid0(SALU_CYCLE_1)
	s_sub_u32 s24, s20, s12
	s_subb_u32 s25, s21, s12
	s_load_b64 s[22:23], s[2:3], 0x40
	s_and_not1_b32 vcc_lo, exec_lo, s10
	s_cbranch_vccnz .LBB120_5
.LBB120_4:
	v_cvt_f32_u32_e32 v0, s4
	s_sub_i32 s11, 0, s4
	s_mov_b32 s25, 0
	s_delay_alu instid0(VALU_DEP_1) | instskip(SKIP_2) | instid1(VALU_DEP_1)
	v_rcp_iflag_f32_e32 v0, v0
	s_waitcnt_depctr 0xfff
	v_mul_f32_e32 v0, 0x4f7ffffe, v0
	v_cvt_u32_f32_e32 v0, v0
	s_delay_alu instid0(VALU_DEP_1) | instskip(NEXT) | instid1(VALU_DEP_1)
	v_readfirstlane_b32 s10, v0
	s_mul_i32 s11, s11, s10
	s_delay_alu instid0(SALU_CYCLE_1) | instskip(NEXT) | instid1(SALU_CYCLE_1)
	s_mul_hi_u32 s11, s10, s11
	s_add_i32 s10, s10, s11
	s_delay_alu instid0(SALU_CYCLE_1) | instskip(NEXT) | instid1(SALU_CYCLE_1)
	s_mul_hi_u32 s10, s15, s10
	s_mul_i32 s11, s10, s4
	s_add_i32 s12, s10, 1
	s_sub_i32 s11, s15, s11
	s_delay_alu instid0(SALU_CYCLE_1)
	s_sub_i32 s13, s11, s4
	s_cmp_ge_u32 s11, s4
	s_cselect_b32 s10, s12, s10
	s_cselect_b32 s11, s13, s11
	s_add_i32 s12, s10, 1
	s_cmp_ge_u32 s11, s4
	s_cselect_b32 s24, s12, s10
.LBB120_5:
	s_delay_alu instid0(SALU_CYCLE_1)
	s_mul_i32 s5, s24, s5
	s_mul_hi_u32 s10, s24, s4
	s_load_b32 s19, s[2:3], 0x0
	s_add_i32 s5, s10, s5
	s_mul_i32 s10, s25, s4
	s_mul_i32 s4, s24, s4
	s_add_i32 s5, s5, s10
	s_sub_u32 s10, s15, s4
	s_subb_u32 s11, 0, s5
	s_delay_alu instid0(SALU_CYCLE_1)
	s_lshl_b64 s[10:11], s[10:11], 3
	s_waitcnt lgkmcnt(0)
	s_add_u32 s8, s8, s10
	s_addc_u32 s9, s9, s11
	s_load_b64 s[12:13], s[8:9], 0x0
	s_load_b64 s[20:21], s[2:3], 0x48
	s_waitcnt lgkmcnt(0)
	s_lshl_b64 s[8:9], s[12:13], 3
	s_mul_i32 s14, s12, s20
	s_add_u32 s0, s0, s8
	s_addc_u32 s1, s1, s9
	s_lshl_b64 s[24:25], s[24:25], 9
	s_load_b128 s[8:11], s[0:1], 0x0
	v_or_b32_e32 v9, s24, v8
	s_mul_i32 s0, s12, s21
	s_mul_hi_u32 s1, s12, s20
	v_mov_b32_e32 v10, s25
	v_mov_b32_e32 v0, s25
	s_add_i32 s0, s1, s0
	s_mul_i32 s1, s13, s20
	v_add_co_u32 v11, vcc_lo, v9, s14
	s_add_i32 s15, s0, s1
	v_cmp_gt_i64_e64 s0, s[6:7], v[9:10]
	v_add_co_ci_u32_e32 v12, vcc_lo, s15, v0, vcc_lo
	s_cmpk_lg_i32 s19, 0x71
	s_cbranch_scc0 .LBB120_9
; %bb.6:
	v_mov_b32_e32 v2, 0
	v_mov_b32_e32 v3, 0
	s_delay_alu instid0(VALU_DEP_1)
	v_dual_mov_b32 v0, v2 :: v_dual_mov_b32 v1, v3
	s_and_saveexec_b32 s1, s0
	s_cbranch_execz .LBB120_8
; %bb.7:
	v_lshlrev_b64 v[0:1], 4, v[11:12]
	s_delay_alu instid0(VALU_DEP_1) | instskip(NEXT) | instid1(VALU_DEP_2)
	v_add_co_u32 v0, vcc_lo, s22, v0
	v_add_co_ci_u32_e32 v1, vcc_lo, s23, v1, vcc_lo
	global_load_b128 v[13:16], v[0:1], off
	s_waitcnt vmcnt(0)
	v_mul_f64 v[0:1], v[15:16], -v[6:7]
	v_mul_f64 v[2:3], v[4:5], v[15:16]
	s_delay_alu instid0(VALU_DEP_2) | instskip(NEXT) | instid1(VALU_DEP_2)
	v_fma_f64 v[0:1], v[4:5], v[13:14], v[0:1]
	v_fma_f64 v[2:3], v[6:7], v[13:14], v[2:3]
.LBB120_8:
	s_or_b32 exec_lo, exec_lo, s1
	s_load_b64 s[6:7], s[2:3], 0x50
	s_cbranch_execz .LBB120_10
	s_branch .LBB120_13
.LBB120_9:
                                        ; implicit-def: $vgpr2_vgpr3
	s_load_b64 s[6:7], s[2:3], 0x50
.LBB120_10:
	v_mov_b32_e32 v2, 0
	v_mov_b32_e32 v3, 0
	s_delay_alu instid0(VALU_DEP_1)
	v_dual_mov_b32 v0, v2 :: v_dual_mov_b32 v1, v3
	s_and_saveexec_b32 s1, s0
	s_cbranch_execz .LBB120_12
; %bb.11:
	v_lshlrev_b64 v[0:1], 4, v[11:12]
	s_delay_alu instid0(VALU_DEP_1) | instskip(NEXT) | instid1(VALU_DEP_2)
	v_add_co_u32 v0, vcc_lo, s22, v0
	v_add_co_ci_u32_e32 v1, vcc_lo, s23, v1, vcc_lo
	global_load_b128 v[11:14], v[0:1], off
	s_waitcnt vmcnt(0)
	v_mul_f64 v[0:1], v[6:7], v[13:14]
	v_mul_f64 v[2:3], v[4:5], -v[13:14]
	s_delay_alu instid0(VALU_DEP_2) | instskip(NEXT) | instid1(VALU_DEP_2)
	v_fma_f64 v[0:1], v[4:5], v[11:12], v[0:1]
	v_fma_f64 v[2:3], v[6:7], v[11:12], v[2:3]
.LBB120_12:
	s_or_b32 exec_lo, exec_lo, s1
.LBB120_13:
	s_waitcnt vmcnt(0)
	v_lshlrev_b64 v[4:5], 4, v[9:10]
	s_waitcnt lgkmcnt(0)
	v_cmp_ge_i64_e64 s1, s[8:9], s[10:11]
	s_delay_alu instid0(VALU_DEP_2) | instskip(NEXT) | instid1(VALU_DEP_3)
	v_add_co_u32 v24, vcc_lo, s22, v4
	v_add_co_ci_u32_e32 v25, vcc_lo, s23, v5, vcc_lo
	s_delay_alu instid0(VALU_DEP_3)
	s_and_b32 vcc_lo, exec_lo, s1
	v_cmp_eq_u32_e64 s1, 0, v8
	s_cbranch_vccnz .LBB120_58
; %bb.14:
	s_clause 0x1
	s_load_b128 s[24:27], s[2:3], 0x30
	s_load_b64 s[22:23], s[2:3], 0x60
	v_dual_mov_b32 v9, 0 :: v_dual_lshlrev_b32 v4, 3, v8
	s_lshl_b64 s[2:3], s[4:5], 2
	v_dual_mov_b32 v10, 0 :: v_dual_lshlrev_b32 v5, 4, v8
	s_add_u32 s19, s6, s2
	s_addc_u32 s28, s7, s3
	s_sub_u32 s8, s8, s16
	s_subb_u32 s9, s9, 0
	s_sub_u32 s10, s10, s16
	s_subb_u32 s11, s11, 0
	v_dual_mov_b32 v12, 0 :: v_dual_lshlrev_b32 v31, 4, v8
	v_lshl_or_b32 v26, v8, 3, 0x2000
	s_cmp_eq_u32 s18, 0
	v_mov_b32_e32 v11, 0
	v_mov_b32_e32 v13, 0x3ff00000
	s_cselect_b32 s29, -1, 0
	s_waitcnt lgkmcnt(0)
	v_add_co_u32 v27, s2, s24, v4
	s_delay_alu instid0(VALU_DEP_1) | instskip(SKIP_1) | instid1(VALU_DEP_1)
	v_add_co_ci_u32_e64 v28, null, s25, 0, s2
	v_add_co_u32 v29, s2, s26, v5
	v_add_co_ci_u32_e64 v30, null, s27, 0, s2
	s_add_u32 s24, s12, s16
	s_addc_u32 s25, s13, 0
	s_mov_b64 s[26:27], s[8:9]
	s_branch .LBB120_17
.LBB120_15:                             ;   in Loop: Header=BB120_17 Depth=1
	s_add_u32 s26, s26, 1
	s_addc_u32 s27, s27, 0
	s_delay_alu instid0(SALU_CYCLE_1)
	v_cmp_ge_i64_e64 s3, s[26:27], s[10:11]
.LBB120_16:                             ;   in Loop: Header=BB120_17 Depth=1
	s_delay_alu instid0(VALU_DEP_3) | instskip(NEXT) | instid1(VALU_DEP_4)
	v_dual_mov_b32 v2, v20 :: v_dual_mov_b32 v3, v21
	v_dual_mov_b32 v0, v22 :: v_dual_mov_b32 v1, v23
	s_delay_alu instid0(VALU_DEP_4) | instskip(NEXT) | instid1(VALU_DEP_4)
	v_dual_mov_b32 v10, v16 :: v_dual_mov_b32 v11, v17
	v_dual_mov_b32 v12, v18 :: v_dual_mov_b32 v13, v19
	s_and_not1_b32 vcc_lo, exec_lo, s3
	s_cbranch_vccz .LBB120_59
.LBB120_17:                             ; =>This Loop Header: Depth=1
                                        ;     Child Loop BB120_56 Depth 2
                                        ;       Child Loop BB120_57 Depth 3
	s_sub_i32 s2, s26, s8
	s_delay_alu instid0(SALU_CYCLE_1) | instskip(NEXT) | instid1(SALU_CYCLE_1)
	s_and_b32 s2, s2, 0x1ff
	s_cmp_lg_u32 s2, 0
	s_cbranch_scc1 .LBB120_21
; %bb.18:                               ;   in Loop: Header=BB120_17 Depth=1
	v_mov_b32_e32 v14, -1
	v_dual_mov_b32 v15, -1 :: v_dual_mov_b32 v6, 0
	v_dual_mov_b32 v4, 0 :: v_dual_mov_b32 v7, 0
	v_mov_b32_e32 v5, 0xbff00000
	s_sub_u32 s30, s10, s26
	s_subb_u32 s31, s11, s27
	s_mov_b32 s3, exec_lo
	v_cmpx_gt_i64_e64 s[30:31], v[8:9]
	s_cbranch_execz .LBB120_20
; %bb.19:                               ;   in Loop: Header=BB120_17 Depth=1
	s_lshl_b64 s[30:31], s[26:27], 3
	s_delay_alu instid0(SALU_CYCLE_1)
	v_add_co_u32 v4, vcc_lo, v27, s30
	v_add_co_ci_u32_e32 v5, vcc_lo, s31, v28, vcc_lo
	s_lshl_b64 s[30:31], s[26:27], 4
	global_load_b64 v[14:15], v[4:5], off
	v_add_co_u32 v4, vcc_lo, v29, s30
	v_add_co_ci_u32_e32 v5, vcc_lo, s31, v30, vcc_lo
	global_load_b128 v[4:7], v[4:5], off
	s_waitcnt vmcnt(1)
	v_sub_co_u32 v14, vcc_lo, v14, s16
	v_subrev_co_ci_u32_e32 v15, vcc_lo, 0, v15, vcc_lo
.LBB120_20:                             ;   in Loop: Header=BB120_17 Depth=1
	s_or_b32 exec_lo, exec_lo, s3
	ds_store_b64 v26, v[14:15]
	s_waitcnt vmcnt(0)
	ds_store_b128 v31, v[4:7]
.LBB120_21:                             ;   in Loop: Header=BB120_17 Depth=1
	s_lshl_b32 s3, s2, 4
	s_waitcnt lgkmcnt(0)
	v_mov_b32_e32 v4, s3
	s_waitcnt_vscnt null, 0x0
	s_barrier
	buffer_gl0_inv
	s_lshl_b32 s2, s2, 3
	ds_load_b128 v[16:19], v4
	v_mov_b32_e32 v4, s2
	ds_load_b64 v[14:15], v4 offset:8192
	s_waitcnt lgkmcnt(1)
	v_cmp_eq_f64_e32 vcc_lo, 0, v[16:17]
	v_cmp_eq_f64_e64 s3, 0, v[18:19]
	s_waitcnt lgkmcnt(0)
	v_cmp_eq_u64_e64 s2, s[12:13], v[14:15]
	v_cmp_ne_u64_e64 s9, s[12:13], v[14:15]
	s_delay_alu instid0(VALU_DEP_3)
	s_and_b32 s3, vcc_lo, s3
	s_delay_alu instid0(VALU_DEP_2) | instid1(SALU_CYCLE_1)
	s_and_b32 s3, s3, s2
	s_delay_alu instid0(SALU_CYCLE_1) | instskip(NEXT) | instid1(SALU_CYCLE_1)
	s_and_b32 s3, s29, s3
	v_cndmask_b32_e64 v5, v19, 0, s3
	v_cndmask_b32_e64 v4, v18, 0, s3
	;; [unrolled: 1-line block ×4, first 2 shown]
	s_and_b32 s30, s1, s3
	s_delay_alu instid0(SALU_CYCLE_1)
	s_and_saveexec_b32 s3, s30
	s_cbranch_execz .LBB120_25
; %bb.22:                               ;   in Loop: Header=BB120_17 Depth=1
	v_mbcnt_lo_u32_b32 v4, exec_lo, 0
	s_mov_b32 s30, exec_lo
	s_delay_alu instid0(VALU_DEP_1)
	v_cmpx_eq_u32_e32 0, v4
	s_cbranch_execz .LBB120_24
; %bb.23:                               ;   in Loop: Header=BB120_17 Depth=1
	v_dual_mov_b32 v4, s24 :: v_dual_mov_b32 v5, s25
	global_atomic_min_u64 v9, v[4:5], s[22:23]
.LBB120_24:                             ;   in Loop: Header=BB120_17 Depth=1
	s_or_b32 exec_lo, exec_lo, s30
	v_mov_b32_e32 v4, 0
	v_dual_mov_b32 v5, 0 :: v_dual_mov_b32 v6, 0
	v_mov_b32_e32 v7, 0x3ff00000
.LBB120_25:                             ;   in Loop: Header=BB120_17 Depth=1
	s_or_b32 exec_lo, exec_lo, s3
	s_cmp_lt_i32 s17, 1
	s_mov_b32 s3, 0
	s_cbranch_scc1 .LBB120_31
; %bb.26:                               ;   in Loop: Header=BB120_17 Depth=1
	s_cmp_eq_u32 s17, 1
	s_cbranch_scc0 .LBB120_32
; %bb.27:                               ;   in Loop: Header=BB120_17 Depth=1
	v_cmp_le_i64_e32 vcc_lo, s[12:13], v[14:15]
	v_dual_mov_b32 v17, v11 :: v_dual_mov_b32 v16, v10
	v_dual_mov_b32 v19, v13 :: v_dual_mov_b32 v18, v12
	s_mov_b32 s30, 0
	s_cbranch_vccz .LBB120_34
; %bb.28:                               ;   in Loop: Header=BB120_17 Depth=1
	s_and_b32 vcc_lo, exec_lo, s2
	s_cbranch_vccz .LBB120_33
; %bb.29:                               ;   in Loop: Header=BB120_17 Depth=1
	v_dual_mov_b32 v17, v11 :: v_dual_mov_b32 v16, v10
	v_dual_mov_b32 v19, v13 :: v_dual_mov_b32 v18, v12
	s_and_not1_b32 vcc_lo, exec_lo, s29
	s_cbranch_vccnz .LBB120_34
; %bb.30:                               ;   in Loop: Header=BB120_17 Depth=1
	v_mul_f64 v[16:17], v[4:5], v[4:5]
	s_delay_alu instid0(VALU_DEP_1) | instskip(NEXT) | instid1(VALU_DEP_1)
	v_fma_f64 v[16:17], v[6:7], v[6:7], v[16:17]
	v_div_scale_f64 v[18:19], null, v[16:17], v[16:17], 1.0
	v_div_scale_f64 v[32:33], vcc_lo, 1.0, v[16:17], 1.0
	s_delay_alu instid0(VALU_DEP_2) | instskip(SKIP_2) | instid1(VALU_DEP_1)
	v_rcp_f64_e32 v[20:21], v[18:19]
	s_waitcnt_depctr 0xfff
	v_fma_f64 v[22:23], -v[18:19], v[20:21], 1.0
	v_fma_f64 v[20:21], v[20:21], v[22:23], v[20:21]
	s_delay_alu instid0(VALU_DEP_1) | instskip(NEXT) | instid1(VALU_DEP_1)
	v_fma_f64 v[22:23], -v[18:19], v[20:21], 1.0
	v_fma_f64 v[20:21], v[20:21], v[22:23], v[20:21]
	s_delay_alu instid0(VALU_DEP_1) | instskip(NEXT) | instid1(VALU_DEP_1)
	v_mul_f64 v[22:23], v[32:33], v[20:21]
	v_fma_f64 v[18:19], -v[18:19], v[22:23], v[32:33]
	s_delay_alu instid0(VALU_DEP_1) | instskip(SKIP_2) | instid1(VALU_DEP_3)
	v_div_fmas_f64 v[18:19], v[18:19], v[20:21], v[22:23]
	v_fma_f64 v[20:21], v[4:5], 0, v[6:7]
	v_fma_f64 v[22:23], v[6:7], 0, -v[4:5]
	v_div_fixup_f64 v[16:17], v[18:19], v[16:17], 1.0
	s_delay_alu instid0(VALU_DEP_1) | instskip(NEXT) | instid1(VALU_DEP_3)
	v_mul_f64 v[18:19], v[20:21], v[16:17]
	v_mul_f64 v[16:17], v[22:23], v[16:17]
	s_branch .LBB120_34
.LBB120_31:                             ;   in Loop: Header=BB120_17 Depth=1
	s_mov_b32 s30, 0
                                        ; implicit-def: $sgpr2
                                        ; implicit-def: $vgpr20_vgpr21
                                        ; implicit-def: $vgpr22_vgpr23
                                        ; implicit-def: $vgpr16_vgpr17
                                        ; implicit-def: $vgpr18_vgpr19
	s_cbranch_execnz .LBB120_35
	s_branch .LBB120_37
.LBB120_32:                             ;   in Loop: Header=BB120_17 Depth=1
	s_mov_b32 s30, -1
                                        ; implicit-def: $sgpr2
                                        ; implicit-def: $vgpr20_vgpr21
                                        ; implicit-def: $vgpr22_vgpr23
                                        ; implicit-def: $vgpr16_vgpr17
                                        ; implicit-def: $vgpr18_vgpr19
	s_branch .LBB120_37
.LBB120_33:                             ;   in Loop: Header=BB120_17 Depth=1
	s_mov_b32 s30, -1
                                        ; implicit-def: $vgpr16_vgpr17
                                        ; implicit-def: $vgpr18_vgpr19
.LBB120_34:                             ;   in Loop: Header=BB120_17 Depth=1
	v_dual_mov_b32 v21, v3 :: v_dual_mov_b32 v20, v2
	v_dual_mov_b32 v23, v1 :: v_dual_mov_b32 v22, v0
	s_mov_b32 s2, 4
	s_branch .LBB120_37
.LBB120_35:                             ;   in Loop: Header=BB120_17 Depth=1
	s_cmp_eq_u32 s17, 0
	s_cbranch_scc1 .LBB120_41
; %bb.36:                               ;   in Loop: Header=BB120_17 Depth=1
	s_mov_b32 s30, -1
                                        ; implicit-def: $sgpr2
                                        ; implicit-def: $vgpr20_vgpr21
                                        ; implicit-def: $vgpr22_vgpr23
                                        ; implicit-def: $vgpr16_vgpr17
                                        ; implicit-def: $vgpr18_vgpr19
.LBB120_37:                             ;   in Loop: Header=BB120_17 Depth=1
	s_delay_alu instid0(SALU_CYCLE_1)
	s_and_b32 vcc_lo, exec_lo, s30
	s_cbranch_vccnz .LBB120_44
.LBB120_38:                             ;   in Loop: Header=BB120_17 Depth=1
	s_and_b32 vcc_lo, exec_lo, s3
	s_cbranch_vccnz .LBB120_49
.LBB120_39:                             ;   in Loop: Header=BB120_17 Depth=1
	s_cmp_gt_i32 s2, 3
	s_mov_b32 s3, -1
	s_cbranch_scc1 .LBB120_52
.LBB120_40:                             ;   in Loop: Header=BB120_17 Depth=1
	s_cmp_eq_u32 s2, 0
	s_cselect_b32 s2, -1, 0
	s_delay_alu instid0(SALU_CYCLE_1)
	s_and_not1_b32 vcc_lo, exec_lo, s2
	s_cbranch_vccz .LBB120_15
	s_branch .LBB120_53
.LBB120_41:                             ;   in Loop: Header=BB120_17 Depth=1
	v_cmp_ge_i64_e32 vcc_lo, s[12:13], v[14:15]
	s_mov_b32 s30, 0
	s_cbranch_vccz .LBB120_43
; %bb.42:                               ;   in Loop: Header=BB120_17 Depth=1
	s_mov_b32 s3, -1
	s_mov_b32 s30, s9
.LBB120_43:                             ;   in Loop: Header=BB120_17 Depth=1
	v_dual_mov_b32 v21, v3 :: v_dual_mov_b32 v20, v2
	v_dual_mov_b32 v23, v1 :: v_dual_mov_b32 v22, v0
	;; [unrolled: 1-line block ×4, first 2 shown]
	s_mov_b32 s2, 2
	s_and_b32 vcc_lo, exec_lo, s30
	s_cbranch_vccz .LBB120_38
.LBB120_44:                             ;   in Loop: Header=BB120_17 Depth=1
	s_and_saveexec_b32 s2, s1
	s_cbranch_execz .LBB120_46
; %bb.45:                               ;   in Loop: Header=BB120_17 Depth=1
	v_lshlrev_b64 v[16:17], 2, v[14:15]
	s_delay_alu instid0(VALU_DEP_1) | instskip(NEXT) | instid1(VALU_DEP_2)
	v_add_co_u32 v16, vcc_lo, s19, v16
	v_add_co_ci_u32_e32 v17, vcc_lo, s28, v17, vcc_lo
	global_load_b32 v18, v[16:17], off glc
	s_waitcnt vmcnt(0)
	v_cmp_ne_u32_e32 vcc_lo, 0, v18
	s_cbranch_vccz .LBB120_54
.LBB120_46:                             ;   in Loop: Header=BB120_17 Depth=1
	s_or_b32 exec_lo, exec_lo, s2
	v_mov_b32_e32 v20, 0
	v_mov_b32_e32 v21, 0
	s_waitcnt_vscnt null, 0x0
	s_barrier
	buffer_gl0_inv
	buffer_gl1_inv
	buffer_gl0_inv
	v_dual_mov_b32 v23, v21 :: v_dual_mov_b32 v22, v20
	s_and_saveexec_b32 s2, s0
	s_cbranch_execz .LBB120_48
; %bb.47:                               ;   in Loop: Header=BB120_17 Depth=1
	v_mul_lo_u32 v16, v14, s21
	v_mul_hi_u32 v17, v14, s20
	v_mul_lo_u32 v15, v15, s20
	v_mul_lo_u32 v14, v14, s20
	s_delay_alu instid0(VALU_DEP_3) | instskip(NEXT) | instid1(VALU_DEP_1)
	v_add_nc_u32_e32 v16, v17, v16
	v_add_nc_u32_e32 v15, v16, v15
	s_delay_alu instid0(VALU_DEP_1) | instskip(NEXT) | instid1(VALU_DEP_1)
	v_lshlrev_b64 v[14:15], 4, v[14:15]
	v_add_co_u32 v14, vcc_lo, v24, v14
	s_delay_alu instid0(VALU_DEP_2) | instskip(SKIP_4) | instid1(VALU_DEP_2)
	v_add_co_ci_u32_e32 v15, vcc_lo, v25, v15, vcc_lo
	global_load_b128 v[14:17], v[14:15], off
	s_waitcnt vmcnt(0)
	v_fma_f64 v[18:19], -v[6:7], v[14:15], v[0:1]
	v_fma_f64 v[14:15], -v[4:5], v[14:15], v[2:3]
	v_fma_f64 v[22:23], v[4:5], v[16:17], v[18:19]
	s_delay_alu instid0(VALU_DEP_2)
	v_fma_f64 v[20:21], -v[6:7], v[16:17], v[14:15]
.LBB120_48:                             ;   in Loop: Header=BB120_17 Depth=1
	s_or_b32 exec_lo, exec_lo, s2
	v_dual_mov_b32 v17, v11 :: v_dual_mov_b32 v16, v10
	v_dual_mov_b32 v19, v13 :: v_dual_mov_b32 v18, v12
	s_mov_b32 s2, 0
	s_branch .LBB120_39
.LBB120_49:                             ;   in Loop: Header=BB120_17 Depth=1
	s_and_not1_b32 vcc_lo, exec_lo, s29
	s_cbranch_vccnz .LBB120_51
; %bb.50:                               ;   in Loop: Header=BB120_17 Depth=1
	v_mul_f64 v[10:11], v[4:5], v[4:5]
	s_delay_alu instid0(VALU_DEP_1) | instskip(NEXT) | instid1(VALU_DEP_1)
	v_fma_f64 v[10:11], v[6:7], v[6:7], v[10:11]
	v_div_scale_f64 v[12:13], null, v[10:11], v[10:11], 1.0
	v_div_scale_f64 v[18:19], vcc_lo, 1.0, v[10:11], 1.0
	s_delay_alu instid0(VALU_DEP_2) | instskip(SKIP_2) | instid1(VALU_DEP_1)
	v_rcp_f64_e32 v[14:15], v[12:13]
	s_waitcnt_depctr 0xfff
	v_fma_f64 v[16:17], -v[12:13], v[14:15], 1.0
	v_fma_f64 v[14:15], v[14:15], v[16:17], v[14:15]
	s_delay_alu instid0(VALU_DEP_1) | instskip(NEXT) | instid1(VALU_DEP_1)
	v_fma_f64 v[16:17], -v[12:13], v[14:15], 1.0
	v_fma_f64 v[14:15], v[14:15], v[16:17], v[14:15]
	s_delay_alu instid0(VALU_DEP_1) | instskip(NEXT) | instid1(VALU_DEP_1)
	v_mul_f64 v[16:17], v[18:19], v[14:15]
	v_fma_f64 v[12:13], -v[12:13], v[16:17], v[18:19]
	s_delay_alu instid0(VALU_DEP_1) | instskip(SKIP_2) | instid1(VALU_DEP_3)
	v_div_fmas_f64 v[12:13], v[12:13], v[14:15], v[16:17]
	v_fma_f64 v[14:15], v[4:5], 0, v[6:7]
	v_fma_f64 v[4:5], v[6:7], 0, -v[4:5]
	v_div_fixup_f64 v[10:11], v[12:13], v[10:11], 1.0
	s_delay_alu instid0(VALU_DEP_1) | instskip(NEXT) | instid1(VALU_DEP_3)
	v_mul_f64 v[12:13], v[14:15], v[10:11]
	v_mul_f64 v[10:11], v[4:5], v[10:11]
.LBB120_51:                             ;   in Loop: Header=BB120_17 Depth=1
	s_delay_alu instid0(VALU_DEP_2) | instskip(NEXT) | instid1(VALU_DEP_2)
	v_dual_mov_b32 v19, v13 :: v_dual_mov_b32 v18, v12
	v_dual_mov_b32 v17, v11 :: v_dual_mov_b32 v16, v10
	;; [unrolled: 1-line block ×4, first 2 shown]
	s_mov_b32 s2, 2
	s_delay_alu instid0(SALU_CYCLE_1)
	s_cmp_gt_i32 s2, 3
	s_mov_b32 s3, -1
	s_cbranch_scc0 .LBB120_40
.LBB120_52:                             ;   in Loop: Header=BB120_17 Depth=1
	s_branch .LBB120_15
.LBB120_53:                             ;   in Loop: Header=BB120_17 Depth=1
                                        ; implicit-def: $sgpr26_sgpr27
	s_branch .LBB120_16
.LBB120_54:                             ;   in Loop: Header=BB120_17 Depth=1
	s_mov_b32 s3, 0
	s_branch .LBB120_56
	.p2align	6
.LBB120_55:                             ;   in Loop: Header=BB120_56 Depth=2
	global_load_b32 v18, v[16:17], off glc
	s_cmpk_lt_u32 s3, 0xf43
	s_cselect_b32 s9, -1, 0
	s_delay_alu instid0(SALU_CYCLE_1)
	s_cmp_lg_u32 s9, 0
	s_addc_u32 s3, s3, 0
	s_waitcnt vmcnt(0)
	v_cmp_ne_u32_e32 vcc_lo, 0, v18
	s_cbranch_vccnz .LBB120_46
.LBB120_56:                             ;   Parent Loop BB120_17 Depth=1
                                        ; =>  This Loop Header: Depth=2
                                        ;       Child Loop BB120_57 Depth 3
	s_cmp_eq_u32 s3, 0
	s_mov_b32 s9, s3
	s_cbranch_scc1 .LBB120_55
.LBB120_57:                             ;   Parent Loop BB120_17 Depth=1
                                        ;     Parent Loop BB120_56 Depth=2
                                        ; =>    This Inner Loop Header: Depth=3
	s_add_i32 s9, s9, -1
	s_sleep 1
	s_cmp_eq_u32 s9, 0
	s_cbranch_scc0 .LBB120_57
	s_branch .LBB120_55
.LBB120_58:
	v_mov_b32_e32 v16, 0
	v_dual_mov_b32 v17, 0 :: v_dual_mov_b32 v18, 0
	v_mov_b32_e32 v19, 0x3ff00000
	s_cmp_lg_u32 s18, 0
	s_cbranch_scc1 .LBB120_61
	s_branch .LBB120_60
.LBB120_59:
	v_dual_mov_b32 v2, v20 :: v_dual_mov_b32 v3, v21
	v_dual_mov_b32 v0, v22 :: v_dual_mov_b32 v1, v23
	s_cmp_lg_u32 s18, 0
	s_cbranch_scc1 .LBB120_61
.LBB120_60:
	s_delay_alu instid0(VALU_DEP_2) | instskip(NEXT) | instid1(VALU_DEP_2)
	v_mul_f64 v[4:5], v[16:17], -v[2:3]
	v_mul_f64 v[6:7], v[16:17], v[0:1]
	s_delay_alu instid0(VALU_DEP_2) | instskip(NEXT) | instid1(VALU_DEP_2)
	v_fma_f64 v[0:1], v[0:1], v[18:19], v[4:5]
	v_fma_f64 v[2:3], v[2:3], v[18:19], v[6:7]
.LBB120_61:
	s_and_saveexec_b32 s1, s0
	s_cbranch_execz .LBB120_63
; %bb.62:
	s_lshl_b64 s[2:3], s[14:15], 4
	s_delay_alu instid0(SALU_CYCLE_1)
	v_add_co_u32 v4, vcc_lo, v24, s2
	v_add_co_ci_u32_e32 v5, vcc_lo, s3, v25, vcc_lo
	global_store_b128 v[4:5], v[0:3], off
.LBB120_63:
	s_or_b32 exec_lo, exec_lo, s1
	s_waitcnt_vscnt null, 0x0
	buffer_gl1_inv
	buffer_gl0_inv
	s_barrier
	buffer_gl0_inv
	s_mov_b32 s0, exec_lo
	v_cmpx_eq_u32_e32 0, v8
	s_cbranch_execz .LBB120_65
; %bb.64:
	s_lshl_b64 s[0:1], s[12:13], 2
	v_dual_mov_b32 v0, 0 :: v_dual_mov_b32 v1, 1
	s_add_u32 s2, s6, s0
	s_addc_u32 s3, s7, s1
	s_lshl_b64 s[0:1], s[4:5], 2
	s_delay_alu instid0(SALU_CYCLE_1)
	s_add_u32 s0, s2, s0
	s_addc_u32 s1, s3, s1
	global_store_b32 v0, v1, s[0:1]
.LBB120_65:
	s_nop 0
	s_sendmsg sendmsg(MSG_DEALLOC_VGPRS)
	s_endpgm
.LBB120_66:
                                        ; implicit-def: $sgpr24_sgpr25
	s_load_b64 s[22:23], s[2:3], 0x40
	s_branch .LBB120_4
	.section	.rodata,"a",@progbits
	.p2align	6, 0x0
	.amdhsa_kernel _ZN9rocsparseL5csrsmILj512ELj64ELb1Ell21rocsparse_complex_numIdEEEv20rocsparse_operation_T3_S4_NS_24const_host_device_scalarIT4_EEPKT2_PKS4_PKS6_PS6_lPiSC_PS4_21rocsparse_index_base_20rocsparse_fill_mode_20rocsparse_diag_type_b
		.amdhsa_group_segment_fixed_size 16384
		.amdhsa_private_segment_fixed_size 0
		.amdhsa_kernarg_size 120
		.amdhsa_user_sgpr_count 15
		.amdhsa_user_sgpr_dispatch_ptr 1
		.amdhsa_user_sgpr_queue_ptr 0
		.amdhsa_user_sgpr_kernarg_segment_ptr 1
		.amdhsa_user_sgpr_dispatch_id 0
		.amdhsa_user_sgpr_private_segment_size 0
		.amdhsa_wavefront_size32 1
		.amdhsa_uses_dynamic_stack 0
		.amdhsa_enable_private_segment 0
		.amdhsa_system_sgpr_workgroup_id_x 1
		.amdhsa_system_sgpr_workgroup_id_y 0
		.amdhsa_system_sgpr_workgroup_id_z 0
		.amdhsa_system_sgpr_workgroup_info 0
		.amdhsa_system_vgpr_workitem_id 2
		.amdhsa_next_free_vgpr 34
		.amdhsa_next_free_sgpr 32
		.amdhsa_reserve_vcc 1
		.amdhsa_float_round_mode_32 0
		.amdhsa_float_round_mode_16_64 0
		.amdhsa_float_denorm_mode_32 3
		.amdhsa_float_denorm_mode_16_64 3
		.amdhsa_dx10_clamp 1
		.amdhsa_ieee_mode 1
		.amdhsa_fp16_overflow 0
		.amdhsa_workgroup_processor_mode 1
		.amdhsa_memory_ordered 1
		.amdhsa_forward_progress 0
		.amdhsa_shared_vgpr_count 0
		.amdhsa_exception_fp_ieee_invalid_op 0
		.amdhsa_exception_fp_denorm_src 0
		.amdhsa_exception_fp_ieee_div_zero 0
		.amdhsa_exception_fp_ieee_overflow 0
		.amdhsa_exception_fp_ieee_underflow 0
		.amdhsa_exception_fp_ieee_inexact 0
		.amdhsa_exception_int_div_zero 0
	.end_amdhsa_kernel
	.section	.text._ZN9rocsparseL5csrsmILj512ELj64ELb1Ell21rocsparse_complex_numIdEEEv20rocsparse_operation_T3_S4_NS_24const_host_device_scalarIT4_EEPKT2_PKS4_PKS6_PS6_lPiSC_PS4_21rocsparse_index_base_20rocsparse_fill_mode_20rocsparse_diag_type_b,"axG",@progbits,_ZN9rocsparseL5csrsmILj512ELj64ELb1Ell21rocsparse_complex_numIdEEEv20rocsparse_operation_T3_S4_NS_24const_host_device_scalarIT4_EEPKT2_PKS4_PKS6_PS6_lPiSC_PS4_21rocsparse_index_base_20rocsparse_fill_mode_20rocsparse_diag_type_b,comdat
.Lfunc_end120:
	.size	_ZN9rocsparseL5csrsmILj512ELj64ELb1Ell21rocsparse_complex_numIdEEEv20rocsparse_operation_T3_S4_NS_24const_host_device_scalarIT4_EEPKT2_PKS4_PKS6_PS6_lPiSC_PS4_21rocsparse_index_base_20rocsparse_fill_mode_20rocsparse_diag_type_b, .Lfunc_end120-_ZN9rocsparseL5csrsmILj512ELj64ELb1Ell21rocsparse_complex_numIdEEEv20rocsparse_operation_T3_S4_NS_24const_host_device_scalarIT4_EEPKT2_PKS4_PKS6_PS6_lPiSC_PS4_21rocsparse_index_base_20rocsparse_fill_mode_20rocsparse_diag_type_b
                                        ; -- End function
	.section	.AMDGPU.csdata,"",@progbits
; Kernel info:
; codeLenInByte = 3268
; NumSgprs: 34
; NumVgprs: 34
; ScratchSize: 0
; MemoryBound: 1
; FloatMode: 240
; IeeeMode: 1
; LDSByteSize: 16384 bytes/workgroup (compile time only)
; SGPRBlocks: 4
; VGPRBlocks: 4
; NumSGPRsForWavesPerEU: 34
; NumVGPRsForWavesPerEU: 34
; Occupancy: 16
; WaveLimiterHint : 1
; COMPUTE_PGM_RSRC2:SCRATCH_EN: 0
; COMPUTE_PGM_RSRC2:USER_SGPR: 15
; COMPUTE_PGM_RSRC2:TRAP_HANDLER: 0
; COMPUTE_PGM_RSRC2:TGID_X_EN: 1
; COMPUTE_PGM_RSRC2:TGID_Y_EN: 0
; COMPUTE_PGM_RSRC2:TGID_Z_EN: 0
; COMPUTE_PGM_RSRC2:TIDIG_COMP_CNT: 2
	.section	.text._ZN9rocsparseL5csrsmILj512ELj64ELb0Ell21rocsparse_complex_numIdEEEv20rocsparse_operation_T3_S4_NS_24const_host_device_scalarIT4_EEPKT2_PKS4_PKS6_PS6_lPiSC_PS4_21rocsparse_index_base_20rocsparse_fill_mode_20rocsparse_diag_type_b,"axG",@progbits,_ZN9rocsparseL5csrsmILj512ELj64ELb0Ell21rocsparse_complex_numIdEEEv20rocsparse_operation_T3_S4_NS_24const_host_device_scalarIT4_EEPKT2_PKS4_PKS6_PS6_lPiSC_PS4_21rocsparse_index_base_20rocsparse_fill_mode_20rocsparse_diag_type_b,comdat
	.globl	_ZN9rocsparseL5csrsmILj512ELj64ELb0Ell21rocsparse_complex_numIdEEEv20rocsparse_operation_T3_S4_NS_24const_host_device_scalarIT4_EEPKT2_PKS4_PKS6_PS6_lPiSC_PS4_21rocsparse_index_base_20rocsparse_fill_mode_20rocsparse_diag_type_b ; -- Begin function _ZN9rocsparseL5csrsmILj512ELj64ELb0Ell21rocsparse_complex_numIdEEEv20rocsparse_operation_T3_S4_NS_24const_host_device_scalarIT4_EEPKT2_PKS4_PKS6_PS6_lPiSC_PS4_21rocsparse_index_base_20rocsparse_fill_mode_20rocsparse_diag_type_b
	.p2align	8
	.type	_ZN9rocsparseL5csrsmILj512ELj64ELb0Ell21rocsparse_complex_numIdEEEv20rocsparse_operation_T3_S4_NS_24const_host_device_scalarIT4_EEPKT2_PKS4_PKS6_PS6_lPiSC_PS4_21rocsparse_index_base_20rocsparse_fill_mode_20rocsparse_diag_type_b,@function
_ZN9rocsparseL5csrsmILj512ELj64ELb0Ell21rocsparse_complex_numIdEEEv20rocsparse_operation_T3_S4_NS_24const_host_device_scalarIT4_EEPKT2_PKS4_PKS6_PS6_lPiSC_PS4_21rocsparse_index_base_20rocsparse_fill_mode_20rocsparse_diag_type_b: ; @_ZN9rocsparseL5csrsmILj512ELj64ELb0Ell21rocsparse_complex_numIdEEEv20rocsparse_operation_T3_S4_NS_24const_host_device_scalarIT4_EEPKT2_PKS4_PKS6_PS6_lPiSC_PS4_21rocsparse_index_base_20rocsparse_fill_mode_20rocsparse_diag_type_b
; %bb.0:
	s_load_b64 s[0:1], s[0:1], 0x4
	s_load_b256 s[4:11], s[2:3], 0x8
	v_and_b32_e32 v8, 0x3ff, v0
	s_load_b128 s[16:19], s[2:3], 0x68
	v_bfe_u32 v2, v0, 10, 10
	v_bfe_u32 v0, v0, 20, 10
	s_waitcnt lgkmcnt(0)
	s_lshr_b32 s0, s0, 16
	v_mov_b32_e32 v6, s10
	s_mul_i32 s0, s0, s1
	v_mov_b32_e32 v7, s11
	v_mul_lo_u32 v1, s0, v8
	s_and_b32 s0, 1, s19
	s_delay_alu instid0(SALU_CYCLE_1) | instskip(SKIP_1) | instid1(VALU_DEP_1)
	s_cmp_eq_u32 s0, 1
	s_cselect_b32 vcc_lo, -1, 0
	v_mad_u32_u24 v1, v2, s1, v1
	s_mov_b64 s[0:1], src_shared_base
	v_dual_mov_b32 v2, s8 :: v_dual_mov_b32 v3, s9
	s_delay_alu instid0(VALU_DEP_2) | instskip(NEXT) | instid1(VALU_DEP_1)
	v_add_lshl_u32 v4, v1, v0, 3
	v_add_nc_u32_e32 v0, 0x3000, v4
	ds_store_b64 v4, v[2:3] offset:12288
	v_cndmask_b32_e32 v0, s8, v0, vcc_lo
	s_and_b32 vcc_lo, exec_lo, vcc_lo
	s_cselect_b32 s0, s1, s9
	s_delay_alu instid0(SALU_CYCLE_1)
	v_mov_b32_e32 v1, s0
	flat_load_b64 v[4:5], v[0:1]
	s_cbranch_vccnz .LBB121_2
; %bb.1:
	v_dual_mov_b32 v0, s8 :: v_dual_mov_b32 v1, s9
	flat_load_b64 v[6:7], v[0:1] offset:8
.LBB121_2:
	s_clause 0x1
	s_load_b64 s[8:9], s[2:3], 0x58
	s_load_b64 s[0:1], s[2:3], 0x28
	s_mov_b32 s10, 0
	s_mov_b32 s11, s5
	s_delay_alu instid0(SALU_CYCLE_1)
	s_cmp_lg_u64 s[10:11], 0
	s_cbranch_scc0 .LBB121_63
; %bb.3:
	s_ashr_i32 s12, s5, 31
	s_delay_alu instid0(SALU_CYCLE_1) | instskip(SKIP_2) | instid1(SALU_CYCLE_1)
	s_add_u32 s20, s4, s12
	s_mov_b32 s13, s12
	s_addc_u32 s21, s5, s12
	s_xor_b64 s[20:21], s[20:21], s[12:13]
	s_delay_alu instid0(SALU_CYCLE_1) | instskip(SKIP_3) | instid1(VALU_DEP_1)
	v_cvt_f32_u32_e32 v0, s20
	v_cvt_f32_u32_e32 v1, s21
	s_sub_u32 s19, 0, s20
	s_subb_u32 s22, 0, s21
	v_fmamk_f32 v0, v1, 0x4f800000, v0
	s_delay_alu instid0(VALU_DEP_1) | instskip(SKIP_2) | instid1(VALU_DEP_1)
	v_rcp_f32_e32 v0, v0
	s_waitcnt_depctr 0xfff
	v_mul_f32_e32 v0, 0x5f7ffffc, v0
	v_mul_f32_e32 v1, 0x2f800000, v0
	s_delay_alu instid0(VALU_DEP_1) | instskip(NEXT) | instid1(VALU_DEP_1)
	v_trunc_f32_e32 v1, v1
	v_fmamk_f32 v0, v1, 0xcf800000, v0
	v_cvt_u32_f32_e32 v1, v1
	s_delay_alu instid0(VALU_DEP_2) | instskip(NEXT) | instid1(VALU_DEP_2)
	v_cvt_u32_f32_e32 v0, v0
	v_readfirstlane_b32 s11, v1
	s_delay_alu instid0(VALU_DEP_2) | instskip(NEXT) | instid1(VALU_DEP_2)
	v_readfirstlane_b32 s14, v0
	s_mul_i32 s23, s19, s11
	s_delay_alu instid0(VALU_DEP_1)
	s_mul_hi_u32 s25, s19, s14
	s_mul_i32 s24, s22, s14
	s_add_i32 s23, s25, s23
	s_mul_i32 s26, s19, s14
	s_add_i32 s23, s23, s24
	s_mul_hi_u32 s25, s14, s26
	s_mul_hi_u32 s27, s11, s26
	s_mul_i32 s24, s11, s26
	s_mul_hi_u32 s26, s14, s23
	s_mul_i32 s14, s14, s23
	s_mul_hi_u32 s28, s11, s23
	s_add_u32 s14, s25, s14
	s_addc_u32 s25, 0, s26
	s_add_u32 s14, s14, s24
	s_mul_i32 s23, s11, s23
	s_addc_u32 s14, s25, s27
	s_addc_u32 s24, s28, 0
	s_add_u32 s14, s14, s23
	s_addc_u32 s23, 0, s24
	v_add_co_u32 v0, s14, v0, s14
	s_delay_alu instid0(VALU_DEP_1) | instskip(SKIP_1) | instid1(VALU_DEP_1)
	s_cmp_lg_u32 s14, 0
	s_addc_u32 s11, s11, s23
	v_readfirstlane_b32 s14, v0
	s_mul_i32 s23, s19, s11
	s_delay_alu instid0(VALU_DEP_1)
	s_mul_hi_u32 s24, s19, s14
	s_mul_i32 s22, s22, s14
	s_add_i32 s23, s24, s23
	s_mul_i32 s19, s19, s14
	s_add_i32 s23, s23, s22
	s_mul_hi_u32 s24, s11, s19
	s_mul_i32 s25, s11, s19
	s_mul_hi_u32 s19, s14, s19
	s_mul_hi_u32 s26, s14, s23
	s_mul_i32 s14, s14, s23
	s_mul_hi_u32 s22, s11, s23
	s_add_u32 s14, s19, s14
	s_addc_u32 s19, 0, s26
	s_add_u32 s14, s14, s25
	s_mul_i32 s23, s11, s23
	s_addc_u32 s14, s19, s24
	s_addc_u32 s19, s22, 0
	s_add_u32 s14, s14, s23
	s_addc_u32 s19, 0, s19
	v_add_co_u32 v0, s14, v0, s14
	s_delay_alu instid0(VALU_DEP_1) | instskip(SKIP_1) | instid1(VALU_DEP_1)
	s_cmp_lg_u32 s14, 0
	s_addc_u32 s11, s11, s19
	v_readfirstlane_b32 s14, v0
	s_mul_i32 s19, s15, s11
	s_mul_hi_u32 s11, s15, s11
	s_delay_alu instid0(VALU_DEP_1) | instskip(NEXT) | instid1(SALU_CYCLE_1)
	s_mul_hi_u32 s14, s15, s14
	s_add_u32 s14, s14, s19
	s_addc_u32 s11, 0, s11
	s_add_u32 s14, s14, 0
	s_addc_u32 s11, s11, 0
	s_addc_u32 s14, 0, 0
	s_add_u32 s11, s11, 0
	s_addc_u32 s14, 0, s14
	s_mul_hi_u32 s19, s20, s11
	s_mul_i32 s23, s20, s14
	s_mul_i32 s24, s20, s11
	s_add_i32 s19, s19, s23
	v_sub_co_u32 v0, s23, s15, s24
	s_mul_i32 s22, s21, s11
	s_delay_alu instid0(SALU_CYCLE_1) | instskip(NEXT) | instid1(VALU_DEP_1)
	s_add_i32 s19, s19, s22
	v_sub_co_u32 v1, s24, v0, s20
	s_sub_i32 s22, 0, s19
	s_cmp_lg_u32 s23, 0
	s_subb_u32 s22, s22, s21
	s_cmp_lg_u32 s24, 0
	v_readfirstlane_b32 s24, v1
	s_subb_u32 s22, s22, 0
	s_delay_alu instid0(SALU_CYCLE_1) | instskip(SKIP_1) | instid1(VALU_DEP_1)
	s_cmp_ge_u32 s22, s21
	s_cselect_b32 s25, -1, 0
	s_cmp_ge_u32 s24, s20
	s_cselect_b32 s24, -1, 0
	s_cmp_eq_u32 s22, s21
	s_cselect_b32 s22, s24, s25
	s_add_u32 s24, s11, 1
	s_addc_u32 s25, s14, 0
	s_add_u32 s26, s11, 2
	s_addc_u32 s27, s14, 0
	s_cmp_lg_u32 s22, 0
	s_cselect_b32 s22, s26, s24
	s_cselect_b32 s24, s27, s25
	s_cmp_lg_u32 s23, 0
	v_readfirstlane_b32 s23, v0
	s_subb_u32 s19, 0, s19
	s_delay_alu instid0(SALU_CYCLE_1) | instskip(SKIP_1) | instid1(VALU_DEP_1)
	s_cmp_ge_u32 s19, s21
	s_cselect_b32 s25, -1, 0
	s_cmp_ge_u32 s23, s20
	s_cselect_b32 s20, -1, 0
	s_cmp_eq_u32 s19, s21
	s_cselect_b32 s19, s20, s25
	s_delay_alu instid0(SALU_CYCLE_1) | instskip(SKIP_2) | instid1(SALU_CYCLE_1)
	s_cmp_lg_u32 s19, 0
	s_cselect_b32 s21, s24, s14
	s_cselect_b32 s20, s22, s11
	s_xor_b64 s[20:21], s[20:21], s[12:13]
	s_delay_alu instid0(SALU_CYCLE_1)
	s_sub_u32 s24, s20, s12
	s_subb_u32 s25, s21, s12
	s_load_b64 s[22:23], s[2:3], 0x40
	s_and_not1_b32 vcc_lo, exec_lo, s10
	s_cbranch_vccnz .LBB121_5
.LBB121_4:
	v_cvt_f32_u32_e32 v0, s4
	s_sub_i32 s11, 0, s4
	s_mov_b32 s25, 0
	s_delay_alu instid0(VALU_DEP_1) | instskip(SKIP_2) | instid1(VALU_DEP_1)
	v_rcp_iflag_f32_e32 v0, v0
	s_waitcnt_depctr 0xfff
	v_mul_f32_e32 v0, 0x4f7ffffe, v0
	v_cvt_u32_f32_e32 v0, v0
	s_delay_alu instid0(VALU_DEP_1) | instskip(NEXT) | instid1(VALU_DEP_1)
	v_readfirstlane_b32 s10, v0
	s_mul_i32 s11, s11, s10
	s_delay_alu instid0(SALU_CYCLE_1) | instskip(NEXT) | instid1(SALU_CYCLE_1)
	s_mul_hi_u32 s11, s10, s11
	s_add_i32 s10, s10, s11
	s_delay_alu instid0(SALU_CYCLE_1) | instskip(NEXT) | instid1(SALU_CYCLE_1)
	s_mul_hi_u32 s10, s15, s10
	s_mul_i32 s11, s10, s4
	s_add_i32 s12, s10, 1
	s_sub_i32 s11, s15, s11
	s_delay_alu instid0(SALU_CYCLE_1)
	s_sub_i32 s13, s11, s4
	s_cmp_ge_u32 s11, s4
	s_cselect_b32 s10, s12, s10
	s_cselect_b32 s11, s13, s11
	s_add_i32 s12, s10, 1
	s_cmp_ge_u32 s11, s4
	s_cselect_b32 s24, s12, s10
.LBB121_5:
	s_delay_alu instid0(SALU_CYCLE_1)
	s_mul_i32 s5, s24, s5
	s_mul_hi_u32 s10, s24, s4
	s_load_b32 s19, s[2:3], 0x0
	s_add_i32 s5, s10, s5
	s_mul_i32 s10, s25, s4
	s_mul_i32 s4, s24, s4
	s_add_i32 s5, s5, s10
	s_sub_u32 s10, s15, s4
	s_subb_u32 s11, 0, s5
	s_delay_alu instid0(SALU_CYCLE_1)
	s_lshl_b64 s[10:11], s[10:11], 3
	s_waitcnt lgkmcnt(0)
	s_add_u32 s8, s8, s10
	s_addc_u32 s9, s9, s11
	s_load_b64 s[12:13], s[8:9], 0x0
	s_load_b64 s[20:21], s[2:3], 0x48
	s_waitcnt lgkmcnt(0)
	s_lshl_b64 s[8:9], s[12:13], 3
	s_mul_i32 s14, s12, s20
	s_add_u32 s0, s0, s8
	s_addc_u32 s1, s1, s9
	s_lshl_b64 s[24:25], s[24:25], 9
	s_load_b128 s[8:11], s[0:1], 0x0
	v_or_b32_e32 v9, s24, v8
	s_mul_i32 s0, s12, s21
	s_mul_hi_u32 s1, s12, s20
	v_mov_b32_e32 v10, s25
	v_mov_b32_e32 v0, s25
	s_add_i32 s0, s1, s0
	s_mul_i32 s1, s13, s20
	v_add_co_u32 v11, vcc_lo, v9, s14
	s_add_i32 s15, s0, s1
	v_cmp_gt_i64_e64 s0, s[6:7], v[9:10]
	v_add_co_ci_u32_e32 v12, vcc_lo, s15, v0, vcc_lo
	s_cmpk_lg_i32 s19, 0x71
	s_cbranch_scc0 .LBB121_9
; %bb.6:
	v_mov_b32_e32 v2, 0
	v_mov_b32_e32 v3, 0
	s_delay_alu instid0(VALU_DEP_1)
	v_dual_mov_b32 v0, v2 :: v_dual_mov_b32 v1, v3
	s_and_saveexec_b32 s1, s0
	s_cbranch_execz .LBB121_8
; %bb.7:
	v_lshlrev_b64 v[0:1], 4, v[11:12]
	s_delay_alu instid0(VALU_DEP_1) | instskip(NEXT) | instid1(VALU_DEP_2)
	v_add_co_u32 v0, vcc_lo, s22, v0
	v_add_co_ci_u32_e32 v1, vcc_lo, s23, v1, vcc_lo
	global_load_b128 v[13:16], v[0:1], off
	s_waitcnt vmcnt(0)
	v_mul_f64 v[0:1], v[15:16], -v[6:7]
	v_mul_f64 v[2:3], v[4:5], v[15:16]
	s_delay_alu instid0(VALU_DEP_2) | instskip(NEXT) | instid1(VALU_DEP_2)
	v_fma_f64 v[0:1], v[4:5], v[13:14], v[0:1]
	v_fma_f64 v[2:3], v[6:7], v[13:14], v[2:3]
.LBB121_8:
	s_or_b32 exec_lo, exec_lo, s1
	s_load_b64 s[6:7], s[2:3], 0x50
	s_cbranch_execz .LBB121_10
	s_branch .LBB121_13
.LBB121_9:
                                        ; implicit-def: $vgpr2_vgpr3
	s_load_b64 s[6:7], s[2:3], 0x50
.LBB121_10:
	v_mov_b32_e32 v2, 0
	v_mov_b32_e32 v3, 0
	s_delay_alu instid0(VALU_DEP_1)
	v_dual_mov_b32 v0, v2 :: v_dual_mov_b32 v1, v3
	s_and_saveexec_b32 s1, s0
	s_cbranch_execz .LBB121_12
; %bb.11:
	v_lshlrev_b64 v[0:1], 4, v[11:12]
	s_delay_alu instid0(VALU_DEP_1) | instskip(NEXT) | instid1(VALU_DEP_2)
	v_add_co_u32 v0, vcc_lo, s22, v0
	v_add_co_ci_u32_e32 v1, vcc_lo, s23, v1, vcc_lo
	global_load_b128 v[11:14], v[0:1], off
	s_waitcnt vmcnt(0)
	v_mul_f64 v[0:1], v[6:7], v[13:14]
	v_mul_f64 v[2:3], v[4:5], -v[13:14]
	s_delay_alu instid0(VALU_DEP_2) | instskip(NEXT) | instid1(VALU_DEP_2)
	v_fma_f64 v[0:1], v[4:5], v[11:12], v[0:1]
	v_fma_f64 v[2:3], v[6:7], v[11:12], v[2:3]
.LBB121_12:
	s_or_b32 exec_lo, exec_lo, s1
.LBB121_13:
	s_waitcnt vmcnt(0)
	v_lshlrev_b64 v[4:5], 4, v[9:10]
	s_waitcnt lgkmcnt(0)
	v_cmp_ge_i64_e64 s1, s[8:9], s[10:11]
	s_delay_alu instid0(VALU_DEP_2) | instskip(NEXT) | instid1(VALU_DEP_3)
	v_add_co_u32 v24, vcc_lo, s22, v4
	v_add_co_ci_u32_e32 v25, vcc_lo, s23, v5, vcc_lo
	s_delay_alu instid0(VALU_DEP_3)
	s_and_b32 vcc_lo, exec_lo, s1
	v_cmp_eq_u32_e64 s1, 0, v8
	s_cbranch_vccnz .LBB121_55
; %bb.14:
	s_clause 0x1
	s_load_b128 s[24:27], s[2:3], 0x30
	s_load_b64 s[22:23], s[2:3], 0x60
	v_dual_mov_b32 v9, 0 :: v_dual_lshlrev_b32 v4, 3, v8
	s_lshl_b64 s[2:3], s[4:5], 2
	v_dual_mov_b32 v10, 0 :: v_dual_lshlrev_b32 v5, 4, v8
	s_add_u32 s19, s6, s2
	s_addc_u32 s28, s7, s3
	s_sub_u32 s8, s8, s16
	s_subb_u32 s9, s9, 0
	s_sub_u32 s10, s10, s16
	s_subb_u32 s11, s11, 0
	v_dual_mov_b32 v12, 0 :: v_dual_lshlrev_b32 v31, 4, v8
	v_lshl_or_b32 v26, v8, 3, 0x2000
	s_cmp_eq_u32 s18, 0
	v_mov_b32_e32 v11, 0
	v_mov_b32_e32 v13, 0x3ff00000
	s_cselect_b32 s29, -1, 0
	s_waitcnt lgkmcnt(0)
	v_add_co_u32 v27, s2, s24, v4
	s_delay_alu instid0(VALU_DEP_1) | instskip(SKIP_1) | instid1(VALU_DEP_1)
	v_add_co_ci_u32_e64 v28, null, s25, 0, s2
	v_add_co_u32 v29, s2, s26, v5
	v_add_co_ci_u32_e64 v30, null, s27, 0, s2
	s_add_u32 s24, s12, s16
	s_addc_u32 s25, s13, 0
	s_mov_b64 s[26:27], s[8:9]
	s_branch .LBB121_17
.LBB121_15:                             ;   in Loop: Header=BB121_17 Depth=1
	s_add_u32 s26, s26, 1
	s_addc_u32 s27, s27, 0
	s_delay_alu instid0(SALU_CYCLE_1)
	v_cmp_ge_i64_e64 s3, s[26:27], s[10:11]
.LBB121_16:                             ;   in Loop: Header=BB121_17 Depth=1
	s_delay_alu instid0(VALU_DEP_3) | instskip(NEXT) | instid1(VALU_DEP_4)
	v_dual_mov_b32 v2, v20 :: v_dual_mov_b32 v3, v21
	v_dual_mov_b32 v0, v22 :: v_dual_mov_b32 v1, v23
	s_delay_alu instid0(VALU_DEP_4) | instskip(NEXT) | instid1(VALU_DEP_4)
	v_dual_mov_b32 v10, v16 :: v_dual_mov_b32 v11, v17
	v_dual_mov_b32 v12, v18 :: v_dual_mov_b32 v13, v19
	s_and_not1_b32 vcc_lo, exec_lo, s3
	s_cbranch_vccz .LBB121_56
.LBB121_17:                             ; =>This Loop Header: Depth=1
                                        ;     Child Loop BB121_46 Depth 2
	s_sub_i32 s2, s26, s8
	s_delay_alu instid0(SALU_CYCLE_1) | instskip(NEXT) | instid1(SALU_CYCLE_1)
	s_and_b32 s2, s2, 0x1ff
	s_cmp_lg_u32 s2, 0
	s_cbranch_scc1 .LBB121_21
; %bb.18:                               ;   in Loop: Header=BB121_17 Depth=1
	v_mov_b32_e32 v14, -1
	v_dual_mov_b32 v15, -1 :: v_dual_mov_b32 v6, 0
	v_dual_mov_b32 v4, 0 :: v_dual_mov_b32 v7, 0
	v_mov_b32_e32 v5, 0xbff00000
	s_sub_u32 s30, s10, s26
	s_subb_u32 s31, s11, s27
	s_mov_b32 s3, exec_lo
	v_cmpx_gt_i64_e64 s[30:31], v[8:9]
	s_cbranch_execz .LBB121_20
; %bb.19:                               ;   in Loop: Header=BB121_17 Depth=1
	s_lshl_b64 s[30:31], s[26:27], 3
	s_delay_alu instid0(SALU_CYCLE_1)
	v_add_co_u32 v4, vcc_lo, v27, s30
	v_add_co_ci_u32_e32 v5, vcc_lo, s31, v28, vcc_lo
	s_lshl_b64 s[30:31], s[26:27], 4
	global_load_b64 v[14:15], v[4:5], off
	v_add_co_u32 v4, vcc_lo, v29, s30
	v_add_co_ci_u32_e32 v5, vcc_lo, s31, v30, vcc_lo
	global_load_b128 v[4:7], v[4:5], off
	s_waitcnt vmcnt(1)
	v_sub_co_u32 v14, vcc_lo, v14, s16
	v_subrev_co_ci_u32_e32 v15, vcc_lo, 0, v15, vcc_lo
.LBB121_20:                             ;   in Loop: Header=BB121_17 Depth=1
	s_or_b32 exec_lo, exec_lo, s3
	ds_store_b64 v26, v[14:15]
	s_waitcnt vmcnt(0)
	ds_store_b128 v31, v[4:7]
.LBB121_21:                             ;   in Loop: Header=BB121_17 Depth=1
	s_lshl_b32 s3, s2, 4
	s_waitcnt lgkmcnt(0)
	v_mov_b32_e32 v4, s3
	s_waitcnt_vscnt null, 0x0
	s_barrier
	buffer_gl0_inv
	s_lshl_b32 s2, s2, 3
	ds_load_b128 v[16:19], v4
	v_mov_b32_e32 v4, s2
	ds_load_b64 v[14:15], v4 offset:8192
	s_waitcnt lgkmcnt(1)
	v_cmp_eq_f64_e32 vcc_lo, 0, v[16:17]
	v_cmp_eq_f64_e64 s3, 0, v[18:19]
	s_waitcnt lgkmcnt(0)
	v_cmp_eq_u64_e64 s2, s[12:13], v[14:15]
	v_cmp_ne_u64_e64 s9, s[12:13], v[14:15]
	s_delay_alu instid0(VALU_DEP_3)
	s_and_b32 s3, vcc_lo, s3
	s_delay_alu instid0(VALU_DEP_2) | instid1(SALU_CYCLE_1)
	s_and_b32 s3, s3, s2
	s_delay_alu instid0(SALU_CYCLE_1) | instskip(NEXT) | instid1(SALU_CYCLE_1)
	s_and_b32 s3, s29, s3
	v_cndmask_b32_e64 v5, v19, 0, s3
	v_cndmask_b32_e64 v4, v18, 0, s3
	;; [unrolled: 1-line block ×4, first 2 shown]
	s_and_b32 s30, s1, s3
	s_delay_alu instid0(SALU_CYCLE_1)
	s_and_saveexec_b32 s3, s30
	s_cbranch_execz .LBB121_25
; %bb.22:                               ;   in Loop: Header=BB121_17 Depth=1
	v_mbcnt_lo_u32_b32 v4, exec_lo, 0
	s_mov_b32 s30, exec_lo
	s_delay_alu instid0(VALU_DEP_1)
	v_cmpx_eq_u32_e32 0, v4
	s_cbranch_execz .LBB121_24
; %bb.23:                               ;   in Loop: Header=BB121_17 Depth=1
	v_dual_mov_b32 v4, s24 :: v_dual_mov_b32 v5, s25
	global_atomic_min_u64 v9, v[4:5], s[22:23]
.LBB121_24:                             ;   in Loop: Header=BB121_17 Depth=1
	s_or_b32 exec_lo, exec_lo, s30
	v_mov_b32_e32 v4, 0
	v_dual_mov_b32 v5, 0 :: v_dual_mov_b32 v6, 0
	v_mov_b32_e32 v7, 0x3ff00000
.LBB121_25:                             ;   in Loop: Header=BB121_17 Depth=1
	s_or_b32 exec_lo, exec_lo, s3
	s_cmp_lt_i32 s17, 1
	s_mov_b32 s3, 0
	s_cbranch_scc1 .LBB121_31
; %bb.26:                               ;   in Loop: Header=BB121_17 Depth=1
	s_cmp_eq_u32 s17, 1
	s_cbranch_scc0 .LBB121_32
; %bb.27:                               ;   in Loop: Header=BB121_17 Depth=1
	v_cmp_le_i64_e32 vcc_lo, s[12:13], v[14:15]
	v_dual_mov_b32 v17, v11 :: v_dual_mov_b32 v16, v10
	v_dual_mov_b32 v19, v13 :: v_dual_mov_b32 v18, v12
	s_mov_b32 s30, 0
	s_cbranch_vccz .LBB121_34
; %bb.28:                               ;   in Loop: Header=BB121_17 Depth=1
	s_and_b32 vcc_lo, exec_lo, s2
	s_cbranch_vccz .LBB121_33
; %bb.29:                               ;   in Loop: Header=BB121_17 Depth=1
	v_dual_mov_b32 v17, v11 :: v_dual_mov_b32 v16, v10
	v_dual_mov_b32 v19, v13 :: v_dual_mov_b32 v18, v12
	s_and_not1_b32 vcc_lo, exec_lo, s29
	s_cbranch_vccnz .LBB121_34
; %bb.30:                               ;   in Loop: Header=BB121_17 Depth=1
	v_mul_f64 v[16:17], v[4:5], v[4:5]
	s_delay_alu instid0(VALU_DEP_1) | instskip(NEXT) | instid1(VALU_DEP_1)
	v_fma_f64 v[16:17], v[6:7], v[6:7], v[16:17]
	v_div_scale_f64 v[18:19], null, v[16:17], v[16:17], 1.0
	v_div_scale_f64 v[32:33], vcc_lo, 1.0, v[16:17], 1.0
	s_delay_alu instid0(VALU_DEP_2) | instskip(SKIP_2) | instid1(VALU_DEP_1)
	v_rcp_f64_e32 v[20:21], v[18:19]
	s_waitcnt_depctr 0xfff
	v_fma_f64 v[22:23], -v[18:19], v[20:21], 1.0
	v_fma_f64 v[20:21], v[20:21], v[22:23], v[20:21]
	s_delay_alu instid0(VALU_DEP_1) | instskip(NEXT) | instid1(VALU_DEP_1)
	v_fma_f64 v[22:23], -v[18:19], v[20:21], 1.0
	v_fma_f64 v[20:21], v[20:21], v[22:23], v[20:21]
	s_delay_alu instid0(VALU_DEP_1) | instskip(NEXT) | instid1(VALU_DEP_1)
	v_mul_f64 v[22:23], v[32:33], v[20:21]
	v_fma_f64 v[18:19], -v[18:19], v[22:23], v[32:33]
	s_delay_alu instid0(VALU_DEP_1) | instskip(SKIP_2) | instid1(VALU_DEP_3)
	v_div_fmas_f64 v[18:19], v[18:19], v[20:21], v[22:23]
	v_fma_f64 v[20:21], v[4:5], 0, v[6:7]
	v_fma_f64 v[22:23], v[6:7], 0, -v[4:5]
	v_div_fixup_f64 v[16:17], v[18:19], v[16:17], 1.0
	s_delay_alu instid0(VALU_DEP_1) | instskip(NEXT) | instid1(VALU_DEP_3)
	v_mul_f64 v[18:19], v[20:21], v[16:17]
	v_mul_f64 v[16:17], v[22:23], v[16:17]
	s_branch .LBB121_34
.LBB121_31:                             ;   in Loop: Header=BB121_17 Depth=1
	s_mov_b32 s30, 0
                                        ; implicit-def: $sgpr2
                                        ; implicit-def: $vgpr20_vgpr21
                                        ; implicit-def: $vgpr22_vgpr23
                                        ; implicit-def: $vgpr16_vgpr17
                                        ; implicit-def: $vgpr18_vgpr19
	s_cbranch_execnz .LBB121_35
	s_branch .LBB121_37
.LBB121_32:                             ;   in Loop: Header=BB121_17 Depth=1
	s_mov_b32 s30, -1
                                        ; implicit-def: $sgpr2
                                        ; implicit-def: $vgpr20_vgpr21
                                        ; implicit-def: $vgpr22_vgpr23
                                        ; implicit-def: $vgpr16_vgpr17
                                        ; implicit-def: $vgpr18_vgpr19
	s_branch .LBB121_37
.LBB121_33:                             ;   in Loop: Header=BB121_17 Depth=1
	s_mov_b32 s30, -1
                                        ; implicit-def: $vgpr16_vgpr17
                                        ; implicit-def: $vgpr18_vgpr19
.LBB121_34:                             ;   in Loop: Header=BB121_17 Depth=1
	v_dual_mov_b32 v21, v3 :: v_dual_mov_b32 v20, v2
	v_dual_mov_b32 v23, v1 :: v_dual_mov_b32 v22, v0
	s_mov_b32 s2, 4
	s_branch .LBB121_37
.LBB121_35:                             ;   in Loop: Header=BB121_17 Depth=1
	s_cmp_eq_u32 s17, 0
	s_cbranch_scc1 .LBB121_41
; %bb.36:                               ;   in Loop: Header=BB121_17 Depth=1
	s_mov_b32 s30, -1
                                        ; implicit-def: $sgpr2
                                        ; implicit-def: $vgpr20_vgpr21
                                        ; implicit-def: $vgpr22_vgpr23
                                        ; implicit-def: $vgpr16_vgpr17
                                        ; implicit-def: $vgpr18_vgpr19
.LBB121_37:                             ;   in Loop: Header=BB121_17 Depth=1
	s_delay_alu instid0(SALU_CYCLE_1)
	s_and_b32 vcc_lo, exec_lo, s30
	s_cbranch_vccnz .LBB121_44
.LBB121_38:                             ;   in Loop: Header=BB121_17 Depth=1
	s_and_b32 vcc_lo, exec_lo, s3
	s_cbranch_vccnz .LBB121_50
.LBB121_39:                             ;   in Loop: Header=BB121_17 Depth=1
	s_cmp_gt_i32 s2, 3
	s_mov_b32 s3, -1
	s_cbranch_scc1 .LBB121_53
.LBB121_40:                             ;   in Loop: Header=BB121_17 Depth=1
	s_cmp_eq_u32 s2, 0
	s_cselect_b32 s2, -1, 0
	s_delay_alu instid0(SALU_CYCLE_1)
	s_and_not1_b32 vcc_lo, exec_lo, s2
	s_cbranch_vccz .LBB121_15
	s_branch .LBB121_54
.LBB121_41:                             ;   in Loop: Header=BB121_17 Depth=1
	v_cmp_ge_i64_e32 vcc_lo, s[12:13], v[14:15]
	s_mov_b32 s30, 0
	s_cbranch_vccz .LBB121_43
; %bb.42:                               ;   in Loop: Header=BB121_17 Depth=1
	s_mov_b32 s3, -1
	s_mov_b32 s30, s9
.LBB121_43:                             ;   in Loop: Header=BB121_17 Depth=1
	v_dual_mov_b32 v21, v3 :: v_dual_mov_b32 v20, v2
	v_dual_mov_b32 v23, v1 :: v_dual_mov_b32 v22, v0
	;; [unrolled: 1-line block ×4, first 2 shown]
	s_mov_b32 s2, 2
	s_and_b32 vcc_lo, exec_lo, s30
	s_cbranch_vccz .LBB121_38
.LBB121_44:                             ;   in Loop: Header=BB121_17 Depth=1
	s_and_saveexec_b32 s2, s1
	s_cbranch_execz .LBB121_47
; %bb.45:                               ;   in Loop: Header=BB121_17 Depth=1
	v_lshlrev_b64 v[16:17], 2, v[14:15]
	s_delay_alu instid0(VALU_DEP_1) | instskip(NEXT) | instid1(VALU_DEP_2)
	v_add_co_u32 v16, vcc_lo, s19, v16
	v_add_co_ci_u32_e32 v17, vcc_lo, s28, v17, vcc_lo
	global_load_b32 v18, v[16:17], off glc
	s_waitcnt vmcnt(0)
	v_cmp_ne_u32_e32 vcc_lo, 0, v18
	s_cbranch_vccnz .LBB121_47
.LBB121_46:                             ;   Parent Loop BB121_17 Depth=1
                                        ; =>  This Inner Loop Header: Depth=2
	global_load_b32 v18, v[16:17], off glc
	s_waitcnt vmcnt(0)
	v_cmp_eq_u32_e32 vcc_lo, 0, v18
	s_cbranch_vccnz .LBB121_46
.LBB121_47:                             ;   in Loop: Header=BB121_17 Depth=1
	s_or_b32 exec_lo, exec_lo, s2
	v_mov_b32_e32 v20, 0
	v_mov_b32_e32 v21, 0
	s_waitcnt_vscnt null, 0x0
	s_barrier
	buffer_gl0_inv
	buffer_gl1_inv
	buffer_gl0_inv
	v_dual_mov_b32 v23, v21 :: v_dual_mov_b32 v22, v20
	s_and_saveexec_b32 s2, s0
	s_cbranch_execz .LBB121_49
; %bb.48:                               ;   in Loop: Header=BB121_17 Depth=1
	v_mul_lo_u32 v16, v14, s21
	v_mul_hi_u32 v17, v14, s20
	v_mul_lo_u32 v15, v15, s20
	v_mul_lo_u32 v14, v14, s20
	s_delay_alu instid0(VALU_DEP_3) | instskip(NEXT) | instid1(VALU_DEP_1)
	v_add_nc_u32_e32 v16, v17, v16
	v_add_nc_u32_e32 v15, v16, v15
	s_delay_alu instid0(VALU_DEP_1) | instskip(NEXT) | instid1(VALU_DEP_1)
	v_lshlrev_b64 v[14:15], 4, v[14:15]
	v_add_co_u32 v14, vcc_lo, v24, v14
	s_delay_alu instid0(VALU_DEP_2) | instskip(SKIP_4) | instid1(VALU_DEP_2)
	v_add_co_ci_u32_e32 v15, vcc_lo, v25, v15, vcc_lo
	global_load_b128 v[14:17], v[14:15], off
	s_waitcnt vmcnt(0)
	v_fma_f64 v[18:19], -v[6:7], v[14:15], v[0:1]
	v_fma_f64 v[14:15], -v[4:5], v[14:15], v[2:3]
	v_fma_f64 v[22:23], v[4:5], v[16:17], v[18:19]
	s_delay_alu instid0(VALU_DEP_2)
	v_fma_f64 v[20:21], -v[6:7], v[16:17], v[14:15]
.LBB121_49:                             ;   in Loop: Header=BB121_17 Depth=1
	s_or_b32 exec_lo, exec_lo, s2
	v_dual_mov_b32 v17, v11 :: v_dual_mov_b32 v16, v10
	v_dual_mov_b32 v19, v13 :: v_dual_mov_b32 v18, v12
	s_mov_b32 s2, 0
	s_branch .LBB121_39
.LBB121_50:                             ;   in Loop: Header=BB121_17 Depth=1
	s_and_not1_b32 vcc_lo, exec_lo, s29
	s_cbranch_vccnz .LBB121_52
; %bb.51:                               ;   in Loop: Header=BB121_17 Depth=1
	v_mul_f64 v[10:11], v[4:5], v[4:5]
	s_delay_alu instid0(VALU_DEP_1) | instskip(NEXT) | instid1(VALU_DEP_1)
	v_fma_f64 v[10:11], v[6:7], v[6:7], v[10:11]
	v_div_scale_f64 v[12:13], null, v[10:11], v[10:11], 1.0
	v_div_scale_f64 v[18:19], vcc_lo, 1.0, v[10:11], 1.0
	s_delay_alu instid0(VALU_DEP_2) | instskip(SKIP_2) | instid1(VALU_DEP_1)
	v_rcp_f64_e32 v[14:15], v[12:13]
	s_waitcnt_depctr 0xfff
	v_fma_f64 v[16:17], -v[12:13], v[14:15], 1.0
	v_fma_f64 v[14:15], v[14:15], v[16:17], v[14:15]
	s_delay_alu instid0(VALU_DEP_1) | instskip(NEXT) | instid1(VALU_DEP_1)
	v_fma_f64 v[16:17], -v[12:13], v[14:15], 1.0
	v_fma_f64 v[14:15], v[14:15], v[16:17], v[14:15]
	s_delay_alu instid0(VALU_DEP_1) | instskip(NEXT) | instid1(VALU_DEP_1)
	v_mul_f64 v[16:17], v[18:19], v[14:15]
	v_fma_f64 v[12:13], -v[12:13], v[16:17], v[18:19]
	s_delay_alu instid0(VALU_DEP_1) | instskip(SKIP_2) | instid1(VALU_DEP_3)
	v_div_fmas_f64 v[12:13], v[12:13], v[14:15], v[16:17]
	v_fma_f64 v[14:15], v[4:5], 0, v[6:7]
	v_fma_f64 v[4:5], v[6:7], 0, -v[4:5]
	v_div_fixup_f64 v[10:11], v[12:13], v[10:11], 1.0
	s_delay_alu instid0(VALU_DEP_1) | instskip(NEXT) | instid1(VALU_DEP_3)
	v_mul_f64 v[12:13], v[14:15], v[10:11]
	v_mul_f64 v[10:11], v[4:5], v[10:11]
.LBB121_52:                             ;   in Loop: Header=BB121_17 Depth=1
	s_delay_alu instid0(VALU_DEP_2) | instskip(NEXT) | instid1(VALU_DEP_2)
	v_dual_mov_b32 v19, v13 :: v_dual_mov_b32 v18, v12
	v_dual_mov_b32 v17, v11 :: v_dual_mov_b32 v16, v10
	;; [unrolled: 1-line block ×4, first 2 shown]
	s_mov_b32 s2, 2
	s_delay_alu instid0(SALU_CYCLE_1)
	s_cmp_gt_i32 s2, 3
	s_mov_b32 s3, -1
	s_cbranch_scc0 .LBB121_40
.LBB121_53:                             ;   in Loop: Header=BB121_17 Depth=1
	s_branch .LBB121_15
.LBB121_54:                             ;   in Loop: Header=BB121_17 Depth=1
                                        ; implicit-def: $sgpr26_sgpr27
	s_branch .LBB121_16
.LBB121_55:
	v_mov_b32_e32 v16, 0
	v_dual_mov_b32 v17, 0 :: v_dual_mov_b32 v18, 0
	v_mov_b32_e32 v19, 0x3ff00000
	s_cmp_lg_u32 s18, 0
	s_cbranch_scc1 .LBB121_58
	s_branch .LBB121_57
.LBB121_56:
	v_dual_mov_b32 v2, v20 :: v_dual_mov_b32 v3, v21
	v_dual_mov_b32 v0, v22 :: v_dual_mov_b32 v1, v23
	s_cmp_lg_u32 s18, 0
	s_cbranch_scc1 .LBB121_58
.LBB121_57:
	s_delay_alu instid0(VALU_DEP_2) | instskip(NEXT) | instid1(VALU_DEP_2)
	v_mul_f64 v[4:5], v[16:17], -v[2:3]
	v_mul_f64 v[6:7], v[16:17], v[0:1]
	s_delay_alu instid0(VALU_DEP_2) | instskip(NEXT) | instid1(VALU_DEP_2)
	v_fma_f64 v[0:1], v[0:1], v[18:19], v[4:5]
	v_fma_f64 v[2:3], v[2:3], v[18:19], v[6:7]
.LBB121_58:
	s_and_saveexec_b32 s1, s0
	s_cbranch_execz .LBB121_60
; %bb.59:
	s_lshl_b64 s[2:3], s[14:15], 4
	s_delay_alu instid0(SALU_CYCLE_1)
	v_add_co_u32 v4, vcc_lo, v24, s2
	v_add_co_ci_u32_e32 v5, vcc_lo, s3, v25, vcc_lo
	global_store_b128 v[4:5], v[0:3], off
.LBB121_60:
	s_or_b32 exec_lo, exec_lo, s1
	s_waitcnt_vscnt null, 0x0
	buffer_gl1_inv
	buffer_gl0_inv
	s_barrier
	buffer_gl0_inv
	s_mov_b32 s0, exec_lo
	v_cmpx_eq_u32_e32 0, v8
	s_cbranch_execz .LBB121_62
; %bb.61:
	s_lshl_b64 s[0:1], s[12:13], 2
	v_dual_mov_b32 v0, 0 :: v_dual_mov_b32 v1, 1
	s_add_u32 s2, s6, s0
	s_addc_u32 s3, s7, s1
	s_lshl_b64 s[0:1], s[4:5], 2
	s_delay_alu instid0(SALU_CYCLE_1)
	s_add_u32 s0, s2, s0
	s_addc_u32 s1, s3, s1
	global_store_b32 v0, v1, s[0:1]
.LBB121_62:
	s_nop 0
	s_sendmsg sendmsg(MSG_DEALLOC_VGPRS)
	s_endpgm
.LBB121_63:
                                        ; implicit-def: $sgpr24_sgpr25
	s_load_b64 s[22:23], s[2:3], 0x40
	s_branch .LBB121_4
	.section	.rodata,"a",@progbits
	.p2align	6, 0x0
	.amdhsa_kernel _ZN9rocsparseL5csrsmILj512ELj64ELb0Ell21rocsparse_complex_numIdEEEv20rocsparse_operation_T3_S4_NS_24const_host_device_scalarIT4_EEPKT2_PKS4_PKS6_PS6_lPiSC_PS4_21rocsparse_index_base_20rocsparse_fill_mode_20rocsparse_diag_type_b
		.amdhsa_group_segment_fixed_size 16384
		.amdhsa_private_segment_fixed_size 0
		.amdhsa_kernarg_size 120
		.amdhsa_user_sgpr_count 15
		.amdhsa_user_sgpr_dispatch_ptr 1
		.amdhsa_user_sgpr_queue_ptr 0
		.amdhsa_user_sgpr_kernarg_segment_ptr 1
		.amdhsa_user_sgpr_dispatch_id 0
		.amdhsa_user_sgpr_private_segment_size 0
		.amdhsa_wavefront_size32 1
		.amdhsa_uses_dynamic_stack 0
		.amdhsa_enable_private_segment 0
		.amdhsa_system_sgpr_workgroup_id_x 1
		.amdhsa_system_sgpr_workgroup_id_y 0
		.amdhsa_system_sgpr_workgroup_id_z 0
		.amdhsa_system_sgpr_workgroup_info 0
		.amdhsa_system_vgpr_workitem_id 2
		.amdhsa_next_free_vgpr 34
		.amdhsa_next_free_sgpr 32
		.amdhsa_reserve_vcc 1
		.amdhsa_float_round_mode_32 0
		.amdhsa_float_round_mode_16_64 0
		.amdhsa_float_denorm_mode_32 3
		.amdhsa_float_denorm_mode_16_64 3
		.amdhsa_dx10_clamp 1
		.amdhsa_ieee_mode 1
		.amdhsa_fp16_overflow 0
		.amdhsa_workgroup_processor_mode 1
		.amdhsa_memory_ordered 1
		.amdhsa_forward_progress 0
		.amdhsa_shared_vgpr_count 0
		.amdhsa_exception_fp_ieee_invalid_op 0
		.amdhsa_exception_fp_denorm_src 0
		.amdhsa_exception_fp_ieee_div_zero 0
		.amdhsa_exception_fp_ieee_overflow 0
		.amdhsa_exception_fp_ieee_underflow 0
		.amdhsa_exception_fp_ieee_inexact 0
		.amdhsa_exception_int_div_zero 0
	.end_amdhsa_kernel
	.section	.text._ZN9rocsparseL5csrsmILj512ELj64ELb0Ell21rocsparse_complex_numIdEEEv20rocsparse_operation_T3_S4_NS_24const_host_device_scalarIT4_EEPKT2_PKS4_PKS6_PS6_lPiSC_PS4_21rocsparse_index_base_20rocsparse_fill_mode_20rocsparse_diag_type_b,"axG",@progbits,_ZN9rocsparseL5csrsmILj512ELj64ELb0Ell21rocsparse_complex_numIdEEEv20rocsparse_operation_T3_S4_NS_24const_host_device_scalarIT4_EEPKT2_PKS4_PKS6_PS6_lPiSC_PS4_21rocsparse_index_base_20rocsparse_fill_mode_20rocsparse_diag_type_b,comdat
.Lfunc_end121:
	.size	_ZN9rocsparseL5csrsmILj512ELj64ELb0Ell21rocsparse_complex_numIdEEEv20rocsparse_operation_T3_S4_NS_24const_host_device_scalarIT4_EEPKT2_PKS4_PKS6_PS6_lPiSC_PS4_21rocsparse_index_base_20rocsparse_fill_mode_20rocsparse_diag_type_b, .Lfunc_end121-_ZN9rocsparseL5csrsmILj512ELj64ELb0Ell21rocsparse_complex_numIdEEEv20rocsparse_operation_T3_S4_NS_24const_host_device_scalarIT4_EEPKT2_PKS4_PKS6_PS6_lPiSC_PS4_21rocsparse_index_base_20rocsparse_fill_mode_20rocsparse_diag_type_b
                                        ; -- End function
	.section	.AMDGPU.csdata,"",@progbits
; Kernel info:
; codeLenInByte = 3208
; NumSgprs: 34
; NumVgprs: 34
; ScratchSize: 0
; MemoryBound: 1
; FloatMode: 240
; IeeeMode: 1
; LDSByteSize: 16384 bytes/workgroup (compile time only)
; SGPRBlocks: 4
; VGPRBlocks: 4
; NumSGPRsForWavesPerEU: 34
; NumVGPRsForWavesPerEU: 34
; Occupancy: 16
; WaveLimiterHint : 1
; COMPUTE_PGM_RSRC2:SCRATCH_EN: 0
; COMPUTE_PGM_RSRC2:USER_SGPR: 15
; COMPUTE_PGM_RSRC2:TRAP_HANDLER: 0
; COMPUTE_PGM_RSRC2:TGID_X_EN: 1
; COMPUTE_PGM_RSRC2:TGID_Y_EN: 0
; COMPUTE_PGM_RSRC2:TGID_Z_EN: 0
; COMPUTE_PGM_RSRC2:TIDIG_COMP_CNT: 2
	.section	.text._ZN9rocsparseL5csrsmILj1024ELj64ELb1Ell21rocsparse_complex_numIdEEEv20rocsparse_operation_T3_S4_NS_24const_host_device_scalarIT4_EEPKT2_PKS4_PKS6_PS6_lPiSC_PS4_21rocsparse_index_base_20rocsparse_fill_mode_20rocsparse_diag_type_b,"axG",@progbits,_ZN9rocsparseL5csrsmILj1024ELj64ELb1Ell21rocsparse_complex_numIdEEEv20rocsparse_operation_T3_S4_NS_24const_host_device_scalarIT4_EEPKT2_PKS4_PKS6_PS6_lPiSC_PS4_21rocsparse_index_base_20rocsparse_fill_mode_20rocsparse_diag_type_b,comdat
	.globl	_ZN9rocsparseL5csrsmILj1024ELj64ELb1Ell21rocsparse_complex_numIdEEEv20rocsparse_operation_T3_S4_NS_24const_host_device_scalarIT4_EEPKT2_PKS4_PKS6_PS6_lPiSC_PS4_21rocsparse_index_base_20rocsparse_fill_mode_20rocsparse_diag_type_b ; -- Begin function _ZN9rocsparseL5csrsmILj1024ELj64ELb1Ell21rocsparse_complex_numIdEEEv20rocsparse_operation_T3_S4_NS_24const_host_device_scalarIT4_EEPKT2_PKS4_PKS6_PS6_lPiSC_PS4_21rocsparse_index_base_20rocsparse_fill_mode_20rocsparse_diag_type_b
	.p2align	8
	.type	_ZN9rocsparseL5csrsmILj1024ELj64ELb1Ell21rocsparse_complex_numIdEEEv20rocsparse_operation_T3_S4_NS_24const_host_device_scalarIT4_EEPKT2_PKS4_PKS6_PS6_lPiSC_PS4_21rocsparse_index_base_20rocsparse_fill_mode_20rocsparse_diag_type_b,@function
_ZN9rocsparseL5csrsmILj1024ELj64ELb1Ell21rocsparse_complex_numIdEEEv20rocsparse_operation_T3_S4_NS_24const_host_device_scalarIT4_EEPKT2_PKS4_PKS6_PS6_lPiSC_PS4_21rocsparse_index_base_20rocsparse_fill_mode_20rocsparse_diag_type_b: ; @_ZN9rocsparseL5csrsmILj1024ELj64ELb1Ell21rocsparse_complex_numIdEEEv20rocsparse_operation_T3_S4_NS_24const_host_device_scalarIT4_EEPKT2_PKS4_PKS6_PS6_lPiSC_PS4_21rocsparse_index_base_20rocsparse_fill_mode_20rocsparse_diag_type_b
; %bb.0:
	s_load_b64 s[0:1], s[0:1], 0x4
	s_load_b256 s[4:11], s[2:3], 0x8
	v_and_b32_e32 v8, 0x3ff, v0
	s_load_b128 s[16:19], s[2:3], 0x68
	v_bfe_u32 v2, v0, 10, 10
	v_bfe_u32 v0, v0, 20, 10
	s_waitcnt lgkmcnt(0)
	s_lshr_b32 s0, s0, 16
	v_mov_b32_e32 v6, s10
	s_mul_i32 s0, s0, s1
	v_mov_b32_e32 v7, s11
	v_mul_lo_u32 v1, s0, v8
	s_and_b32 s0, 1, s19
	s_delay_alu instid0(SALU_CYCLE_1) | instskip(SKIP_1) | instid1(VALU_DEP_1)
	s_cmp_eq_u32 s0, 1
	s_cselect_b32 vcc_lo, -1, 0
	v_mad_u32_u24 v1, v2, s1, v1
	s_mov_b64 s[0:1], src_shared_base
	v_dual_mov_b32 v2, s8 :: v_dual_mov_b32 v3, s9
	s_delay_alu instid0(VALU_DEP_2) | instskip(NEXT) | instid1(VALU_DEP_1)
	v_add_lshl_u32 v4, v1, v0, 3
	v_add_nc_u32_e32 v0, 0x6000, v4
	ds_store_b64 v4, v[2:3] offset:24576
	v_cndmask_b32_e32 v0, s8, v0, vcc_lo
	s_and_b32 vcc_lo, exec_lo, vcc_lo
	s_cselect_b32 s0, s1, s9
	s_delay_alu instid0(SALU_CYCLE_1)
	v_mov_b32_e32 v1, s0
	flat_load_b64 v[4:5], v[0:1]
	s_cbranch_vccnz .LBB122_2
; %bb.1:
	v_dual_mov_b32 v0, s8 :: v_dual_mov_b32 v1, s9
	flat_load_b64 v[6:7], v[0:1] offset:8
.LBB122_2:
	s_clause 0x1
	s_load_b64 s[8:9], s[2:3], 0x58
	s_load_b64 s[0:1], s[2:3], 0x28
	s_mov_b32 s10, 0
	s_mov_b32 s11, s5
	s_delay_alu instid0(SALU_CYCLE_1)
	s_cmp_lg_u64 s[10:11], 0
	s_cbranch_scc0 .LBB122_66
; %bb.3:
	s_ashr_i32 s12, s5, 31
	s_delay_alu instid0(SALU_CYCLE_1) | instskip(SKIP_2) | instid1(SALU_CYCLE_1)
	s_add_u32 s20, s4, s12
	s_mov_b32 s13, s12
	s_addc_u32 s21, s5, s12
	s_xor_b64 s[20:21], s[20:21], s[12:13]
	s_delay_alu instid0(SALU_CYCLE_1) | instskip(SKIP_3) | instid1(VALU_DEP_1)
	v_cvt_f32_u32_e32 v0, s20
	v_cvt_f32_u32_e32 v1, s21
	s_sub_u32 s19, 0, s20
	s_subb_u32 s22, 0, s21
	v_fmamk_f32 v0, v1, 0x4f800000, v0
	s_delay_alu instid0(VALU_DEP_1) | instskip(SKIP_2) | instid1(VALU_DEP_1)
	v_rcp_f32_e32 v0, v0
	s_waitcnt_depctr 0xfff
	v_mul_f32_e32 v0, 0x5f7ffffc, v0
	v_mul_f32_e32 v1, 0x2f800000, v0
	s_delay_alu instid0(VALU_DEP_1) | instskip(NEXT) | instid1(VALU_DEP_1)
	v_trunc_f32_e32 v1, v1
	v_fmamk_f32 v0, v1, 0xcf800000, v0
	v_cvt_u32_f32_e32 v1, v1
	s_delay_alu instid0(VALU_DEP_2) | instskip(NEXT) | instid1(VALU_DEP_2)
	v_cvt_u32_f32_e32 v0, v0
	v_readfirstlane_b32 s11, v1
	s_delay_alu instid0(VALU_DEP_2) | instskip(NEXT) | instid1(VALU_DEP_2)
	v_readfirstlane_b32 s14, v0
	s_mul_i32 s23, s19, s11
	s_delay_alu instid0(VALU_DEP_1)
	s_mul_hi_u32 s25, s19, s14
	s_mul_i32 s24, s22, s14
	s_add_i32 s23, s25, s23
	s_mul_i32 s26, s19, s14
	s_add_i32 s23, s23, s24
	s_mul_hi_u32 s25, s14, s26
	s_mul_hi_u32 s27, s11, s26
	s_mul_i32 s24, s11, s26
	s_mul_hi_u32 s26, s14, s23
	s_mul_i32 s14, s14, s23
	s_mul_hi_u32 s28, s11, s23
	s_add_u32 s14, s25, s14
	s_addc_u32 s25, 0, s26
	s_add_u32 s14, s14, s24
	s_mul_i32 s23, s11, s23
	s_addc_u32 s14, s25, s27
	s_addc_u32 s24, s28, 0
	s_add_u32 s14, s14, s23
	s_addc_u32 s23, 0, s24
	v_add_co_u32 v0, s14, v0, s14
	s_delay_alu instid0(VALU_DEP_1) | instskip(SKIP_1) | instid1(VALU_DEP_1)
	s_cmp_lg_u32 s14, 0
	s_addc_u32 s11, s11, s23
	v_readfirstlane_b32 s14, v0
	s_mul_i32 s23, s19, s11
	s_delay_alu instid0(VALU_DEP_1)
	s_mul_hi_u32 s24, s19, s14
	s_mul_i32 s22, s22, s14
	s_add_i32 s23, s24, s23
	s_mul_i32 s19, s19, s14
	s_add_i32 s23, s23, s22
	s_mul_hi_u32 s24, s11, s19
	s_mul_i32 s25, s11, s19
	s_mul_hi_u32 s19, s14, s19
	s_mul_hi_u32 s26, s14, s23
	s_mul_i32 s14, s14, s23
	s_mul_hi_u32 s22, s11, s23
	s_add_u32 s14, s19, s14
	s_addc_u32 s19, 0, s26
	s_add_u32 s14, s14, s25
	s_mul_i32 s23, s11, s23
	s_addc_u32 s14, s19, s24
	s_addc_u32 s19, s22, 0
	s_add_u32 s14, s14, s23
	s_addc_u32 s19, 0, s19
	v_add_co_u32 v0, s14, v0, s14
	s_delay_alu instid0(VALU_DEP_1) | instskip(SKIP_1) | instid1(VALU_DEP_1)
	s_cmp_lg_u32 s14, 0
	s_addc_u32 s11, s11, s19
	v_readfirstlane_b32 s14, v0
	s_mul_i32 s19, s15, s11
	s_mul_hi_u32 s11, s15, s11
	s_delay_alu instid0(VALU_DEP_1) | instskip(NEXT) | instid1(SALU_CYCLE_1)
	s_mul_hi_u32 s14, s15, s14
	s_add_u32 s14, s14, s19
	s_addc_u32 s11, 0, s11
	s_add_u32 s14, s14, 0
	s_addc_u32 s11, s11, 0
	s_addc_u32 s14, 0, 0
	s_add_u32 s11, s11, 0
	s_addc_u32 s14, 0, s14
	s_mul_hi_u32 s19, s20, s11
	s_mul_i32 s23, s20, s14
	s_mul_i32 s24, s20, s11
	s_add_i32 s19, s19, s23
	v_sub_co_u32 v0, s23, s15, s24
	s_mul_i32 s22, s21, s11
	s_delay_alu instid0(SALU_CYCLE_1) | instskip(NEXT) | instid1(VALU_DEP_1)
	s_add_i32 s19, s19, s22
	v_sub_co_u32 v1, s24, v0, s20
	s_sub_i32 s22, 0, s19
	s_cmp_lg_u32 s23, 0
	s_subb_u32 s22, s22, s21
	s_cmp_lg_u32 s24, 0
	v_readfirstlane_b32 s24, v1
	s_subb_u32 s22, s22, 0
	s_delay_alu instid0(SALU_CYCLE_1) | instskip(SKIP_1) | instid1(VALU_DEP_1)
	s_cmp_ge_u32 s22, s21
	s_cselect_b32 s25, -1, 0
	s_cmp_ge_u32 s24, s20
	s_cselect_b32 s24, -1, 0
	s_cmp_eq_u32 s22, s21
	s_cselect_b32 s22, s24, s25
	s_add_u32 s24, s11, 1
	s_addc_u32 s25, s14, 0
	s_add_u32 s26, s11, 2
	s_addc_u32 s27, s14, 0
	s_cmp_lg_u32 s22, 0
	s_cselect_b32 s22, s26, s24
	s_cselect_b32 s24, s27, s25
	s_cmp_lg_u32 s23, 0
	v_readfirstlane_b32 s23, v0
	s_subb_u32 s19, 0, s19
	s_delay_alu instid0(SALU_CYCLE_1) | instskip(SKIP_1) | instid1(VALU_DEP_1)
	s_cmp_ge_u32 s19, s21
	s_cselect_b32 s25, -1, 0
	s_cmp_ge_u32 s23, s20
	s_cselect_b32 s20, -1, 0
	s_cmp_eq_u32 s19, s21
	s_cselect_b32 s19, s20, s25
	s_delay_alu instid0(SALU_CYCLE_1) | instskip(SKIP_2) | instid1(SALU_CYCLE_1)
	s_cmp_lg_u32 s19, 0
	s_cselect_b32 s21, s24, s14
	s_cselect_b32 s20, s22, s11
	s_xor_b64 s[20:21], s[20:21], s[12:13]
	s_delay_alu instid0(SALU_CYCLE_1)
	s_sub_u32 s22, s20, s12
	s_subb_u32 s23, s21, s12
	s_load_b64 s[12:13], s[2:3], 0x40
	s_and_not1_b32 vcc_lo, exec_lo, s10
	s_cbranch_vccnz .LBB122_5
.LBB122_4:
	v_cvt_f32_u32_e32 v0, s4
	s_sub_i32 s11, 0, s4
	s_mov_b32 s23, 0
	s_delay_alu instid0(VALU_DEP_1) | instskip(SKIP_2) | instid1(VALU_DEP_1)
	v_rcp_iflag_f32_e32 v0, v0
	s_waitcnt_depctr 0xfff
	v_mul_f32_e32 v0, 0x4f7ffffe, v0
	v_cvt_u32_f32_e32 v0, v0
	s_delay_alu instid0(VALU_DEP_1) | instskip(NEXT) | instid1(VALU_DEP_1)
	v_readfirstlane_b32 s10, v0
	s_mul_i32 s11, s11, s10
	s_delay_alu instid0(SALU_CYCLE_1) | instskip(NEXT) | instid1(SALU_CYCLE_1)
	s_mul_hi_u32 s11, s10, s11
	s_add_i32 s10, s10, s11
	s_delay_alu instid0(SALU_CYCLE_1) | instskip(NEXT) | instid1(SALU_CYCLE_1)
	s_mul_hi_u32 s10, s15, s10
	s_mul_i32 s11, s10, s4
	s_add_i32 s14, s10, 1
	s_sub_i32 s11, s15, s11
	s_delay_alu instid0(SALU_CYCLE_1)
	s_sub_i32 s19, s11, s4
	s_cmp_ge_u32 s11, s4
	s_cselect_b32 s10, s14, s10
	s_cselect_b32 s11, s19, s11
	s_add_i32 s14, s10, 1
	s_cmp_ge_u32 s11, s4
	s_cselect_b32 s22, s14, s10
.LBB122_5:
	s_delay_alu instid0(SALU_CYCLE_1)
	s_mul_i32 s5, s22, s5
	s_mul_hi_u32 s10, s22, s4
	s_load_b32 s19, s[2:3], 0x0
	s_add_i32 s5, s10, s5
	s_mul_i32 s10, s23, s4
	s_mul_i32 s4, s22, s4
	s_add_i32 s5, s5, s10
	s_sub_u32 s10, s15, s4
	s_subb_u32 s11, 0, s5
	s_delay_alu instid0(SALU_CYCLE_1)
	s_lshl_b64 s[10:11], s[10:11], 3
	s_waitcnt lgkmcnt(0)
	s_add_u32 s8, s8, s10
	s_addc_u32 s9, s9, s11
	s_load_b64 s[14:15], s[8:9], 0x0
	s_load_b64 s[20:21], s[2:3], 0x48
	s_waitcnt lgkmcnt(0)
	s_lshl_b64 s[8:9], s[14:15], 3
	s_delay_alu instid0(SALU_CYCLE_1)
	s_add_u32 s0, s0, s8
	s_addc_u32 s1, s1, s9
	s_lshl_b64 s[22:23], s[22:23], 10
	s_load_b128 s[8:11], s[0:1], 0x0
	v_or_b32_e32 v12, s22, v8
	v_mov_b32_e32 v13, s23
	s_mul_i32 s1, s15, s20
	s_mul_i32 s22, s14, s21
	s_cmpk_lg_i32 s19, 0x71
	s_delay_alu instid0(VALU_DEP_1) | instskip(SKIP_1) | instid1(VALU_DEP_2)
	v_mad_u64_u32 v[10:11], null, s14, s20, v[12:13]
	v_cmp_gt_i64_e64 s0, s[6:7], v[12:13]
	v_add3_u32 v11, s22, s1, v11
	s_cbranch_scc0 .LBB122_54
; %bb.6:
	v_mov_b32_e32 v2, 0
	v_mov_b32_e32 v3, 0
	s_delay_alu instid0(VALU_DEP_1)
	v_dual_mov_b32 v0, v2 :: v_dual_mov_b32 v1, v3
	s_and_saveexec_b32 s1, s0
	s_cbranch_execz .LBB122_8
; %bb.7:
	v_lshlrev_b64 v[0:1], 4, v[10:11]
	s_delay_alu instid0(VALU_DEP_1) | instskip(NEXT) | instid1(VALU_DEP_2)
	v_add_co_u32 v0, vcc_lo, s12, v0
	v_add_co_ci_u32_e32 v1, vcc_lo, s13, v1, vcc_lo
	global_load_b128 v[14:17], v[0:1], off
	s_waitcnt vmcnt(0)
	v_mul_f64 v[0:1], v[16:17], -v[6:7]
	v_mul_f64 v[2:3], v[4:5], v[16:17]
	s_delay_alu instid0(VALU_DEP_2) | instskip(NEXT) | instid1(VALU_DEP_2)
	v_fma_f64 v[0:1], v[4:5], v[14:15], v[0:1]
	v_fma_f64 v[2:3], v[6:7], v[14:15], v[2:3]
.LBB122_8:
	s_or_b32 exec_lo, exec_lo, s1
	s_load_b64 s[6:7], s[2:3], 0x50
	s_cbranch_execz .LBB122_55
; %bb.9:
	s_waitcnt lgkmcnt(0)
	v_cmp_ge_i64_e64 s1, s[8:9], s[10:11]
	s_delay_alu instid0(VALU_DEP_1)
	s_and_b32 vcc_lo, exec_lo, s1
	v_cmp_eq_u32_e64 s1, 0, v8
	s_cbranch_vccnz .LBB122_58
.LBB122_10:
	s_clause 0x1
	s_load_b128 s[24:27], s[2:3], 0x30
	s_load_b64 s[22:23], s[2:3], 0x60
	s_waitcnt vmcnt(0)
	v_dual_mov_b32 v9, 0 :: v_dual_lshlrev_b32 v6, 3, v8
	v_lshlrev_b64 v[4:5], 4, v[12:13]
	s_lshl_b64 s[2:3], s[4:5], 2
	v_dual_mov_b32 v12, 0 :: v_dual_lshlrev_b32 v7, 4, v8
	s_add_u32 s19, s6, s2
	s_addc_u32 s28, s7, s3
	s_sub_u32 s8, s8, s16
	s_subb_u32 s9, s9, 0
	v_add_co_u32 v26, vcc_lo, s12, v4
	s_sub_u32 s10, s10, s16
	s_subb_u32 s11, s11, 0
	v_dual_mov_b32 v14, 0 :: v_dual_lshlrev_b32 v33, 4, v8
	v_add_co_ci_u32_e32 v27, vcc_lo, s13, v5, vcc_lo
	s_waitcnt lgkmcnt(0)
	v_add_co_u32 v28, s2, s24, v6
	s_delay_alu instid0(VALU_DEP_1) | instskip(SKIP_1) | instid1(VALU_DEP_1)
	v_add_co_ci_u32_e64 v29, null, s25, 0, s2
	v_add_co_u32 v30, s2, s26, v7
	v_add_co_ci_u32_e64 v31, null, s27, 0, s2
	v_lshl_or_b32 v32, v8, 3, 0x4000
	s_cmp_eq_u32 s18, 0
	v_mov_b32_e32 v13, 0
	v_mov_b32_e32 v15, 0x3ff00000
	s_cselect_b32 s29, -1, 0
	s_add_u32 s24, s14, s16
	s_addc_u32 s25, s15, 0
	s_mov_b64 s[26:27], s[8:9]
	s_branch .LBB122_13
.LBB122_11:                             ;   in Loop: Header=BB122_13 Depth=1
	s_add_u32 s26, s26, 1
	s_addc_u32 s27, s27, 0
	s_delay_alu instid0(SALU_CYCLE_1)
	v_cmp_ge_i64_e64 s3, s[26:27], s[10:11]
.LBB122_12:                             ;   in Loop: Header=BB122_13 Depth=1
	s_delay_alu instid0(VALU_DEP_3) | instskip(NEXT) | instid1(VALU_DEP_4)
	v_dual_mov_b32 v2, v22 :: v_dual_mov_b32 v3, v23
	v_dual_mov_b32 v0, v24 :: v_dual_mov_b32 v1, v25
	s_delay_alu instid0(VALU_DEP_4) | instskip(NEXT) | instid1(VALU_DEP_4)
	v_dual_mov_b32 v12, v18 :: v_dual_mov_b32 v13, v19
	v_dual_mov_b32 v14, v20 :: v_dual_mov_b32 v15, v21
	s_and_not1_b32 vcc_lo, exec_lo, s3
	s_cbranch_vccz .LBB122_59
.LBB122_13:                             ; =>This Loop Header: Depth=1
                                        ;     Child Loop BB122_52 Depth 2
                                        ;       Child Loop BB122_53 Depth 3
	s_sub_i32 s2, s26, s8
	s_delay_alu instid0(SALU_CYCLE_1) | instskip(NEXT) | instid1(SALU_CYCLE_1)
	s_and_b32 s2, s2, 0x3ff
	s_cmp_lg_u32 s2, 0
	s_cbranch_scc1 .LBB122_17
; %bb.14:                               ;   in Loop: Header=BB122_13 Depth=1
	v_mov_b32_e32 v16, -1
	v_dual_mov_b32 v17, -1 :: v_dual_mov_b32 v6, 0
	v_dual_mov_b32 v4, 0 :: v_dual_mov_b32 v7, 0
	v_mov_b32_e32 v5, 0xbff00000
	s_sub_u32 s30, s10, s26
	s_subb_u32 s31, s11, s27
	s_mov_b32 s3, exec_lo
	v_cmpx_gt_i64_e64 s[30:31], v[8:9]
	s_cbranch_execz .LBB122_16
; %bb.15:                               ;   in Loop: Header=BB122_13 Depth=1
	s_lshl_b64 s[30:31], s[26:27], 3
	s_delay_alu instid0(SALU_CYCLE_1)
	v_add_co_u32 v4, vcc_lo, v28, s30
	v_add_co_ci_u32_e32 v5, vcc_lo, s31, v29, vcc_lo
	s_lshl_b64 s[30:31], s[26:27], 4
	global_load_b64 v[16:17], v[4:5], off
	v_add_co_u32 v4, vcc_lo, v30, s30
	v_add_co_ci_u32_e32 v5, vcc_lo, s31, v31, vcc_lo
	global_load_b128 v[4:7], v[4:5], off
	s_waitcnt vmcnt(1)
	v_sub_co_u32 v16, vcc_lo, v16, s16
	v_subrev_co_ci_u32_e32 v17, vcc_lo, 0, v17, vcc_lo
.LBB122_16:                             ;   in Loop: Header=BB122_13 Depth=1
	s_or_b32 exec_lo, exec_lo, s3
	ds_store_b64 v32, v[16:17]
	s_waitcnt vmcnt(0)
	ds_store_b128 v33, v[4:7]
.LBB122_17:                             ;   in Loop: Header=BB122_13 Depth=1
	s_lshl_b32 s3, s2, 4
	s_waitcnt lgkmcnt(0)
	v_mov_b32_e32 v4, s3
	s_waitcnt_vscnt null, 0x0
	s_barrier
	buffer_gl0_inv
	s_lshl_b32 s2, s2, 3
	ds_load_b128 v[18:21], v4
	v_mov_b32_e32 v4, s2
	ds_load_b64 v[16:17], v4 offset:16384
	s_waitcnt lgkmcnt(1)
	v_cmp_eq_f64_e32 vcc_lo, 0, v[18:19]
	v_cmp_eq_f64_e64 s3, 0, v[20:21]
	s_waitcnt lgkmcnt(0)
	v_cmp_eq_u64_e64 s2, s[14:15], v[16:17]
	v_cmp_ne_u64_e64 s9, s[14:15], v[16:17]
	s_delay_alu instid0(VALU_DEP_3)
	s_and_b32 s3, vcc_lo, s3
	s_delay_alu instid0(VALU_DEP_2) | instid1(SALU_CYCLE_1)
	s_and_b32 s3, s3, s2
	s_delay_alu instid0(SALU_CYCLE_1) | instskip(NEXT) | instid1(SALU_CYCLE_1)
	s_and_b32 s3, s29, s3
	v_cndmask_b32_e64 v5, v21, 0, s3
	v_cndmask_b32_e64 v4, v20, 0, s3
	;; [unrolled: 1-line block ×4, first 2 shown]
	s_and_b32 s30, s1, s3
	s_delay_alu instid0(SALU_CYCLE_1)
	s_and_saveexec_b32 s3, s30
	s_cbranch_execz .LBB122_21
; %bb.18:                               ;   in Loop: Header=BB122_13 Depth=1
	v_mbcnt_lo_u32_b32 v4, exec_lo, 0
	s_mov_b32 s30, exec_lo
	s_delay_alu instid0(VALU_DEP_1)
	v_cmpx_eq_u32_e32 0, v4
	s_cbranch_execz .LBB122_20
; %bb.19:                               ;   in Loop: Header=BB122_13 Depth=1
	v_dual_mov_b32 v4, s24 :: v_dual_mov_b32 v5, s25
	global_atomic_min_u64 v9, v[4:5], s[22:23]
.LBB122_20:                             ;   in Loop: Header=BB122_13 Depth=1
	s_or_b32 exec_lo, exec_lo, s30
	v_mov_b32_e32 v4, 0
	v_dual_mov_b32 v5, 0 :: v_dual_mov_b32 v6, 0
	v_mov_b32_e32 v7, 0x3ff00000
.LBB122_21:                             ;   in Loop: Header=BB122_13 Depth=1
	s_or_b32 exec_lo, exec_lo, s3
	s_cmp_lt_i32 s17, 1
	s_mov_b32 s3, 0
	s_cbranch_scc1 .LBB122_27
; %bb.22:                               ;   in Loop: Header=BB122_13 Depth=1
	s_cmp_eq_u32 s17, 1
	s_cbranch_scc0 .LBB122_28
; %bb.23:                               ;   in Loop: Header=BB122_13 Depth=1
	v_cmp_le_i64_e32 vcc_lo, s[14:15], v[16:17]
	v_dual_mov_b32 v19, v13 :: v_dual_mov_b32 v18, v12
	v_dual_mov_b32 v21, v15 :: v_dual_mov_b32 v20, v14
	s_mov_b32 s30, 0
	s_cbranch_vccz .LBB122_30
; %bb.24:                               ;   in Loop: Header=BB122_13 Depth=1
	s_and_b32 vcc_lo, exec_lo, s2
	s_cbranch_vccz .LBB122_29
; %bb.25:                               ;   in Loop: Header=BB122_13 Depth=1
	v_dual_mov_b32 v19, v13 :: v_dual_mov_b32 v18, v12
	v_dual_mov_b32 v21, v15 :: v_dual_mov_b32 v20, v14
	s_and_not1_b32 vcc_lo, exec_lo, s29
	s_cbranch_vccnz .LBB122_30
; %bb.26:                               ;   in Loop: Header=BB122_13 Depth=1
	v_mul_f64 v[18:19], v[4:5], v[4:5]
	s_delay_alu instid0(VALU_DEP_1) | instskip(NEXT) | instid1(VALU_DEP_1)
	v_fma_f64 v[18:19], v[6:7], v[6:7], v[18:19]
	v_div_scale_f64 v[20:21], null, v[18:19], v[18:19], 1.0
	v_div_scale_f64 v[34:35], vcc_lo, 1.0, v[18:19], 1.0
	s_delay_alu instid0(VALU_DEP_2) | instskip(SKIP_2) | instid1(VALU_DEP_1)
	v_rcp_f64_e32 v[22:23], v[20:21]
	s_waitcnt_depctr 0xfff
	v_fma_f64 v[24:25], -v[20:21], v[22:23], 1.0
	v_fma_f64 v[22:23], v[22:23], v[24:25], v[22:23]
	s_delay_alu instid0(VALU_DEP_1) | instskip(NEXT) | instid1(VALU_DEP_1)
	v_fma_f64 v[24:25], -v[20:21], v[22:23], 1.0
	v_fma_f64 v[22:23], v[22:23], v[24:25], v[22:23]
	s_delay_alu instid0(VALU_DEP_1) | instskip(NEXT) | instid1(VALU_DEP_1)
	v_mul_f64 v[24:25], v[34:35], v[22:23]
	v_fma_f64 v[20:21], -v[20:21], v[24:25], v[34:35]
	s_delay_alu instid0(VALU_DEP_1) | instskip(SKIP_2) | instid1(VALU_DEP_3)
	v_div_fmas_f64 v[20:21], v[20:21], v[22:23], v[24:25]
	v_fma_f64 v[22:23], v[4:5], 0, v[6:7]
	v_fma_f64 v[24:25], v[6:7], 0, -v[4:5]
	v_div_fixup_f64 v[18:19], v[20:21], v[18:19], 1.0
	s_delay_alu instid0(VALU_DEP_1) | instskip(NEXT) | instid1(VALU_DEP_3)
	v_mul_f64 v[20:21], v[22:23], v[18:19]
	v_mul_f64 v[18:19], v[24:25], v[18:19]
	s_branch .LBB122_30
.LBB122_27:                             ;   in Loop: Header=BB122_13 Depth=1
	s_mov_b32 s30, 0
                                        ; implicit-def: $sgpr2
                                        ; implicit-def: $vgpr22_vgpr23
                                        ; implicit-def: $vgpr24_vgpr25
                                        ; implicit-def: $vgpr18_vgpr19
                                        ; implicit-def: $vgpr20_vgpr21
	s_cbranch_execnz .LBB122_31
	s_branch .LBB122_33
.LBB122_28:                             ;   in Loop: Header=BB122_13 Depth=1
	s_mov_b32 s30, -1
                                        ; implicit-def: $sgpr2
                                        ; implicit-def: $vgpr22_vgpr23
                                        ; implicit-def: $vgpr24_vgpr25
                                        ; implicit-def: $vgpr18_vgpr19
                                        ; implicit-def: $vgpr20_vgpr21
	s_branch .LBB122_33
.LBB122_29:                             ;   in Loop: Header=BB122_13 Depth=1
	s_mov_b32 s30, -1
                                        ; implicit-def: $vgpr18_vgpr19
                                        ; implicit-def: $vgpr20_vgpr21
.LBB122_30:                             ;   in Loop: Header=BB122_13 Depth=1
	v_dual_mov_b32 v23, v3 :: v_dual_mov_b32 v22, v2
	v_dual_mov_b32 v25, v1 :: v_dual_mov_b32 v24, v0
	s_mov_b32 s2, 4
	s_branch .LBB122_33
.LBB122_31:                             ;   in Loop: Header=BB122_13 Depth=1
	s_cmp_eq_u32 s17, 0
	s_cbranch_scc1 .LBB122_37
; %bb.32:                               ;   in Loop: Header=BB122_13 Depth=1
	s_mov_b32 s30, -1
                                        ; implicit-def: $sgpr2
                                        ; implicit-def: $vgpr22_vgpr23
                                        ; implicit-def: $vgpr24_vgpr25
                                        ; implicit-def: $vgpr18_vgpr19
                                        ; implicit-def: $vgpr20_vgpr21
.LBB122_33:                             ;   in Loop: Header=BB122_13 Depth=1
	s_delay_alu instid0(SALU_CYCLE_1)
	s_and_b32 vcc_lo, exec_lo, s30
	s_cbranch_vccnz .LBB122_40
.LBB122_34:                             ;   in Loop: Header=BB122_13 Depth=1
	s_and_b32 vcc_lo, exec_lo, s3
	s_cbranch_vccnz .LBB122_45
.LBB122_35:                             ;   in Loop: Header=BB122_13 Depth=1
	s_cmp_gt_i32 s2, 3
	s_mov_b32 s3, -1
	s_cbranch_scc1 .LBB122_48
.LBB122_36:                             ;   in Loop: Header=BB122_13 Depth=1
	s_cmp_eq_u32 s2, 0
	s_cselect_b32 s2, -1, 0
	s_delay_alu instid0(SALU_CYCLE_1)
	s_and_not1_b32 vcc_lo, exec_lo, s2
	s_cbranch_vccz .LBB122_11
	s_branch .LBB122_49
.LBB122_37:                             ;   in Loop: Header=BB122_13 Depth=1
	v_cmp_ge_i64_e32 vcc_lo, s[14:15], v[16:17]
	s_mov_b32 s30, 0
	s_cbranch_vccz .LBB122_39
; %bb.38:                               ;   in Loop: Header=BB122_13 Depth=1
	s_mov_b32 s3, -1
	s_mov_b32 s30, s9
.LBB122_39:                             ;   in Loop: Header=BB122_13 Depth=1
	v_dual_mov_b32 v23, v3 :: v_dual_mov_b32 v22, v2
	v_dual_mov_b32 v25, v1 :: v_dual_mov_b32 v24, v0
	;; [unrolled: 1-line block ×4, first 2 shown]
	s_mov_b32 s2, 2
	s_and_b32 vcc_lo, exec_lo, s30
	s_cbranch_vccz .LBB122_34
.LBB122_40:                             ;   in Loop: Header=BB122_13 Depth=1
	s_and_saveexec_b32 s2, s1
	s_cbranch_execz .LBB122_42
; %bb.41:                               ;   in Loop: Header=BB122_13 Depth=1
	v_lshlrev_b64 v[18:19], 2, v[16:17]
	s_delay_alu instid0(VALU_DEP_1) | instskip(NEXT) | instid1(VALU_DEP_2)
	v_add_co_u32 v18, vcc_lo, s19, v18
	v_add_co_ci_u32_e32 v19, vcc_lo, s28, v19, vcc_lo
	global_load_b32 v20, v[18:19], off glc
	s_waitcnt vmcnt(0)
	v_cmp_ne_u32_e32 vcc_lo, 0, v20
	s_cbranch_vccz .LBB122_50
.LBB122_42:                             ;   in Loop: Header=BB122_13 Depth=1
	s_or_b32 exec_lo, exec_lo, s2
	v_mov_b32_e32 v22, 0
	v_mov_b32_e32 v23, 0
	s_waitcnt_vscnt null, 0x0
	s_barrier
	buffer_gl0_inv
	buffer_gl1_inv
	buffer_gl0_inv
	v_dual_mov_b32 v25, v23 :: v_dual_mov_b32 v24, v22
	s_and_saveexec_b32 s2, s0
	s_cbranch_execz .LBB122_44
; %bb.43:                               ;   in Loop: Header=BB122_13 Depth=1
	v_mul_lo_u32 v18, v16, s21
	v_mul_hi_u32 v19, v16, s20
	v_mul_lo_u32 v17, v17, s20
	v_mul_lo_u32 v16, v16, s20
	s_delay_alu instid0(VALU_DEP_3) | instskip(NEXT) | instid1(VALU_DEP_1)
	v_add_nc_u32_e32 v18, v19, v18
	v_add_nc_u32_e32 v17, v18, v17
	s_delay_alu instid0(VALU_DEP_1) | instskip(NEXT) | instid1(VALU_DEP_1)
	v_lshlrev_b64 v[16:17], 4, v[16:17]
	v_add_co_u32 v16, vcc_lo, v26, v16
	s_delay_alu instid0(VALU_DEP_2) | instskip(SKIP_4) | instid1(VALU_DEP_2)
	v_add_co_ci_u32_e32 v17, vcc_lo, v27, v17, vcc_lo
	global_load_b128 v[16:19], v[16:17], off
	s_waitcnt vmcnt(0)
	v_fma_f64 v[20:21], -v[6:7], v[16:17], v[0:1]
	v_fma_f64 v[16:17], -v[4:5], v[16:17], v[2:3]
	v_fma_f64 v[24:25], v[4:5], v[18:19], v[20:21]
	s_delay_alu instid0(VALU_DEP_2)
	v_fma_f64 v[22:23], -v[6:7], v[18:19], v[16:17]
.LBB122_44:                             ;   in Loop: Header=BB122_13 Depth=1
	s_or_b32 exec_lo, exec_lo, s2
	v_dual_mov_b32 v19, v13 :: v_dual_mov_b32 v18, v12
	v_dual_mov_b32 v21, v15 :: v_dual_mov_b32 v20, v14
	s_mov_b32 s2, 0
	s_branch .LBB122_35
.LBB122_45:                             ;   in Loop: Header=BB122_13 Depth=1
	s_and_not1_b32 vcc_lo, exec_lo, s29
	s_cbranch_vccnz .LBB122_47
; %bb.46:                               ;   in Loop: Header=BB122_13 Depth=1
	v_mul_f64 v[12:13], v[4:5], v[4:5]
	s_delay_alu instid0(VALU_DEP_1) | instskip(NEXT) | instid1(VALU_DEP_1)
	v_fma_f64 v[12:13], v[6:7], v[6:7], v[12:13]
	v_div_scale_f64 v[14:15], null, v[12:13], v[12:13], 1.0
	v_div_scale_f64 v[20:21], vcc_lo, 1.0, v[12:13], 1.0
	s_delay_alu instid0(VALU_DEP_2) | instskip(SKIP_2) | instid1(VALU_DEP_1)
	v_rcp_f64_e32 v[16:17], v[14:15]
	s_waitcnt_depctr 0xfff
	v_fma_f64 v[18:19], -v[14:15], v[16:17], 1.0
	v_fma_f64 v[16:17], v[16:17], v[18:19], v[16:17]
	s_delay_alu instid0(VALU_DEP_1) | instskip(NEXT) | instid1(VALU_DEP_1)
	v_fma_f64 v[18:19], -v[14:15], v[16:17], 1.0
	v_fma_f64 v[16:17], v[16:17], v[18:19], v[16:17]
	s_delay_alu instid0(VALU_DEP_1) | instskip(NEXT) | instid1(VALU_DEP_1)
	v_mul_f64 v[18:19], v[20:21], v[16:17]
	v_fma_f64 v[14:15], -v[14:15], v[18:19], v[20:21]
	s_delay_alu instid0(VALU_DEP_1) | instskip(SKIP_2) | instid1(VALU_DEP_3)
	v_div_fmas_f64 v[14:15], v[14:15], v[16:17], v[18:19]
	v_fma_f64 v[16:17], v[4:5], 0, v[6:7]
	v_fma_f64 v[4:5], v[6:7], 0, -v[4:5]
	v_div_fixup_f64 v[12:13], v[14:15], v[12:13], 1.0
	s_delay_alu instid0(VALU_DEP_1) | instskip(NEXT) | instid1(VALU_DEP_3)
	v_mul_f64 v[14:15], v[16:17], v[12:13]
	v_mul_f64 v[12:13], v[4:5], v[12:13]
.LBB122_47:                             ;   in Loop: Header=BB122_13 Depth=1
	s_delay_alu instid0(VALU_DEP_2) | instskip(NEXT) | instid1(VALU_DEP_2)
	v_dual_mov_b32 v21, v15 :: v_dual_mov_b32 v20, v14
	v_dual_mov_b32 v19, v13 :: v_dual_mov_b32 v18, v12
	;; [unrolled: 1-line block ×4, first 2 shown]
	s_mov_b32 s2, 2
	s_delay_alu instid0(SALU_CYCLE_1)
	s_cmp_gt_i32 s2, 3
	s_mov_b32 s3, -1
	s_cbranch_scc0 .LBB122_36
.LBB122_48:                             ;   in Loop: Header=BB122_13 Depth=1
	s_branch .LBB122_11
.LBB122_49:                             ;   in Loop: Header=BB122_13 Depth=1
                                        ; implicit-def: $sgpr26_sgpr27
	s_branch .LBB122_12
.LBB122_50:                             ;   in Loop: Header=BB122_13 Depth=1
	s_mov_b32 s3, 0
	s_branch .LBB122_52
	.p2align	6
.LBB122_51:                             ;   in Loop: Header=BB122_52 Depth=2
	global_load_b32 v20, v[18:19], off glc
	s_cmpk_lt_u32 s3, 0xf43
	s_cselect_b32 s9, -1, 0
	s_delay_alu instid0(SALU_CYCLE_1)
	s_cmp_lg_u32 s9, 0
	s_addc_u32 s3, s3, 0
	s_waitcnt vmcnt(0)
	v_cmp_ne_u32_e32 vcc_lo, 0, v20
	s_cbranch_vccnz .LBB122_42
.LBB122_52:                             ;   Parent Loop BB122_13 Depth=1
                                        ; =>  This Loop Header: Depth=2
                                        ;       Child Loop BB122_53 Depth 3
	s_cmp_eq_u32 s3, 0
	s_mov_b32 s9, s3
	s_cbranch_scc1 .LBB122_51
.LBB122_53:                             ;   Parent Loop BB122_13 Depth=1
                                        ;     Parent Loop BB122_52 Depth=2
                                        ; =>    This Inner Loop Header: Depth=3
	s_add_i32 s9, s9, -1
	s_sleep 1
	s_cmp_eq_u32 s9, 0
	s_cbranch_scc0 .LBB122_53
	s_branch .LBB122_51
.LBB122_54:
                                        ; implicit-def: $vgpr2_vgpr3
	s_load_b64 s[6:7], s[2:3], 0x50
.LBB122_55:
	v_mov_b32_e32 v2, 0
	v_mov_b32_e32 v3, 0
	s_delay_alu instid0(VALU_DEP_1)
	v_dual_mov_b32 v0, v2 :: v_dual_mov_b32 v1, v3
	s_and_saveexec_b32 s1, s0
	s_cbranch_execz .LBB122_57
; %bb.56:
	v_lshlrev_b64 v[0:1], 4, v[10:11]
	s_delay_alu instid0(VALU_DEP_1) | instskip(NEXT) | instid1(VALU_DEP_2)
	v_add_co_u32 v0, vcc_lo, s12, v0
	v_add_co_ci_u32_e32 v1, vcc_lo, s13, v1, vcc_lo
	global_load_b128 v[14:17], v[0:1], off
	s_waitcnt vmcnt(0)
	v_mul_f64 v[0:1], v[6:7], v[16:17]
	v_mul_f64 v[2:3], v[4:5], -v[16:17]
	s_delay_alu instid0(VALU_DEP_2) | instskip(NEXT) | instid1(VALU_DEP_2)
	v_fma_f64 v[0:1], v[4:5], v[14:15], v[0:1]
	v_fma_f64 v[2:3], v[6:7], v[14:15], v[2:3]
.LBB122_57:
	s_or_b32 exec_lo, exec_lo, s1
	s_waitcnt lgkmcnt(0)
	v_cmp_ge_i64_e64 s1, s[8:9], s[10:11]
	s_delay_alu instid0(VALU_DEP_1)
	s_and_b32 vcc_lo, exec_lo, s1
	v_cmp_eq_u32_e64 s1, 0, v8
	s_cbranch_vccz .LBB122_10
.LBB122_58:
	v_mov_b32_e32 v18, 0
	v_dual_mov_b32 v19, 0 :: v_dual_mov_b32 v20, 0
	v_mov_b32_e32 v21, 0x3ff00000
	s_cmp_lg_u32 s18, 0
	s_cbranch_scc1 .LBB122_61
	s_branch .LBB122_60
.LBB122_59:
	v_dual_mov_b32 v2, v22 :: v_dual_mov_b32 v3, v23
	v_dual_mov_b32 v0, v24 :: v_dual_mov_b32 v1, v25
	s_cmp_lg_u32 s18, 0
	s_cbranch_scc1 .LBB122_61
.LBB122_60:
	s_waitcnt vmcnt(0)
	v_mul_f64 v[4:5], v[18:19], -v[2:3]
	v_mul_f64 v[6:7], v[18:19], v[0:1]
	s_delay_alu instid0(VALU_DEP_2) | instskip(NEXT) | instid1(VALU_DEP_2)
	v_fma_f64 v[0:1], v[0:1], v[20:21], v[4:5]
	v_fma_f64 v[2:3], v[2:3], v[20:21], v[6:7]
.LBB122_61:
	s_and_saveexec_b32 s1, s0
	s_cbranch_execz .LBB122_63
; %bb.62:
	s_waitcnt vmcnt(0)
	v_lshlrev_b64 v[4:5], 4, v[10:11]
	s_delay_alu instid0(VALU_DEP_1) | instskip(NEXT) | instid1(VALU_DEP_2)
	v_add_co_u32 v4, vcc_lo, s12, v4
	v_add_co_ci_u32_e32 v5, vcc_lo, s13, v5, vcc_lo
	global_store_b128 v[4:5], v[0:3], off
.LBB122_63:
	s_or_b32 exec_lo, exec_lo, s1
	s_waitcnt vmcnt(0)
	s_waitcnt_vscnt null, 0x0
	buffer_gl1_inv
	buffer_gl0_inv
	s_barrier
	buffer_gl0_inv
	s_mov_b32 s0, exec_lo
	v_cmpx_eq_u32_e32 0, v8
	s_cbranch_execz .LBB122_65
; %bb.64:
	s_lshl_b64 s[0:1], s[14:15], 2
	v_dual_mov_b32 v0, 0 :: v_dual_mov_b32 v1, 1
	s_add_u32 s2, s6, s0
	s_addc_u32 s3, s7, s1
	s_lshl_b64 s[0:1], s[4:5], 2
	s_delay_alu instid0(SALU_CYCLE_1)
	s_add_u32 s0, s2, s0
	s_addc_u32 s1, s3, s1
	global_store_b32 v0, v1, s[0:1]
.LBB122_65:
	s_nop 0
	s_sendmsg sendmsg(MSG_DEALLOC_VGPRS)
	s_endpgm
.LBB122_66:
                                        ; implicit-def: $sgpr22_sgpr23
	s_load_b64 s[12:13], s[2:3], 0x40
	s_branch .LBB122_4
	.section	.rodata,"a",@progbits
	.p2align	6, 0x0
	.amdhsa_kernel _ZN9rocsparseL5csrsmILj1024ELj64ELb1Ell21rocsparse_complex_numIdEEEv20rocsparse_operation_T3_S4_NS_24const_host_device_scalarIT4_EEPKT2_PKS4_PKS6_PS6_lPiSC_PS4_21rocsparse_index_base_20rocsparse_fill_mode_20rocsparse_diag_type_b
		.amdhsa_group_segment_fixed_size 32768
		.amdhsa_private_segment_fixed_size 0
		.amdhsa_kernarg_size 120
		.amdhsa_user_sgpr_count 15
		.amdhsa_user_sgpr_dispatch_ptr 1
		.amdhsa_user_sgpr_queue_ptr 0
		.amdhsa_user_sgpr_kernarg_segment_ptr 1
		.amdhsa_user_sgpr_dispatch_id 0
		.amdhsa_user_sgpr_private_segment_size 0
		.amdhsa_wavefront_size32 1
		.amdhsa_uses_dynamic_stack 0
		.amdhsa_enable_private_segment 0
		.amdhsa_system_sgpr_workgroup_id_x 1
		.amdhsa_system_sgpr_workgroup_id_y 0
		.amdhsa_system_sgpr_workgroup_id_z 0
		.amdhsa_system_sgpr_workgroup_info 0
		.amdhsa_system_vgpr_workitem_id 2
		.amdhsa_next_free_vgpr 36
		.amdhsa_next_free_sgpr 32
		.amdhsa_reserve_vcc 1
		.amdhsa_float_round_mode_32 0
		.amdhsa_float_round_mode_16_64 0
		.amdhsa_float_denorm_mode_32 3
		.amdhsa_float_denorm_mode_16_64 3
		.amdhsa_dx10_clamp 1
		.amdhsa_ieee_mode 1
		.amdhsa_fp16_overflow 0
		.amdhsa_workgroup_processor_mode 1
		.amdhsa_memory_ordered 1
		.amdhsa_forward_progress 0
		.amdhsa_shared_vgpr_count 0
		.amdhsa_exception_fp_ieee_invalid_op 0
		.amdhsa_exception_fp_denorm_src 0
		.amdhsa_exception_fp_ieee_div_zero 0
		.amdhsa_exception_fp_ieee_overflow 0
		.amdhsa_exception_fp_ieee_underflow 0
		.amdhsa_exception_fp_ieee_inexact 0
		.amdhsa_exception_int_div_zero 0
	.end_amdhsa_kernel
	.section	.text._ZN9rocsparseL5csrsmILj1024ELj64ELb1Ell21rocsparse_complex_numIdEEEv20rocsparse_operation_T3_S4_NS_24const_host_device_scalarIT4_EEPKT2_PKS4_PKS6_PS6_lPiSC_PS4_21rocsparse_index_base_20rocsparse_fill_mode_20rocsparse_diag_type_b,"axG",@progbits,_ZN9rocsparseL5csrsmILj1024ELj64ELb1Ell21rocsparse_complex_numIdEEEv20rocsparse_operation_T3_S4_NS_24const_host_device_scalarIT4_EEPKT2_PKS4_PKS6_PS6_lPiSC_PS4_21rocsparse_index_base_20rocsparse_fill_mode_20rocsparse_diag_type_b,comdat
.Lfunc_end122:
	.size	_ZN9rocsparseL5csrsmILj1024ELj64ELb1Ell21rocsparse_complex_numIdEEEv20rocsparse_operation_T3_S4_NS_24const_host_device_scalarIT4_EEPKT2_PKS4_PKS6_PS6_lPiSC_PS4_21rocsparse_index_base_20rocsparse_fill_mode_20rocsparse_diag_type_b, .Lfunc_end122-_ZN9rocsparseL5csrsmILj1024ELj64ELb1Ell21rocsparse_complex_numIdEEEv20rocsparse_operation_T3_S4_NS_24const_host_device_scalarIT4_EEPKT2_PKS4_PKS6_PS6_lPiSC_PS4_21rocsparse_index_base_20rocsparse_fill_mode_20rocsparse_diag_type_b
                                        ; -- End function
	.section	.AMDGPU.csdata,"",@progbits
; Kernel info:
; codeLenInByte = 3296
; NumSgprs: 34
; NumVgprs: 36
; ScratchSize: 0
; MemoryBound: 1
; FloatMode: 240
; IeeeMode: 1
; LDSByteSize: 32768 bytes/workgroup (compile time only)
; SGPRBlocks: 4
; VGPRBlocks: 4
; NumSGPRsForWavesPerEU: 34
; NumVGPRsForWavesPerEU: 36
; Occupancy: 16
; WaveLimiterHint : 1
; COMPUTE_PGM_RSRC2:SCRATCH_EN: 0
; COMPUTE_PGM_RSRC2:USER_SGPR: 15
; COMPUTE_PGM_RSRC2:TRAP_HANDLER: 0
; COMPUTE_PGM_RSRC2:TGID_X_EN: 1
; COMPUTE_PGM_RSRC2:TGID_Y_EN: 0
; COMPUTE_PGM_RSRC2:TGID_Z_EN: 0
; COMPUTE_PGM_RSRC2:TIDIG_COMP_CNT: 2
	.section	.text._ZN9rocsparseL5csrsmILj1024ELj64ELb0Ell21rocsparse_complex_numIdEEEv20rocsparse_operation_T3_S4_NS_24const_host_device_scalarIT4_EEPKT2_PKS4_PKS6_PS6_lPiSC_PS4_21rocsparse_index_base_20rocsparse_fill_mode_20rocsparse_diag_type_b,"axG",@progbits,_ZN9rocsparseL5csrsmILj1024ELj64ELb0Ell21rocsparse_complex_numIdEEEv20rocsparse_operation_T3_S4_NS_24const_host_device_scalarIT4_EEPKT2_PKS4_PKS6_PS6_lPiSC_PS4_21rocsparse_index_base_20rocsparse_fill_mode_20rocsparse_diag_type_b,comdat
	.globl	_ZN9rocsparseL5csrsmILj1024ELj64ELb0Ell21rocsparse_complex_numIdEEEv20rocsparse_operation_T3_S4_NS_24const_host_device_scalarIT4_EEPKT2_PKS4_PKS6_PS6_lPiSC_PS4_21rocsparse_index_base_20rocsparse_fill_mode_20rocsparse_diag_type_b ; -- Begin function _ZN9rocsparseL5csrsmILj1024ELj64ELb0Ell21rocsparse_complex_numIdEEEv20rocsparse_operation_T3_S4_NS_24const_host_device_scalarIT4_EEPKT2_PKS4_PKS6_PS6_lPiSC_PS4_21rocsparse_index_base_20rocsparse_fill_mode_20rocsparse_diag_type_b
	.p2align	8
	.type	_ZN9rocsparseL5csrsmILj1024ELj64ELb0Ell21rocsparse_complex_numIdEEEv20rocsparse_operation_T3_S4_NS_24const_host_device_scalarIT4_EEPKT2_PKS4_PKS6_PS6_lPiSC_PS4_21rocsparse_index_base_20rocsparse_fill_mode_20rocsparse_diag_type_b,@function
_ZN9rocsparseL5csrsmILj1024ELj64ELb0Ell21rocsparse_complex_numIdEEEv20rocsparse_operation_T3_S4_NS_24const_host_device_scalarIT4_EEPKT2_PKS4_PKS6_PS6_lPiSC_PS4_21rocsparse_index_base_20rocsparse_fill_mode_20rocsparse_diag_type_b: ; @_ZN9rocsparseL5csrsmILj1024ELj64ELb0Ell21rocsparse_complex_numIdEEEv20rocsparse_operation_T3_S4_NS_24const_host_device_scalarIT4_EEPKT2_PKS4_PKS6_PS6_lPiSC_PS4_21rocsparse_index_base_20rocsparse_fill_mode_20rocsparse_diag_type_b
; %bb.0:
	s_load_b64 s[0:1], s[0:1], 0x4
	s_load_b256 s[4:11], s[2:3], 0x8
	v_and_b32_e32 v8, 0x3ff, v0
	s_load_b128 s[16:19], s[2:3], 0x68
	v_bfe_u32 v2, v0, 10, 10
	v_bfe_u32 v0, v0, 20, 10
	s_waitcnt lgkmcnt(0)
	s_lshr_b32 s0, s0, 16
	v_mov_b32_e32 v6, s10
	s_mul_i32 s0, s0, s1
	v_mov_b32_e32 v7, s11
	v_mul_lo_u32 v1, s0, v8
	s_and_b32 s0, 1, s19
	s_delay_alu instid0(SALU_CYCLE_1) | instskip(SKIP_1) | instid1(VALU_DEP_1)
	s_cmp_eq_u32 s0, 1
	s_cselect_b32 vcc_lo, -1, 0
	v_mad_u32_u24 v1, v2, s1, v1
	s_mov_b64 s[0:1], src_shared_base
	v_dual_mov_b32 v2, s8 :: v_dual_mov_b32 v3, s9
	s_delay_alu instid0(VALU_DEP_2) | instskip(NEXT) | instid1(VALU_DEP_1)
	v_add_lshl_u32 v4, v1, v0, 3
	v_add_nc_u32_e32 v0, 0x6000, v4
	ds_store_b64 v4, v[2:3] offset:24576
	v_cndmask_b32_e32 v0, s8, v0, vcc_lo
	s_and_b32 vcc_lo, exec_lo, vcc_lo
	s_cselect_b32 s0, s1, s9
	s_delay_alu instid0(SALU_CYCLE_1)
	v_mov_b32_e32 v1, s0
	flat_load_b64 v[4:5], v[0:1]
	s_cbranch_vccnz .LBB123_2
; %bb.1:
	v_dual_mov_b32 v0, s8 :: v_dual_mov_b32 v1, s9
	flat_load_b64 v[6:7], v[0:1] offset:8
.LBB123_2:
	s_clause 0x1
	s_load_b64 s[8:9], s[2:3], 0x58
	s_load_b64 s[0:1], s[2:3], 0x28
	s_mov_b32 s10, 0
	s_mov_b32 s11, s5
	s_delay_alu instid0(SALU_CYCLE_1)
	s_cmp_lg_u64 s[10:11], 0
	s_cbranch_scc0 .LBB123_63
; %bb.3:
	s_ashr_i32 s12, s5, 31
	s_delay_alu instid0(SALU_CYCLE_1) | instskip(SKIP_2) | instid1(SALU_CYCLE_1)
	s_add_u32 s20, s4, s12
	s_mov_b32 s13, s12
	s_addc_u32 s21, s5, s12
	s_xor_b64 s[20:21], s[20:21], s[12:13]
	s_delay_alu instid0(SALU_CYCLE_1) | instskip(SKIP_3) | instid1(VALU_DEP_1)
	v_cvt_f32_u32_e32 v0, s20
	v_cvt_f32_u32_e32 v1, s21
	s_sub_u32 s19, 0, s20
	s_subb_u32 s22, 0, s21
	v_fmamk_f32 v0, v1, 0x4f800000, v0
	s_delay_alu instid0(VALU_DEP_1) | instskip(SKIP_2) | instid1(VALU_DEP_1)
	v_rcp_f32_e32 v0, v0
	s_waitcnt_depctr 0xfff
	v_mul_f32_e32 v0, 0x5f7ffffc, v0
	v_mul_f32_e32 v1, 0x2f800000, v0
	s_delay_alu instid0(VALU_DEP_1) | instskip(NEXT) | instid1(VALU_DEP_1)
	v_trunc_f32_e32 v1, v1
	v_fmamk_f32 v0, v1, 0xcf800000, v0
	v_cvt_u32_f32_e32 v1, v1
	s_delay_alu instid0(VALU_DEP_2) | instskip(NEXT) | instid1(VALU_DEP_2)
	v_cvt_u32_f32_e32 v0, v0
	v_readfirstlane_b32 s11, v1
	s_delay_alu instid0(VALU_DEP_2) | instskip(NEXT) | instid1(VALU_DEP_2)
	v_readfirstlane_b32 s14, v0
	s_mul_i32 s23, s19, s11
	s_delay_alu instid0(VALU_DEP_1)
	s_mul_hi_u32 s25, s19, s14
	s_mul_i32 s24, s22, s14
	s_add_i32 s23, s25, s23
	s_mul_i32 s26, s19, s14
	s_add_i32 s23, s23, s24
	s_mul_hi_u32 s25, s14, s26
	s_mul_hi_u32 s27, s11, s26
	s_mul_i32 s24, s11, s26
	s_mul_hi_u32 s26, s14, s23
	s_mul_i32 s14, s14, s23
	s_mul_hi_u32 s28, s11, s23
	s_add_u32 s14, s25, s14
	s_addc_u32 s25, 0, s26
	s_add_u32 s14, s14, s24
	s_mul_i32 s23, s11, s23
	s_addc_u32 s14, s25, s27
	s_addc_u32 s24, s28, 0
	s_add_u32 s14, s14, s23
	s_addc_u32 s23, 0, s24
	v_add_co_u32 v0, s14, v0, s14
	s_delay_alu instid0(VALU_DEP_1) | instskip(SKIP_1) | instid1(VALU_DEP_1)
	s_cmp_lg_u32 s14, 0
	s_addc_u32 s11, s11, s23
	v_readfirstlane_b32 s14, v0
	s_mul_i32 s23, s19, s11
	s_delay_alu instid0(VALU_DEP_1)
	s_mul_hi_u32 s24, s19, s14
	s_mul_i32 s22, s22, s14
	s_add_i32 s23, s24, s23
	s_mul_i32 s19, s19, s14
	s_add_i32 s23, s23, s22
	s_mul_hi_u32 s24, s11, s19
	s_mul_i32 s25, s11, s19
	s_mul_hi_u32 s19, s14, s19
	s_mul_hi_u32 s26, s14, s23
	s_mul_i32 s14, s14, s23
	s_mul_hi_u32 s22, s11, s23
	s_add_u32 s14, s19, s14
	s_addc_u32 s19, 0, s26
	s_add_u32 s14, s14, s25
	s_mul_i32 s23, s11, s23
	s_addc_u32 s14, s19, s24
	s_addc_u32 s19, s22, 0
	s_add_u32 s14, s14, s23
	s_addc_u32 s19, 0, s19
	v_add_co_u32 v0, s14, v0, s14
	s_delay_alu instid0(VALU_DEP_1) | instskip(SKIP_1) | instid1(VALU_DEP_1)
	s_cmp_lg_u32 s14, 0
	s_addc_u32 s11, s11, s19
	v_readfirstlane_b32 s14, v0
	s_mul_i32 s19, s15, s11
	s_mul_hi_u32 s11, s15, s11
	s_delay_alu instid0(VALU_DEP_1) | instskip(NEXT) | instid1(SALU_CYCLE_1)
	s_mul_hi_u32 s14, s15, s14
	s_add_u32 s14, s14, s19
	s_addc_u32 s11, 0, s11
	s_add_u32 s14, s14, 0
	s_addc_u32 s11, s11, 0
	s_addc_u32 s14, 0, 0
	s_add_u32 s11, s11, 0
	s_addc_u32 s14, 0, s14
	s_mul_hi_u32 s19, s20, s11
	s_mul_i32 s23, s20, s14
	s_mul_i32 s24, s20, s11
	s_add_i32 s19, s19, s23
	v_sub_co_u32 v0, s23, s15, s24
	s_mul_i32 s22, s21, s11
	s_delay_alu instid0(SALU_CYCLE_1) | instskip(NEXT) | instid1(VALU_DEP_1)
	s_add_i32 s19, s19, s22
	v_sub_co_u32 v1, s24, v0, s20
	s_sub_i32 s22, 0, s19
	s_cmp_lg_u32 s23, 0
	s_subb_u32 s22, s22, s21
	s_cmp_lg_u32 s24, 0
	v_readfirstlane_b32 s24, v1
	s_subb_u32 s22, s22, 0
	s_delay_alu instid0(SALU_CYCLE_1) | instskip(SKIP_1) | instid1(VALU_DEP_1)
	s_cmp_ge_u32 s22, s21
	s_cselect_b32 s25, -1, 0
	s_cmp_ge_u32 s24, s20
	s_cselect_b32 s24, -1, 0
	s_cmp_eq_u32 s22, s21
	s_cselect_b32 s22, s24, s25
	s_add_u32 s24, s11, 1
	s_addc_u32 s25, s14, 0
	s_add_u32 s26, s11, 2
	s_addc_u32 s27, s14, 0
	s_cmp_lg_u32 s22, 0
	s_cselect_b32 s22, s26, s24
	s_cselect_b32 s24, s27, s25
	s_cmp_lg_u32 s23, 0
	v_readfirstlane_b32 s23, v0
	s_subb_u32 s19, 0, s19
	s_delay_alu instid0(SALU_CYCLE_1) | instskip(SKIP_1) | instid1(VALU_DEP_1)
	s_cmp_ge_u32 s19, s21
	s_cselect_b32 s25, -1, 0
	s_cmp_ge_u32 s23, s20
	s_cselect_b32 s20, -1, 0
	s_cmp_eq_u32 s19, s21
	s_cselect_b32 s19, s20, s25
	s_delay_alu instid0(SALU_CYCLE_1) | instskip(SKIP_2) | instid1(SALU_CYCLE_1)
	s_cmp_lg_u32 s19, 0
	s_cselect_b32 s21, s24, s14
	s_cselect_b32 s20, s22, s11
	s_xor_b64 s[20:21], s[20:21], s[12:13]
	s_delay_alu instid0(SALU_CYCLE_1)
	s_sub_u32 s22, s20, s12
	s_subb_u32 s23, s21, s12
	s_load_b64 s[12:13], s[2:3], 0x40
	s_and_not1_b32 vcc_lo, exec_lo, s10
	s_cbranch_vccnz .LBB123_5
.LBB123_4:
	v_cvt_f32_u32_e32 v0, s4
	s_sub_i32 s11, 0, s4
	s_mov_b32 s23, 0
	s_delay_alu instid0(VALU_DEP_1) | instskip(SKIP_2) | instid1(VALU_DEP_1)
	v_rcp_iflag_f32_e32 v0, v0
	s_waitcnt_depctr 0xfff
	v_mul_f32_e32 v0, 0x4f7ffffe, v0
	v_cvt_u32_f32_e32 v0, v0
	s_delay_alu instid0(VALU_DEP_1) | instskip(NEXT) | instid1(VALU_DEP_1)
	v_readfirstlane_b32 s10, v0
	s_mul_i32 s11, s11, s10
	s_delay_alu instid0(SALU_CYCLE_1) | instskip(NEXT) | instid1(SALU_CYCLE_1)
	s_mul_hi_u32 s11, s10, s11
	s_add_i32 s10, s10, s11
	s_delay_alu instid0(SALU_CYCLE_1) | instskip(NEXT) | instid1(SALU_CYCLE_1)
	s_mul_hi_u32 s10, s15, s10
	s_mul_i32 s11, s10, s4
	s_add_i32 s14, s10, 1
	s_sub_i32 s11, s15, s11
	s_delay_alu instid0(SALU_CYCLE_1)
	s_sub_i32 s19, s11, s4
	s_cmp_ge_u32 s11, s4
	s_cselect_b32 s10, s14, s10
	s_cselect_b32 s11, s19, s11
	s_add_i32 s14, s10, 1
	s_cmp_ge_u32 s11, s4
	s_cselect_b32 s22, s14, s10
.LBB123_5:
	s_delay_alu instid0(SALU_CYCLE_1)
	s_mul_i32 s5, s22, s5
	s_mul_hi_u32 s10, s22, s4
	s_load_b32 s19, s[2:3], 0x0
	s_add_i32 s5, s10, s5
	s_mul_i32 s10, s23, s4
	s_mul_i32 s4, s22, s4
	s_add_i32 s5, s5, s10
	s_sub_u32 s10, s15, s4
	s_subb_u32 s11, 0, s5
	s_delay_alu instid0(SALU_CYCLE_1)
	s_lshl_b64 s[10:11], s[10:11], 3
	s_waitcnt lgkmcnt(0)
	s_add_u32 s8, s8, s10
	s_addc_u32 s9, s9, s11
	s_load_b64 s[14:15], s[8:9], 0x0
	s_load_b64 s[20:21], s[2:3], 0x48
	s_waitcnt lgkmcnt(0)
	s_lshl_b64 s[8:9], s[14:15], 3
	s_delay_alu instid0(SALU_CYCLE_1)
	s_add_u32 s0, s0, s8
	s_addc_u32 s1, s1, s9
	s_lshl_b64 s[22:23], s[22:23], 10
	s_load_b128 s[8:11], s[0:1], 0x0
	v_or_b32_e32 v12, s22, v8
	v_mov_b32_e32 v13, s23
	s_mul_i32 s1, s15, s20
	s_mul_i32 s22, s14, s21
	s_cmpk_lg_i32 s19, 0x71
	s_delay_alu instid0(VALU_DEP_1) | instskip(SKIP_1) | instid1(VALU_DEP_2)
	v_mad_u64_u32 v[10:11], null, s14, s20, v[12:13]
	v_cmp_gt_i64_e64 s0, s[6:7], v[12:13]
	v_add3_u32 v11, s22, s1, v11
	s_cbranch_scc0 .LBB123_51
; %bb.6:
	v_mov_b32_e32 v2, 0
	v_mov_b32_e32 v3, 0
	s_delay_alu instid0(VALU_DEP_1)
	v_dual_mov_b32 v0, v2 :: v_dual_mov_b32 v1, v3
	s_and_saveexec_b32 s1, s0
	s_cbranch_execz .LBB123_8
; %bb.7:
	v_lshlrev_b64 v[0:1], 4, v[10:11]
	s_delay_alu instid0(VALU_DEP_1) | instskip(NEXT) | instid1(VALU_DEP_2)
	v_add_co_u32 v0, vcc_lo, s12, v0
	v_add_co_ci_u32_e32 v1, vcc_lo, s13, v1, vcc_lo
	global_load_b128 v[14:17], v[0:1], off
	s_waitcnt vmcnt(0)
	v_mul_f64 v[0:1], v[16:17], -v[6:7]
	v_mul_f64 v[2:3], v[4:5], v[16:17]
	s_delay_alu instid0(VALU_DEP_2) | instskip(NEXT) | instid1(VALU_DEP_2)
	v_fma_f64 v[0:1], v[4:5], v[14:15], v[0:1]
	v_fma_f64 v[2:3], v[6:7], v[14:15], v[2:3]
.LBB123_8:
	s_or_b32 exec_lo, exec_lo, s1
	s_load_b64 s[6:7], s[2:3], 0x50
	s_cbranch_execz .LBB123_52
; %bb.9:
	s_waitcnt lgkmcnt(0)
	v_cmp_ge_i64_e64 s1, s[8:9], s[10:11]
	s_delay_alu instid0(VALU_DEP_1)
	s_and_b32 vcc_lo, exec_lo, s1
	v_cmp_eq_u32_e64 s1, 0, v8
	s_cbranch_vccnz .LBB123_55
.LBB123_10:
	s_clause 0x1
	s_load_b128 s[24:27], s[2:3], 0x30
	s_load_b64 s[22:23], s[2:3], 0x60
	s_waitcnt vmcnt(0)
	v_dual_mov_b32 v9, 0 :: v_dual_lshlrev_b32 v6, 3, v8
	v_lshlrev_b64 v[4:5], 4, v[12:13]
	s_lshl_b64 s[2:3], s[4:5], 2
	v_dual_mov_b32 v12, 0 :: v_dual_lshlrev_b32 v7, 4, v8
	s_add_u32 s19, s6, s2
	s_addc_u32 s28, s7, s3
	s_sub_u32 s8, s8, s16
	s_subb_u32 s9, s9, 0
	v_add_co_u32 v26, vcc_lo, s12, v4
	s_sub_u32 s10, s10, s16
	s_subb_u32 s11, s11, 0
	v_dual_mov_b32 v14, 0 :: v_dual_lshlrev_b32 v33, 4, v8
	v_add_co_ci_u32_e32 v27, vcc_lo, s13, v5, vcc_lo
	s_waitcnt lgkmcnt(0)
	v_add_co_u32 v28, s2, s24, v6
	s_delay_alu instid0(VALU_DEP_1) | instskip(SKIP_1) | instid1(VALU_DEP_1)
	v_add_co_ci_u32_e64 v29, null, s25, 0, s2
	v_add_co_u32 v30, s2, s26, v7
	v_add_co_ci_u32_e64 v31, null, s27, 0, s2
	v_lshl_or_b32 v32, v8, 3, 0x4000
	s_cmp_eq_u32 s18, 0
	v_mov_b32_e32 v13, 0
	v_mov_b32_e32 v15, 0x3ff00000
	s_cselect_b32 s29, -1, 0
	s_add_u32 s24, s14, s16
	s_addc_u32 s25, s15, 0
	s_mov_b64 s[26:27], s[8:9]
	s_branch .LBB123_13
.LBB123_11:                             ;   in Loop: Header=BB123_13 Depth=1
	s_add_u32 s26, s26, 1
	s_addc_u32 s27, s27, 0
	s_delay_alu instid0(SALU_CYCLE_1)
	v_cmp_ge_i64_e64 s3, s[26:27], s[10:11]
.LBB123_12:                             ;   in Loop: Header=BB123_13 Depth=1
	s_delay_alu instid0(VALU_DEP_3) | instskip(NEXT) | instid1(VALU_DEP_4)
	v_dual_mov_b32 v2, v22 :: v_dual_mov_b32 v3, v23
	v_dual_mov_b32 v0, v24 :: v_dual_mov_b32 v1, v25
	s_delay_alu instid0(VALU_DEP_4) | instskip(NEXT) | instid1(VALU_DEP_4)
	v_dual_mov_b32 v12, v18 :: v_dual_mov_b32 v13, v19
	v_dual_mov_b32 v14, v20 :: v_dual_mov_b32 v15, v21
	s_and_not1_b32 vcc_lo, exec_lo, s3
	s_cbranch_vccz .LBB123_56
.LBB123_13:                             ; =>This Loop Header: Depth=1
                                        ;     Child Loop BB123_42 Depth 2
	s_sub_i32 s2, s26, s8
	s_delay_alu instid0(SALU_CYCLE_1) | instskip(NEXT) | instid1(SALU_CYCLE_1)
	s_and_b32 s2, s2, 0x3ff
	s_cmp_lg_u32 s2, 0
	s_cbranch_scc1 .LBB123_17
; %bb.14:                               ;   in Loop: Header=BB123_13 Depth=1
	v_mov_b32_e32 v16, -1
	v_dual_mov_b32 v17, -1 :: v_dual_mov_b32 v6, 0
	v_dual_mov_b32 v4, 0 :: v_dual_mov_b32 v7, 0
	v_mov_b32_e32 v5, 0xbff00000
	s_sub_u32 s30, s10, s26
	s_subb_u32 s31, s11, s27
	s_mov_b32 s3, exec_lo
	v_cmpx_gt_i64_e64 s[30:31], v[8:9]
	s_cbranch_execz .LBB123_16
; %bb.15:                               ;   in Loop: Header=BB123_13 Depth=1
	s_lshl_b64 s[30:31], s[26:27], 3
	s_delay_alu instid0(SALU_CYCLE_1)
	v_add_co_u32 v4, vcc_lo, v28, s30
	v_add_co_ci_u32_e32 v5, vcc_lo, s31, v29, vcc_lo
	s_lshl_b64 s[30:31], s[26:27], 4
	global_load_b64 v[16:17], v[4:5], off
	v_add_co_u32 v4, vcc_lo, v30, s30
	v_add_co_ci_u32_e32 v5, vcc_lo, s31, v31, vcc_lo
	global_load_b128 v[4:7], v[4:5], off
	s_waitcnt vmcnt(1)
	v_sub_co_u32 v16, vcc_lo, v16, s16
	v_subrev_co_ci_u32_e32 v17, vcc_lo, 0, v17, vcc_lo
.LBB123_16:                             ;   in Loop: Header=BB123_13 Depth=1
	s_or_b32 exec_lo, exec_lo, s3
	ds_store_b64 v32, v[16:17]
	s_waitcnt vmcnt(0)
	ds_store_b128 v33, v[4:7]
.LBB123_17:                             ;   in Loop: Header=BB123_13 Depth=1
	s_lshl_b32 s3, s2, 4
	s_waitcnt lgkmcnt(0)
	v_mov_b32_e32 v4, s3
	s_waitcnt_vscnt null, 0x0
	s_barrier
	buffer_gl0_inv
	s_lshl_b32 s2, s2, 3
	ds_load_b128 v[18:21], v4
	v_mov_b32_e32 v4, s2
	ds_load_b64 v[16:17], v4 offset:16384
	s_waitcnt lgkmcnt(1)
	v_cmp_eq_f64_e32 vcc_lo, 0, v[18:19]
	v_cmp_eq_f64_e64 s3, 0, v[20:21]
	s_waitcnt lgkmcnt(0)
	v_cmp_eq_u64_e64 s2, s[14:15], v[16:17]
	v_cmp_ne_u64_e64 s9, s[14:15], v[16:17]
	s_delay_alu instid0(VALU_DEP_3)
	s_and_b32 s3, vcc_lo, s3
	s_delay_alu instid0(VALU_DEP_2) | instid1(SALU_CYCLE_1)
	s_and_b32 s3, s3, s2
	s_delay_alu instid0(SALU_CYCLE_1) | instskip(NEXT) | instid1(SALU_CYCLE_1)
	s_and_b32 s3, s29, s3
	v_cndmask_b32_e64 v5, v21, 0, s3
	v_cndmask_b32_e64 v4, v20, 0, s3
	;; [unrolled: 1-line block ×4, first 2 shown]
	s_and_b32 s30, s1, s3
	s_delay_alu instid0(SALU_CYCLE_1)
	s_and_saveexec_b32 s3, s30
	s_cbranch_execz .LBB123_21
; %bb.18:                               ;   in Loop: Header=BB123_13 Depth=1
	v_mbcnt_lo_u32_b32 v4, exec_lo, 0
	s_mov_b32 s30, exec_lo
	s_delay_alu instid0(VALU_DEP_1)
	v_cmpx_eq_u32_e32 0, v4
	s_cbranch_execz .LBB123_20
; %bb.19:                               ;   in Loop: Header=BB123_13 Depth=1
	v_dual_mov_b32 v4, s24 :: v_dual_mov_b32 v5, s25
	global_atomic_min_u64 v9, v[4:5], s[22:23]
.LBB123_20:                             ;   in Loop: Header=BB123_13 Depth=1
	s_or_b32 exec_lo, exec_lo, s30
	v_mov_b32_e32 v4, 0
	v_dual_mov_b32 v5, 0 :: v_dual_mov_b32 v6, 0
	v_mov_b32_e32 v7, 0x3ff00000
.LBB123_21:                             ;   in Loop: Header=BB123_13 Depth=1
	s_or_b32 exec_lo, exec_lo, s3
	s_cmp_lt_i32 s17, 1
	s_mov_b32 s3, 0
	s_cbranch_scc1 .LBB123_27
; %bb.22:                               ;   in Loop: Header=BB123_13 Depth=1
	s_cmp_eq_u32 s17, 1
	s_cbranch_scc0 .LBB123_28
; %bb.23:                               ;   in Loop: Header=BB123_13 Depth=1
	v_cmp_le_i64_e32 vcc_lo, s[14:15], v[16:17]
	v_dual_mov_b32 v19, v13 :: v_dual_mov_b32 v18, v12
	v_dual_mov_b32 v21, v15 :: v_dual_mov_b32 v20, v14
	s_mov_b32 s30, 0
	s_cbranch_vccz .LBB123_30
; %bb.24:                               ;   in Loop: Header=BB123_13 Depth=1
	s_and_b32 vcc_lo, exec_lo, s2
	s_cbranch_vccz .LBB123_29
; %bb.25:                               ;   in Loop: Header=BB123_13 Depth=1
	v_dual_mov_b32 v19, v13 :: v_dual_mov_b32 v18, v12
	v_dual_mov_b32 v21, v15 :: v_dual_mov_b32 v20, v14
	s_and_not1_b32 vcc_lo, exec_lo, s29
	s_cbranch_vccnz .LBB123_30
; %bb.26:                               ;   in Loop: Header=BB123_13 Depth=1
	v_mul_f64 v[18:19], v[4:5], v[4:5]
	s_delay_alu instid0(VALU_DEP_1) | instskip(NEXT) | instid1(VALU_DEP_1)
	v_fma_f64 v[18:19], v[6:7], v[6:7], v[18:19]
	v_div_scale_f64 v[20:21], null, v[18:19], v[18:19], 1.0
	v_div_scale_f64 v[34:35], vcc_lo, 1.0, v[18:19], 1.0
	s_delay_alu instid0(VALU_DEP_2) | instskip(SKIP_2) | instid1(VALU_DEP_1)
	v_rcp_f64_e32 v[22:23], v[20:21]
	s_waitcnt_depctr 0xfff
	v_fma_f64 v[24:25], -v[20:21], v[22:23], 1.0
	v_fma_f64 v[22:23], v[22:23], v[24:25], v[22:23]
	s_delay_alu instid0(VALU_DEP_1) | instskip(NEXT) | instid1(VALU_DEP_1)
	v_fma_f64 v[24:25], -v[20:21], v[22:23], 1.0
	v_fma_f64 v[22:23], v[22:23], v[24:25], v[22:23]
	s_delay_alu instid0(VALU_DEP_1) | instskip(NEXT) | instid1(VALU_DEP_1)
	v_mul_f64 v[24:25], v[34:35], v[22:23]
	v_fma_f64 v[20:21], -v[20:21], v[24:25], v[34:35]
	s_delay_alu instid0(VALU_DEP_1) | instskip(SKIP_2) | instid1(VALU_DEP_3)
	v_div_fmas_f64 v[20:21], v[20:21], v[22:23], v[24:25]
	v_fma_f64 v[22:23], v[4:5], 0, v[6:7]
	v_fma_f64 v[24:25], v[6:7], 0, -v[4:5]
	v_div_fixup_f64 v[18:19], v[20:21], v[18:19], 1.0
	s_delay_alu instid0(VALU_DEP_1) | instskip(NEXT) | instid1(VALU_DEP_3)
	v_mul_f64 v[20:21], v[22:23], v[18:19]
	v_mul_f64 v[18:19], v[24:25], v[18:19]
	s_branch .LBB123_30
.LBB123_27:                             ;   in Loop: Header=BB123_13 Depth=1
	s_mov_b32 s30, 0
                                        ; implicit-def: $sgpr2
                                        ; implicit-def: $vgpr22_vgpr23
                                        ; implicit-def: $vgpr24_vgpr25
                                        ; implicit-def: $vgpr18_vgpr19
                                        ; implicit-def: $vgpr20_vgpr21
	s_cbranch_execnz .LBB123_31
	s_branch .LBB123_33
.LBB123_28:                             ;   in Loop: Header=BB123_13 Depth=1
	s_mov_b32 s30, -1
                                        ; implicit-def: $sgpr2
                                        ; implicit-def: $vgpr22_vgpr23
                                        ; implicit-def: $vgpr24_vgpr25
                                        ; implicit-def: $vgpr18_vgpr19
                                        ; implicit-def: $vgpr20_vgpr21
	s_branch .LBB123_33
.LBB123_29:                             ;   in Loop: Header=BB123_13 Depth=1
	s_mov_b32 s30, -1
                                        ; implicit-def: $vgpr18_vgpr19
                                        ; implicit-def: $vgpr20_vgpr21
.LBB123_30:                             ;   in Loop: Header=BB123_13 Depth=1
	v_dual_mov_b32 v23, v3 :: v_dual_mov_b32 v22, v2
	v_dual_mov_b32 v25, v1 :: v_dual_mov_b32 v24, v0
	s_mov_b32 s2, 4
	s_branch .LBB123_33
.LBB123_31:                             ;   in Loop: Header=BB123_13 Depth=1
	s_cmp_eq_u32 s17, 0
	s_cbranch_scc1 .LBB123_37
; %bb.32:                               ;   in Loop: Header=BB123_13 Depth=1
	s_mov_b32 s30, -1
                                        ; implicit-def: $sgpr2
                                        ; implicit-def: $vgpr22_vgpr23
                                        ; implicit-def: $vgpr24_vgpr25
                                        ; implicit-def: $vgpr18_vgpr19
                                        ; implicit-def: $vgpr20_vgpr21
.LBB123_33:                             ;   in Loop: Header=BB123_13 Depth=1
	s_delay_alu instid0(SALU_CYCLE_1)
	s_and_b32 vcc_lo, exec_lo, s30
	s_cbranch_vccnz .LBB123_40
.LBB123_34:                             ;   in Loop: Header=BB123_13 Depth=1
	s_and_b32 vcc_lo, exec_lo, s3
	s_cbranch_vccnz .LBB123_46
.LBB123_35:                             ;   in Loop: Header=BB123_13 Depth=1
	s_cmp_gt_i32 s2, 3
	s_mov_b32 s3, -1
	s_cbranch_scc1 .LBB123_49
.LBB123_36:                             ;   in Loop: Header=BB123_13 Depth=1
	s_cmp_eq_u32 s2, 0
	s_cselect_b32 s2, -1, 0
	s_delay_alu instid0(SALU_CYCLE_1)
	s_and_not1_b32 vcc_lo, exec_lo, s2
	s_cbranch_vccz .LBB123_11
	s_branch .LBB123_50
.LBB123_37:                             ;   in Loop: Header=BB123_13 Depth=1
	v_cmp_ge_i64_e32 vcc_lo, s[14:15], v[16:17]
	s_mov_b32 s30, 0
	s_cbranch_vccz .LBB123_39
; %bb.38:                               ;   in Loop: Header=BB123_13 Depth=1
	s_mov_b32 s3, -1
	s_mov_b32 s30, s9
.LBB123_39:                             ;   in Loop: Header=BB123_13 Depth=1
	v_dual_mov_b32 v23, v3 :: v_dual_mov_b32 v22, v2
	v_dual_mov_b32 v25, v1 :: v_dual_mov_b32 v24, v0
	;; [unrolled: 1-line block ×4, first 2 shown]
	s_mov_b32 s2, 2
	s_and_b32 vcc_lo, exec_lo, s30
	s_cbranch_vccz .LBB123_34
.LBB123_40:                             ;   in Loop: Header=BB123_13 Depth=1
	s_and_saveexec_b32 s2, s1
	s_cbranch_execz .LBB123_43
; %bb.41:                               ;   in Loop: Header=BB123_13 Depth=1
	v_lshlrev_b64 v[18:19], 2, v[16:17]
	s_delay_alu instid0(VALU_DEP_1) | instskip(NEXT) | instid1(VALU_DEP_2)
	v_add_co_u32 v18, vcc_lo, s19, v18
	v_add_co_ci_u32_e32 v19, vcc_lo, s28, v19, vcc_lo
	global_load_b32 v20, v[18:19], off glc
	s_waitcnt vmcnt(0)
	v_cmp_ne_u32_e32 vcc_lo, 0, v20
	s_cbranch_vccnz .LBB123_43
.LBB123_42:                             ;   Parent Loop BB123_13 Depth=1
                                        ; =>  This Inner Loop Header: Depth=2
	global_load_b32 v20, v[18:19], off glc
	s_waitcnt vmcnt(0)
	v_cmp_eq_u32_e32 vcc_lo, 0, v20
	s_cbranch_vccnz .LBB123_42
.LBB123_43:                             ;   in Loop: Header=BB123_13 Depth=1
	s_or_b32 exec_lo, exec_lo, s2
	v_mov_b32_e32 v22, 0
	v_mov_b32_e32 v23, 0
	s_waitcnt_vscnt null, 0x0
	s_barrier
	buffer_gl0_inv
	buffer_gl1_inv
	buffer_gl0_inv
	v_dual_mov_b32 v25, v23 :: v_dual_mov_b32 v24, v22
	s_and_saveexec_b32 s2, s0
	s_cbranch_execz .LBB123_45
; %bb.44:                               ;   in Loop: Header=BB123_13 Depth=1
	v_mul_lo_u32 v18, v16, s21
	v_mul_hi_u32 v19, v16, s20
	v_mul_lo_u32 v17, v17, s20
	v_mul_lo_u32 v16, v16, s20
	s_delay_alu instid0(VALU_DEP_3) | instskip(NEXT) | instid1(VALU_DEP_1)
	v_add_nc_u32_e32 v18, v19, v18
	v_add_nc_u32_e32 v17, v18, v17
	s_delay_alu instid0(VALU_DEP_1) | instskip(NEXT) | instid1(VALU_DEP_1)
	v_lshlrev_b64 v[16:17], 4, v[16:17]
	v_add_co_u32 v16, vcc_lo, v26, v16
	s_delay_alu instid0(VALU_DEP_2) | instskip(SKIP_4) | instid1(VALU_DEP_2)
	v_add_co_ci_u32_e32 v17, vcc_lo, v27, v17, vcc_lo
	global_load_b128 v[16:19], v[16:17], off
	s_waitcnt vmcnt(0)
	v_fma_f64 v[20:21], -v[6:7], v[16:17], v[0:1]
	v_fma_f64 v[16:17], -v[4:5], v[16:17], v[2:3]
	v_fma_f64 v[24:25], v[4:5], v[18:19], v[20:21]
	s_delay_alu instid0(VALU_DEP_2)
	v_fma_f64 v[22:23], -v[6:7], v[18:19], v[16:17]
.LBB123_45:                             ;   in Loop: Header=BB123_13 Depth=1
	s_or_b32 exec_lo, exec_lo, s2
	v_dual_mov_b32 v19, v13 :: v_dual_mov_b32 v18, v12
	v_dual_mov_b32 v21, v15 :: v_dual_mov_b32 v20, v14
	s_mov_b32 s2, 0
	s_branch .LBB123_35
.LBB123_46:                             ;   in Loop: Header=BB123_13 Depth=1
	s_and_not1_b32 vcc_lo, exec_lo, s29
	s_cbranch_vccnz .LBB123_48
; %bb.47:                               ;   in Loop: Header=BB123_13 Depth=1
	v_mul_f64 v[12:13], v[4:5], v[4:5]
	s_delay_alu instid0(VALU_DEP_1) | instskip(NEXT) | instid1(VALU_DEP_1)
	v_fma_f64 v[12:13], v[6:7], v[6:7], v[12:13]
	v_div_scale_f64 v[14:15], null, v[12:13], v[12:13], 1.0
	v_div_scale_f64 v[20:21], vcc_lo, 1.0, v[12:13], 1.0
	s_delay_alu instid0(VALU_DEP_2) | instskip(SKIP_2) | instid1(VALU_DEP_1)
	v_rcp_f64_e32 v[16:17], v[14:15]
	s_waitcnt_depctr 0xfff
	v_fma_f64 v[18:19], -v[14:15], v[16:17], 1.0
	v_fma_f64 v[16:17], v[16:17], v[18:19], v[16:17]
	s_delay_alu instid0(VALU_DEP_1) | instskip(NEXT) | instid1(VALU_DEP_1)
	v_fma_f64 v[18:19], -v[14:15], v[16:17], 1.0
	v_fma_f64 v[16:17], v[16:17], v[18:19], v[16:17]
	s_delay_alu instid0(VALU_DEP_1) | instskip(NEXT) | instid1(VALU_DEP_1)
	v_mul_f64 v[18:19], v[20:21], v[16:17]
	v_fma_f64 v[14:15], -v[14:15], v[18:19], v[20:21]
	s_delay_alu instid0(VALU_DEP_1) | instskip(SKIP_2) | instid1(VALU_DEP_3)
	v_div_fmas_f64 v[14:15], v[14:15], v[16:17], v[18:19]
	v_fma_f64 v[16:17], v[4:5], 0, v[6:7]
	v_fma_f64 v[4:5], v[6:7], 0, -v[4:5]
	v_div_fixup_f64 v[12:13], v[14:15], v[12:13], 1.0
	s_delay_alu instid0(VALU_DEP_1) | instskip(NEXT) | instid1(VALU_DEP_3)
	v_mul_f64 v[14:15], v[16:17], v[12:13]
	v_mul_f64 v[12:13], v[4:5], v[12:13]
.LBB123_48:                             ;   in Loop: Header=BB123_13 Depth=1
	s_delay_alu instid0(VALU_DEP_2) | instskip(NEXT) | instid1(VALU_DEP_2)
	v_dual_mov_b32 v21, v15 :: v_dual_mov_b32 v20, v14
	v_dual_mov_b32 v19, v13 :: v_dual_mov_b32 v18, v12
	;; [unrolled: 1-line block ×4, first 2 shown]
	s_mov_b32 s2, 2
	s_delay_alu instid0(SALU_CYCLE_1)
	s_cmp_gt_i32 s2, 3
	s_mov_b32 s3, -1
	s_cbranch_scc0 .LBB123_36
.LBB123_49:                             ;   in Loop: Header=BB123_13 Depth=1
	s_branch .LBB123_11
.LBB123_50:                             ;   in Loop: Header=BB123_13 Depth=1
                                        ; implicit-def: $sgpr26_sgpr27
	s_branch .LBB123_12
.LBB123_51:
                                        ; implicit-def: $vgpr2_vgpr3
	s_load_b64 s[6:7], s[2:3], 0x50
.LBB123_52:
	v_mov_b32_e32 v2, 0
	v_mov_b32_e32 v3, 0
	s_delay_alu instid0(VALU_DEP_1)
	v_dual_mov_b32 v0, v2 :: v_dual_mov_b32 v1, v3
	s_and_saveexec_b32 s1, s0
	s_cbranch_execz .LBB123_54
; %bb.53:
	v_lshlrev_b64 v[0:1], 4, v[10:11]
	s_delay_alu instid0(VALU_DEP_1) | instskip(NEXT) | instid1(VALU_DEP_2)
	v_add_co_u32 v0, vcc_lo, s12, v0
	v_add_co_ci_u32_e32 v1, vcc_lo, s13, v1, vcc_lo
	global_load_b128 v[14:17], v[0:1], off
	s_waitcnt vmcnt(0)
	v_mul_f64 v[0:1], v[6:7], v[16:17]
	v_mul_f64 v[2:3], v[4:5], -v[16:17]
	s_delay_alu instid0(VALU_DEP_2) | instskip(NEXT) | instid1(VALU_DEP_2)
	v_fma_f64 v[0:1], v[4:5], v[14:15], v[0:1]
	v_fma_f64 v[2:3], v[6:7], v[14:15], v[2:3]
.LBB123_54:
	s_or_b32 exec_lo, exec_lo, s1
	s_waitcnt lgkmcnt(0)
	v_cmp_ge_i64_e64 s1, s[8:9], s[10:11]
	s_delay_alu instid0(VALU_DEP_1)
	s_and_b32 vcc_lo, exec_lo, s1
	v_cmp_eq_u32_e64 s1, 0, v8
	s_cbranch_vccz .LBB123_10
.LBB123_55:
	v_mov_b32_e32 v18, 0
	v_dual_mov_b32 v19, 0 :: v_dual_mov_b32 v20, 0
	v_mov_b32_e32 v21, 0x3ff00000
	s_cmp_lg_u32 s18, 0
	s_cbranch_scc1 .LBB123_58
	s_branch .LBB123_57
.LBB123_56:
	v_dual_mov_b32 v2, v22 :: v_dual_mov_b32 v3, v23
	v_dual_mov_b32 v0, v24 :: v_dual_mov_b32 v1, v25
	s_cmp_lg_u32 s18, 0
	s_cbranch_scc1 .LBB123_58
.LBB123_57:
	s_waitcnt vmcnt(0)
	v_mul_f64 v[4:5], v[18:19], -v[2:3]
	v_mul_f64 v[6:7], v[18:19], v[0:1]
	s_delay_alu instid0(VALU_DEP_2) | instskip(NEXT) | instid1(VALU_DEP_2)
	v_fma_f64 v[0:1], v[0:1], v[20:21], v[4:5]
	v_fma_f64 v[2:3], v[2:3], v[20:21], v[6:7]
.LBB123_58:
	s_and_saveexec_b32 s1, s0
	s_cbranch_execz .LBB123_60
; %bb.59:
	s_waitcnt vmcnt(0)
	v_lshlrev_b64 v[4:5], 4, v[10:11]
	s_delay_alu instid0(VALU_DEP_1) | instskip(NEXT) | instid1(VALU_DEP_2)
	v_add_co_u32 v4, vcc_lo, s12, v4
	v_add_co_ci_u32_e32 v5, vcc_lo, s13, v5, vcc_lo
	global_store_b128 v[4:5], v[0:3], off
.LBB123_60:
	s_or_b32 exec_lo, exec_lo, s1
	s_waitcnt vmcnt(0)
	s_waitcnt_vscnt null, 0x0
	buffer_gl1_inv
	buffer_gl0_inv
	s_barrier
	buffer_gl0_inv
	s_mov_b32 s0, exec_lo
	v_cmpx_eq_u32_e32 0, v8
	s_cbranch_execz .LBB123_62
; %bb.61:
	s_lshl_b64 s[0:1], s[14:15], 2
	v_dual_mov_b32 v0, 0 :: v_dual_mov_b32 v1, 1
	s_add_u32 s2, s6, s0
	s_addc_u32 s3, s7, s1
	s_lshl_b64 s[0:1], s[4:5], 2
	s_delay_alu instid0(SALU_CYCLE_1)
	s_add_u32 s0, s2, s0
	s_addc_u32 s1, s3, s1
	global_store_b32 v0, v1, s[0:1]
.LBB123_62:
	s_nop 0
	s_sendmsg sendmsg(MSG_DEALLOC_VGPRS)
	s_endpgm
.LBB123_63:
                                        ; implicit-def: $sgpr22_sgpr23
	s_load_b64 s[12:13], s[2:3], 0x40
	s_branch .LBB123_4
	.section	.rodata,"a",@progbits
	.p2align	6, 0x0
	.amdhsa_kernel _ZN9rocsparseL5csrsmILj1024ELj64ELb0Ell21rocsparse_complex_numIdEEEv20rocsparse_operation_T3_S4_NS_24const_host_device_scalarIT4_EEPKT2_PKS4_PKS6_PS6_lPiSC_PS4_21rocsparse_index_base_20rocsparse_fill_mode_20rocsparse_diag_type_b
		.amdhsa_group_segment_fixed_size 32768
		.amdhsa_private_segment_fixed_size 0
		.amdhsa_kernarg_size 120
		.amdhsa_user_sgpr_count 15
		.amdhsa_user_sgpr_dispatch_ptr 1
		.amdhsa_user_sgpr_queue_ptr 0
		.amdhsa_user_sgpr_kernarg_segment_ptr 1
		.amdhsa_user_sgpr_dispatch_id 0
		.amdhsa_user_sgpr_private_segment_size 0
		.amdhsa_wavefront_size32 1
		.amdhsa_uses_dynamic_stack 0
		.amdhsa_enable_private_segment 0
		.amdhsa_system_sgpr_workgroup_id_x 1
		.amdhsa_system_sgpr_workgroup_id_y 0
		.amdhsa_system_sgpr_workgroup_id_z 0
		.amdhsa_system_sgpr_workgroup_info 0
		.amdhsa_system_vgpr_workitem_id 2
		.amdhsa_next_free_vgpr 36
		.amdhsa_next_free_sgpr 32
		.amdhsa_reserve_vcc 1
		.amdhsa_float_round_mode_32 0
		.amdhsa_float_round_mode_16_64 0
		.amdhsa_float_denorm_mode_32 3
		.amdhsa_float_denorm_mode_16_64 3
		.amdhsa_dx10_clamp 1
		.amdhsa_ieee_mode 1
		.amdhsa_fp16_overflow 0
		.amdhsa_workgroup_processor_mode 1
		.amdhsa_memory_ordered 1
		.amdhsa_forward_progress 0
		.amdhsa_shared_vgpr_count 0
		.amdhsa_exception_fp_ieee_invalid_op 0
		.amdhsa_exception_fp_denorm_src 0
		.amdhsa_exception_fp_ieee_div_zero 0
		.amdhsa_exception_fp_ieee_overflow 0
		.amdhsa_exception_fp_ieee_underflow 0
		.amdhsa_exception_fp_ieee_inexact 0
		.amdhsa_exception_int_div_zero 0
	.end_amdhsa_kernel
	.section	.text._ZN9rocsparseL5csrsmILj1024ELj64ELb0Ell21rocsparse_complex_numIdEEEv20rocsparse_operation_T3_S4_NS_24const_host_device_scalarIT4_EEPKT2_PKS4_PKS6_PS6_lPiSC_PS4_21rocsparse_index_base_20rocsparse_fill_mode_20rocsparse_diag_type_b,"axG",@progbits,_ZN9rocsparseL5csrsmILj1024ELj64ELb0Ell21rocsparse_complex_numIdEEEv20rocsparse_operation_T3_S4_NS_24const_host_device_scalarIT4_EEPKT2_PKS4_PKS6_PS6_lPiSC_PS4_21rocsparse_index_base_20rocsparse_fill_mode_20rocsparse_diag_type_b,comdat
.Lfunc_end123:
	.size	_ZN9rocsparseL5csrsmILj1024ELj64ELb0Ell21rocsparse_complex_numIdEEEv20rocsparse_operation_T3_S4_NS_24const_host_device_scalarIT4_EEPKT2_PKS4_PKS6_PS6_lPiSC_PS4_21rocsparse_index_base_20rocsparse_fill_mode_20rocsparse_diag_type_b, .Lfunc_end123-_ZN9rocsparseL5csrsmILj1024ELj64ELb0Ell21rocsparse_complex_numIdEEEv20rocsparse_operation_T3_S4_NS_24const_host_device_scalarIT4_EEPKT2_PKS4_PKS6_PS6_lPiSC_PS4_21rocsparse_index_base_20rocsparse_fill_mode_20rocsparse_diag_type_b
                                        ; -- End function
	.section	.AMDGPU.csdata,"",@progbits
; Kernel info:
; codeLenInByte = 3236
; NumSgprs: 34
; NumVgprs: 36
; ScratchSize: 0
; MemoryBound: 1
; FloatMode: 240
; IeeeMode: 1
; LDSByteSize: 32768 bytes/workgroup (compile time only)
; SGPRBlocks: 4
; VGPRBlocks: 4
; NumSGPRsForWavesPerEU: 34
; NumVGPRsForWavesPerEU: 36
; Occupancy: 16
; WaveLimiterHint : 1
; COMPUTE_PGM_RSRC2:SCRATCH_EN: 0
; COMPUTE_PGM_RSRC2:USER_SGPR: 15
; COMPUTE_PGM_RSRC2:TRAP_HANDLER: 0
; COMPUTE_PGM_RSRC2:TGID_X_EN: 1
; COMPUTE_PGM_RSRC2:TGID_Y_EN: 0
; COMPUTE_PGM_RSRC2:TGID_Z_EN: 0
; COMPUTE_PGM_RSRC2:TIDIG_COMP_CNT: 2
	.text
	.p2alignl 7, 3214868480
	.fill 96, 4, 3214868480
	.type	__hip_cuid_bf3bf7a2b1d8d8c7,@object ; @__hip_cuid_bf3bf7a2b1d8d8c7
	.section	.bss,"aw",@nobits
	.globl	__hip_cuid_bf3bf7a2b1d8d8c7
__hip_cuid_bf3bf7a2b1d8d8c7:
	.byte	0                               ; 0x0
	.size	__hip_cuid_bf3bf7a2b1d8d8c7, 1

	.ident	"AMD clang version 19.0.0git (https://github.com/RadeonOpenCompute/llvm-project roc-6.4.0 25133 c7fe45cf4b819c5991fe208aaa96edf142730f1d)"
	.section	".note.GNU-stack","",@progbits
	.addrsig
	.addrsig_sym __hip_cuid_bf3bf7a2b1d8d8c7
	.amdgpu_metadata
---
amdhsa.kernels:
  - .args:
      - .offset:         0
        .size:           8
        .value_kind:     by_value
      - .address_space:  global
        .offset:         8
        .size:           8
        .value_kind:     global_buffer
      - .offset:         16
        .size:           8
        .value_kind:     by_value
      - .address_space:  global
        .offset:         24
        .size:           8
        .value_kind:     global_buffer
    .group_segment_fixed_size: 0
    .kernarg_segment_align: 8
    .kernarg_segment_size: 32
    .language:       OpenCL C
    .language_version:
      - 2
      - 0
    .max_flat_workgroup_size: 1024
    .name:           _ZN9rocsparseL23csrsm_solve_copy_y_to_BILj1024EfEEvlPT0_lPKS1_
    .private_segment_fixed_size: 0
    .sgpr_count:     18
    .sgpr_spill_count: 0
    .symbol:         _ZN9rocsparseL23csrsm_solve_copy_y_to_BILj1024EfEEvlPT0_lPKS1_.kd
    .uniform_work_group_size: 1
    .uses_dynamic_stack: false
    .vgpr_count:     6
    .vgpr_spill_count: 0
    .wavefront_size: 32
    .workgroup_processor_mode: 1
  - .args:
      - .offset:         0
        .size:           4
        .value_kind:     by_value
      - .offset:         4
        .size:           4
        .value_kind:     by_value
      - .offset:         8
        .size:           4
        .value_kind:     by_value
      - .offset:         16
        .size:           8
        .value_kind:     by_value
      - .actual_access:  read_only
        .address_space:  global
        .offset:         24
        .size:           8
        .value_kind:     global_buffer
      - .actual_access:  read_only
        .address_space:  global
        .offset:         32
        .size:           8
        .value_kind:     global_buffer
      - .actual_access:  read_only
        .address_space:  global
        .offset:         40
        .size:           8
        .value_kind:     global_buffer
      - .address_space:  global
        .offset:         48
        .size:           8
        .value_kind:     global_buffer
      - .offset:         56
        .size:           8
        .value_kind:     by_value
      - .address_space:  global
        .offset:         64
        .size:           8
        .value_kind:     global_buffer
      - .actual_access:  read_only
        .address_space:  global
        .offset:         72
        .size:           8
        .value_kind:     global_buffer
      - .address_space:  global
        .offset:         80
        .size:           8
        .value_kind:     global_buffer
      - .offset:         88
        .size:           4
        .value_kind:     by_value
      - .offset:         92
        .size:           4
        .value_kind:     by_value
      - .offset:         96
        .size:           4
        .value_kind:     by_value
      - .offset:         100
        .size:           1
        .value_kind:     by_value
    .group_segment_fixed_size: 512
    .kernarg_segment_align: 8
    .kernarg_segment_size: 104
    .language:       OpenCL C
    .language_version:
      - 2
      - 0
    .max_flat_workgroup_size: 64
    .name:           _ZN9rocsparseL5csrsmILj64ELj64ELb1EiifEEv20rocsparse_operation_T3_S2_NS_24const_host_device_scalarIT4_EEPKT2_PKS2_PKS4_PS4_lPiSA_PS2_21rocsparse_index_base_20rocsparse_fill_mode_20rocsparse_diag_type_b
    .private_segment_fixed_size: 0
    .sgpr_count:     34
    .sgpr_spill_count: 0
    .symbol:         _ZN9rocsparseL5csrsmILj64ELj64ELb1EiifEEv20rocsparse_operation_T3_S2_NS_24const_host_device_scalarIT4_EEPKT2_PKS2_PKS4_PS4_lPiSA_PS2_21rocsparse_index_base_20rocsparse_fill_mode_20rocsparse_diag_type_b.kd
    .uniform_work_group_size: 1
    .uses_dynamic_stack: false
    .vgpr_count:     14
    .vgpr_spill_count: 0
    .wavefront_size: 32
    .workgroup_processor_mode: 1
  - .args:
      - .offset:         0
        .size:           4
        .value_kind:     by_value
      - .offset:         4
        .size:           4
        .value_kind:     by_value
      - .offset:         8
        .size:           4
        .value_kind:     by_value
      - .offset:         16
        .size:           8
        .value_kind:     by_value
      - .actual_access:  read_only
        .address_space:  global
        .offset:         24
        .size:           8
        .value_kind:     global_buffer
      - .actual_access:  read_only
        .address_space:  global
        .offset:         32
        .size:           8
        .value_kind:     global_buffer
      - .actual_access:  read_only
        .address_space:  global
        .offset:         40
        .size:           8
        .value_kind:     global_buffer
      - .address_space:  global
        .offset:         48
        .size:           8
        .value_kind:     global_buffer
      - .offset:         56
        .size:           8
        .value_kind:     by_value
      - .address_space:  global
        .offset:         64
        .size:           8
        .value_kind:     global_buffer
      - .actual_access:  read_only
        .address_space:  global
        .offset:         72
        .size:           8
        .value_kind:     global_buffer
      - .address_space:  global
        .offset:         80
        .size:           8
        .value_kind:     global_buffer
      - .offset:         88
        .size:           4
        .value_kind:     by_value
      - .offset:         92
        .size:           4
        .value_kind:     by_value
      - .offset:         96
        .size:           4
        .value_kind:     by_value
      - .offset:         100
        .size:           1
        .value_kind:     by_value
    .group_segment_fixed_size: 512
    .kernarg_segment_align: 8
    .kernarg_segment_size: 104
    .language:       OpenCL C
    .language_version:
      - 2
      - 0
    .max_flat_workgroup_size: 64
    .name:           _ZN9rocsparseL5csrsmILj64ELj64ELb0EiifEEv20rocsparse_operation_T3_S2_NS_24const_host_device_scalarIT4_EEPKT2_PKS2_PKS4_PS4_lPiSA_PS2_21rocsparse_index_base_20rocsparse_fill_mode_20rocsparse_diag_type_b
    .private_segment_fixed_size: 0
    .sgpr_count:     33
    .sgpr_spill_count: 0
    .symbol:         _ZN9rocsparseL5csrsmILj64ELj64ELb0EiifEEv20rocsparse_operation_T3_S2_NS_24const_host_device_scalarIT4_EEPKT2_PKS2_PKS4_PS4_lPiSA_PS2_21rocsparse_index_base_20rocsparse_fill_mode_20rocsparse_diag_type_b.kd
    .uniform_work_group_size: 1
    .uses_dynamic_stack: false
    .vgpr_count:     14
    .vgpr_spill_count: 0
    .wavefront_size: 32
    .workgroup_processor_mode: 1
  - .args:
      - .offset:         0
        .size:           4
        .value_kind:     by_value
      - .offset:         4
        .size:           4
        .value_kind:     by_value
      - .offset:         8
        .size:           4
        .value_kind:     by_value
      - .offset:         16
        .size:           8
        .value_kind:     by_value
      - .actual_access:  read_only
        .address_space:  global
        .offset:         24
        .size:           8
        .value_kind:     global_buffer
      - .actual_access:  read_only
        .address_space:  global
        .offset:         32
        .size:           8
        .value_kind:     global_buffer
      - .actual_access:  read_only
        .address_space:  global
        .offset:         40
        .size:           8
        .value_kind:     global_buffer
      - .address_space:  global
        .offset:         48
        .size:           8
        .value_kind:     global_buffer
      - .offset:         56
        .size:           8
        .value_kind:     by_value
      - .address_space:  global
        .offset:         64
        .size:           8
        .value_kind:     global_buffer
      - .actual_access:  read_only
        .address_space:  global
        .offset:         72
        .size:           8
        .value_kind:     global_buffer
      - .address_space:  global
        .offset:         80
        .size:           8
        .value_kind:     global_buffer
      - .offset:         88
        .size:           4
        .value_kind:     by_value
      - .offset:         92
        .size:           4
        .value_kind:     by_value
      - .offset:         96
        .size:           4
        .value_kind:     by_value
      - .offset:         100
        .size:           1
        .value_kind:     by_value
    .group_segment_fixed_size: 1024
    .kernarg_segment_align: 8
    .kernarg_segment_size: 104
    .language:       OpenCL C
    .language_version:
      - 2
      - 0
    .max_flat_workgroup_size: 128
    .name:           _ZN9rocsparseL5csrsmILj128ELj64ELb1EiifEEv20rocsparse_operation_T3_S2_NS_24const_host_device_scalarIT4_EEPKT2_PKS2_PKS4_PS4_lPiSA_PS2_21rocsparse_index_base_20rocsparse_fill_mode_20rocsparse_diag_type_b
    .private_segment_fixed_size: 0
    .sgpr_count:     34
    .sgpr_spill_count: 0
    .symbol:         _ZN9rocsparseL5csrsmILj128ELj64ELb1EiifEEv20rocsparse_operation_T3_S2_NS_24const_host_device_scalarIT4_EEPKT2_PKS2_PKS4_PS4_lPiSA_PS2_21rocsparse_index_base_20rocsparse_fill_mode_20rocsparse_diag_type_b.kd
    .uniform_work_group_size: 1
    .uses_dynamic_stack: false
    .vgpr_count:     14
    .vgpr_spill_count: 0
    .wavefront_size: 32
    .workgroup_processor_mode: 1
  - .args:
      - .offset:         0
        .size:           4
        .value_kind:     by_value
      - .offset:         4
        .size:           4
        .value_kind:     by_value
      - .offset:         8
        .size:           4
        .value_kind:     by_value
      - .offset:         16
        .size:           8
        .value_kind:     by_value
      - .actual_access:  read_only
        .address_space:  global
        .offset:         24
        .size:           8
        .value_kind:     global_buffer
      - .actual_access:  read_only
        .address_space:  global
        .offset:         32
        .size:           8
        .value_kind:     global_buffer
      - .actual_access:  read_only
        .address_space:  global
        .offset:         40
        .size:           8
        .value_kind:     global_buffer
      - .address_space:  global
        .offset:         48
        .size:           8
        .value_kind:     global_buffer
      - .offset:         56
        .size:           8
        .value_kind:     by_value
      - .address_space:  global
        .offset:         64
        .size:           8
        .value_kind:     global_buffer
      - .actual_access:  read_only
        .address_space:  global
        .offset:         72
        .size:           8
        .value_kind:     global_buffer
      - .address_space:  global
        .offset:         80
        .size:           8
        .value_kind:     global_buffer
      - .offset:         88
        .size:           4
        .value_kind:     by_value
      - .offset:         92
        .size:           4
        .value_kind:     by_value
      - .offset:         96
        .size:           4
        .value_kind:     by_value
      - .offset:         100
        .size:           1
        .value_kind:     by_value
    .group_segment_fixed_size: 1024
    .kernarg_segment_align: 8
    .kernarg_segment_size: 104
    .language:       OpenCL C
    .language_version:
      - 2
      - 0
    .max_flat_workgroup_size: 128
    .name:           _ZN9rocsparseL5csrsmILj128ELj64ELb0EiifEEv20rocsparse_operation_T3_S2_NS_24const_host_device_scalarIT4_EEPKT2_PKS2_PKS4_PS4_lPiSA_PS2_21rocsparse_index_base_20rocsparse_fill_mode_20rocsparse_diag_type_b
    .private_segment_fixed_size: 0
    .sgpr_count:     33
    .sgpr_spill_count: 0
    .symbol:         _ZN9rocsparseL5csrsmILj128ELj64ELb0EiifEEv20rocsparse_operation_T3_S2_NS_24const_host_device_scalarIT4_EEPKT2_PKS2_PKS4_PS4_lPiSA_PS2_21rocsparse_index_base_20rocsparse_fill_mode_20rocsparse_diag_type_b.kd
    .uniform_work_group_size: 1
    .uses_dynamic_stack: false
    .vgpr_count:     14
    .vgpr_spill_count: 0
    .wavefront_size: 32
    .workgroup_processor_mode: 1
  - .args:
      - .offset:         0
        .size:           4
        .value_kind:     by_value
      - .offset:         4
        .size:           4
        .value_kind:     by_value
      - .offset:         8
        .size:           4
        .value_kind:     by_value
      - .offset:         16
        .size:           8
        .value_kind:     by_value
      - .actual_access:  read_only
        .address_space:  global
        .offset:         24
        .size:           8
        .value_kind:     global_buffer
      - .actual_access:  read_only
        .address_space:  global
        .offset:         32
        .size:           8
        .value_kind:     global_buffer
      - .actual_access:  read_only
        .address_space:  global
        .offset:         40
        .size:           8
        .value_kind:     global_buffer
      - .address_space:  global
        .offset:         48
        .size:           8
        .value_kind:     global_buffer
      - .offset:         56
        .size:           8
        .value_kind:     by_value
      - .address_space:  global
        .offset:         64
        .size:           8
        .value_kind:     global_buffer
      - .actual_access:  read_only
        .address_space:  global
        .offset:         72
        .size:           8
        .value_kind:     global_buffer
      - .address_space:  global
        .offset:         80
        .size:           8
        .value_kind:     global_buffer
      - .offset:         88
        .size:           4
        .value_kind:     by_value
      - .offset:         92
        .size:           4
        .value_kind:     by_value
      - .offset:         96
        .size:           4
        .value_kind:     by_value
      - .offset:         100
        .size:           1
        .value_kind:     by_value
    .group_segment_fixed_size: 2048
    .kernarg_segment_align: 8
    .kernarg_segment_size: 104
    .language:       OpenCL C
    .language_version:
      - 2
      - 0
    .max_flat_workgroup_size: 256
    .name:           _ZN9rocsparseL5csrsmILj256ELj64ELb1EiifEEv20rocsparse_operation_T3_S2_NS_24const_host_device_scalarIT4_EEPKT2_PKS2_PKS4_PS4_lPiSA_PS2_21rocsparse_index_base_20rocsparse_fill_mode_20rocsparse_diag_type_b
    .private_segment_fixed_size: 0
    .sgpr_count:     34
    .sgpr_spill_count: 0
    .symbol:         _ZN9rocsparseL5csrsmILj256ELj64ELb1EiifEEv20rocsparse_operation_T3_S2_NS_24const_host_device_scalarIT4_EEPKT2_PKS2_PKS4_PS4_lPiSA_PS2_21rocsparse_index_base_20rocsparse_fill_mode_20rocsparse_diag_type_b.kd
    .uniform_work_group_size: 1
    .uses_dynamic_stack: false
    .vgpr_count:     14
    .vgpr_spill_count: 0
    .wavefront_size: 32
    .workgroup_processor_mode: 1
  - .args:
      - .offset:         0
        .size:           4
        .value_kind:     by_value
      - .offset:         4
        .size:           4
        .value_kind:     by_value
      - .offset:         8
        .size:           4
        .value_kind:     by_value
      - .offset:         16
        .size:           8
        .value_kind:     by_value
      - .actual_access:  read_only
        .address_space:  global
        .offset:         24
        .size:           8
        .value_kind:     global_buffer
      - .actual_access:  read_only
        .address_space:  global
        .offset:         32
        .size:           8
        .value_kind:     global_buffer
      - .actual_access:  read_only
        .address_space:  global
        .offset:         40
        .size:           8
        .value_kind:     global_buffer
      - .address_space:  global
        .offset:         48
        .size:           8
        .value_kind:     global_buffer
      - .offset:         56
        .size:           8
        .value_kind:     by_value
      - .address_space:  global
        .offset:         64
        .size:           8
        .value_kind:     global_buffer
      - .actual_access:  read_only
        .address_space:  global
        .offset:         72
        .size:           8
        .value_kind:     global_buffer
      - .address_space:  global
        .offset:         80
        .size:           8
        .value_kind:     global_buffer
      - .offset:         88
        .size:           4
        .value_kind:     by_value
      - .offset:         92
        .size:           4
        .value_kind:     by_value
      - .offset:         96
        .size:           4
        .value_kind:     by_value
      - .offset:         100
        .size:           1
        .value_kind:     by_value
    .group_segment_fixed_size: 2048
    .kernarg_segment_align: 8
    .kernarg_segment_size: 104
    .language:       OpenCL C
    .language_version:
      - 2
      - 0
    .max_flat_workgroup_size: 256
    .name:           _ZN9rocsparseL5csrsmILj256ELj64ELb0EiifEEv20rocsparse_operation_T3_S2_NS_24const_host_device_scalarIT4_EEPKT2_PKS2_PKS4_PS4_lPiSA_PS2_21rocsparse_index_base_20rocsparse_fill_mode_20rocsparse_diag_type_b
    .private_segment_fixed_size: 0
    .sgpr_count:     33
    .sgpr_spill_count: 0
    .symbol:         _ZN9rocsparseL5csrsmILj256ELj64ELb0EiifEEv20rocsparse_operation_T3_S2_NS_24const_host_device_scalarIT4_EEPKT2_PKS2_PKS4_PS4_lPiSA_PS2_21rocsparse_index_base_20rocsparse_fill_mode_20rocsparse_diag_type_b.kd
    .uniform_work_group_size: 1
    .uses_dynamic_stack: false
    .vgpr_count:     14
    .vgpr_spill_count: 0
    .wavefront_size: 32
    .workgroup_processor_mode: 1
  - .args:
      - .offset:         0
        .size:           4
        .value_kind:     by_value
      - .offset:         4
        .size:           4
        .value_kind:     by_value
      - .offset:         8
        .size:           4
        .value_kind:     by_value
      - .offset:         16
        .size:           8
        .value_kind:     by_value
      - .actual_access:  read_only
        .address_space:  global
        .offset:         24
        .size:           8
        .value_kind:     global_buffer
      - .actual_access:  read_only
        .address_space:  global
        .offset:         32
        .size:           8
        .value_kind:     global_buffer
      - .actual_access:  read_only
        .address_space:  global
        .offset:         40
        .size:           8
        .value_kind:     global_buffer
      - .address_space:  global
        .offset:         48
        .size:           8
        .value_kind:     global_buffer
      - .offset:         56
        .size:           8
        .value_kind:     by_value
      - .address_space:  global
        .offset:         64
        .size:           8
        .value_kind:     global_buffer
      - .actual_access:  read_only
        .address_space:  global
        .offset:         72
        .size:           8
        .value_kind:     global_buffer
      - .address_space:  global
        .offset:         80
        .size:           8
        .value_kind:     global_buffer
      - .offset:         88
        .size:           4
        .value_kind:     by_value
      - .offset:         92
        .size:           4
        .value_kind:     by_value
      - .offset:         96
        .size:           4
        .value_kind:     by_value
      - .offset:         100
        .size:           1
        .value_kind:     by_value
    .group_segment_fixed_size: 4096
    .kernarg_segment_align: 8
    .kernarg_segment_size: 104
    .language:       OpenCL C
    .language_version:
      - 2
      - 0
    .max_flat_workgroup_size: 512
    .name:           _ZN9rocsparseL5csrsmILj512ELj64ELb1EiifEEv20rocsparse_operation_T3_S2_NS_24const_host_device_scalarIT4_EEPKT2_PKS2_PKS4_PS4_lPiSA_PS2_21rocsparse_index_base_20rocsparse_fill_mode_20rocsparse_diag_type_b
    .private_segment_fixed_size: 0
    .sgpr_count:     34
    .sgpr_spill_count: 0
    .symbol:         _ZN9rocsparseL5csrsmILj512ELj64ELb1EiifEEv20rocsparse_operation_T3_S2_NS_24const_host_device_scalarIT4_EEPKT2_PKS2_PKS4_PS4_lPiSA_PS2_21rocsparse_index_base_20rocsparse_fill_mode_20rocsparse_diag_type_b.kd
    .uniform_work_group_size: 1
    .uses_dynamic_stack: false
    .vgpr_count:     14
    .vgpr_spill_count: 0
    .wavefront_size: 32
    .workgroup_processor_mode: 1
  - .args:
      - .offset:         0
        .size:           4
        .value_kind:     by_value
      - .offset:         4
        .size:           4
        .value_kind:     by_value
      - .offset:         8
        .size:           4
        .value_kind:     by_value
      - .offset:         16
        .size:           8
        .value_kind:     by_value
      - .actual_access:  read_only
        .address_space:  global
        .offset:         24
        .size:           8
        .value_kind:     global_buffer
      - .actual_access:  read_only
        .address_space:  global
        .offset:         32
        .size:           8
        .value_kind:     global_buffer
      - .actual_access:  read_only
        .address_space:  global
        .offset:         40
        .size:           8
        .value_kind:     global_buffer
      - .address_space:  global
        .offset:         48
        .size:           8
        .value_kind:     global_buffer
      - .offset:         56
        .size:           8
        .value_kind:     by_value
      - .address_space:  global
        .offset:         64
        .size:           8
        .value_kind:     global_buffer
      - .actual_access:  read_only
        .address_space:  global
        .offset:         72
        .size:           8
        .value_kind:     global_buffer
      - .address_space:  global
        .offset:         80
        .size:           8
        .value_kind:     global_buffer
      - .offset:         88
        .size:           4
        .value_kind:     by_value
      - .offset:         92
        .size:           4
        .value_kind:     by_value
      - .offset:         96
        .size:           4
        .value_kind:     by_value
      - .offset:         100
        .size:           1
        .value_kind:     by_value
    .group_segment_fixed_size: 4096
    .kernarg_segment_align: 8
    .kernarg_segment_size: 104
    .language:       OpenCL C
    .language_version:
      - 2
      - 0
    .max_flat_workgroup_size: 512
    .name:           _ZN9rocsparseL5csrsmILj512ELj64ELb0EiifEEv20rocsparse_operation_T3_S2_NS_24const_host_device_scalarIT4_EEPKT2_PKS2_PKS4_PS4_lPiSA_PS2_21rocsparse_index_base_20rocsparse_fill_mode_20rocsparse_diag_type_b
    .private_segment_fixed_size: 0
    .sgpr_count:     33
    .sgpr_spill_count: 0
    .symbol:         _ZN9rocsparseL5csrsmILj512ELj64ELb0EiifEEv20rocsparse_operation_T3_S2_NS_24const_host_device_scalarIT4_EEPKT2_PKS2_PKS4_PS4_lPiSA_PS2_21rocsparse_index_base_20rocsparse_fill_mode_20rocsparse_diag_type_b.kd
    .uniform_work_group_size: 1
    .uses_dynamic_stack: false
    .vgpr_count:     14
    .vgpr_spill_count: 0
    .wavefront_size: 32
    .workgroup_processor_mode: 1
  - .args:
      - .offset:         0
        .size:           4
        .value_kind:     by_value
      - .offset:         4
        .size:           4
        .value_kind:     by_value
      - .offset:         8
        .size:           4
        .value_kind:     by_value
      - .offset:         16
        .size:           8
        .value_kind:     by_value
      - .actual_access:  read_only
        .address_space:  global
        .offset:         24
        .size:           8
        .value_kind:     global_buffer
      - .actual_access:  read_only
        .address_space:  global
        .offset:         32
        .size:           8
        .value_kind:     global_buffer
      - .actual_access:  read_only
        .address_space:  global
        .offset:         40
        .size:           8
        .value_kind:     global_buffer
      - .address_space:  global
        .offset:         48
        .size:           8
        .value_kind:     global_buffer
      - .offset:         56
        .size:           8
        .value_kind:     by_value
      - .address_space:  global
        .offset:         64
        .size:           8
        .value_kind:     global_buffer
      - .actual_access:  read_only
        .address_space:  global
        .offset:         72
        .size:           8
        .value_kind:     global_buffer
      - .address_space:  global
        .offset:         80
        .size:           8
        .value_kind:     global_buffer
      - .offset:         88
        .size:           4
        .value_kind:     by_value
      - .offset:         92
        .size:           4
        .value_kind:     by_value
      - .offset:         96
        .size:           4
        .value_kind:     by_value
      - .offset:         100
        .size:           1
        .value_kind:     by_value
    .group_segment_fixed_size: 8192
    .kernarg_segment_align: 8
    .kernarg_segment_size: 104
    .language:       OpenCL C
    .language_version:
      - 2
      - 0
    .max_flat_workgroup_size: 1024
    .name:           _ZN9rocsparseL5csrsmILj1024ELj64ELb1EiifEEv20rocsparse_operation_T3_S2_NS_24const_host_device_scalarIT4_EEPKT2_PKS2_PKS4_PS4_lPiSA_PS2_21rocsparse_index_base_20rocsparse_fill_mode_20rocsparse_diag_type_b
    .private_segment_fixed_size: 0
    .sgpr_count:     34
    .sgpr_spill_count: 0
    .symbol:         _ZN9rocsparseL5csrsmILj1024ELj64ELb1EiifEEv20rocsparse_operation_T3_S2_NS_24const_host_device_scalarIT4_EEPKT2_PKS2_PKS4_PS4_lPiSA_PS2_21rocsparse_index_base_20rocsparse_fill_mode_20rocsparse_diag_type_b.kd
    .uniform_work_group_size: 1
    .uses_dynamic_stack: false
    .vgpr_count:     14
    .vgpr_spill_count: 0
    .wavefront_size: 32
    .workgroup_processor_mode: 1
  - .args:
      - .offset:         0
        .size:           4
        .value_kind:     by_value
      - .offset:         4
        .size:           4
        .value_kind:     by_value
      - .offset:         8
        .size:           4
        .value_kind:     by_value
      - .offset:         16
        .size:           8
        .value_kind:     by_value
      - .actual_access:  read_only
        .address_space:  global
        .offset:         24
        .size:           8
        .value_kind:     global_buffer
      - .actual_access:  read_only
        .address_space:  global
        .offset:         32
        .size:           8
        .value_kind:     global_buffer
      - .actual_access:  read_only
        .address_space:  global
        .offset:         40
        .size:           8
        .value_kind:     global_buffer
      - .address_space:  global
        .offset:         48
        .size:           8
        .value_kind:     global_buffer
      - .offset:         56
        .size:           8
        .value_kind:     by_value
      - .address_space:  global
        .offset:         64
        .size:           8
        .value_kind:     global_buffer
      - .actual_access:  read_only
        .address_space:  global
        .offset:         72
        .size:           8
        .value_kind:     global_buffer
      - .address_space:  global
        .offset:         80
        .size:           8
        .value_kind:     global_buffer
      - .offset:         88
        .size:           4
        .value_kind:     by_value
      - .offset:         92
        .size:           4
        .value_kind:     by_value
      - .offset:         96
        .size:           4
        .value_kind:     by_value
      - .offset:         100
        .size:           1
        .value_kind:     by_value
    .group_segment_fixed_size: 8192
    .kernarg_segment_align: 8
    .kernarg_segment_size: 104
    .language:       OpenCL C
    .language_version:
      - 2
      - 0
    .max_flat_workgroup_size: 1024
    .name:           _ZN9rocsparseL5csrsmILj1024ELj64ELb0EiifEEv20rocsparse_operation_T3_S2_NS_24const_host_device_scalarIT4_EEPKT2_PKS2_PKS4_PS4_lPiSA_PS2_21rocsparse_index_base_20rocsparse_fill_mode_20rocsparse_diag_type_b
    .private_segment_fixed_size: 0
    .sgpr_count:     33
    .sgpr_spill_count: 0
    .symbol:         _ZN9rocsparseL5csrsmILj1024ELj64ELb0EiifEEv20rocsparse_operation_T3_S2_NS_24const_host_device_scalarIT4_EEPKT2_PKS2_PKS4_PS4_lPiSA_PS2_21rocsparse_index_base_20rocsparse_fill_mode_20rocsparse_diag_type_b.kd
    .uniform_work_group_size: 1
    .uses_dynamic_stack: false
    .vgpr_count:     14
    .vgpr_spill_count: 0
    .wavefront_size: 32
    .workgroup_processor_mode: 1
  - .args:
      - .offset:         0
        .size:           8
        .value_kind:     by_value
      - .address_space:  global
        .offset:         8
        .size:           8
        .value_kind:     global_buffer
      - .offset:         16
        .size:           8
        .value_kind:     by_value
      - .address_space:  global
        .offset:         24
        .size:           8
        .value_kind:     global_buffer
    .group_segment_fixed_size: 0
    .kernarg_segment_align: 8
    .kernarg_segment_size: 32
    .language:       OpenCL C
    .language_version:
      - 2
      - 0
    .max_flat_workgroup_size: 1024
    .name:           _ZN9rocsparseL23csrsm_solve_copy_y_to_BILj1024EdEEvlPT0_lPKS1_
    .private_segment_fixed_size: 0
    .sgpr_count:     18
    .sgpr_spill_count: 0
    .symbol:         _ZN9rocsparseL23csrsm_solve_copy_y_to_BILj1024EdEEvlPT0_lPKS1_.kd
    .uniform_work_group_size: 1
    .uses_dynamic_stack: false
    .vgpr_count:     7
    .vgpr_spill_count: 0
    .wavefront_size: 32
    .workgroup_processor_mode: 1
  - .args:
      - .offset:         0
        .size:           4
        .value_kind:     by_value
      - .offset:         4
        .size:           4
        .value_kind:     by_value
      - .offset:         8
        .size:           4
        .value_kind:     by_value
      - .offset:         16
        .size:           8
        .value_kind:     by_value
      - .actual_access:  read_only
        .address_space:  global
        .offset:         24
        .size:           8
        .value_kind:     global_buffer
      - .actual_access:  read_only
        .address_space:  global
        .offset:         32
        .size:           8
        .value_kind:     global_buffer
      - .actual_access:  read_only
        .address_space:  global
        .offset:         40
        .size:           8
        .value_kind:     global_buffer
      - .address_space:  global
        .offset:         48
        .size:           8
        .value_kind:     global_buffer
      - .offset:         56
        .size:           8
        .value_kind:     by_value
      - .address_space:  global
        .offset:         64
        .size:           8
        .value_kind:     global_buffer
      - .actual_access:  read_only
        .address_space:  global
        .offset:         72
        .size:           8
        .value_kind:     global_buffer
      - .address_space:  global
        .offset:         80
        .size:           8
        .value_kind:     global_buffer
      - .offset:         88
        .size:           4
        .value_kind:     by_value
      - .offset:         92
        .size:           4
        .value_kind:     by_value
      - .offset:         96
        .size:           4
        .value_kind:     by_value
      - .offset:         100
        .size:           1
        .value_kind:     by_value
    .group_segment_fixed_size: 768
    .kernarg_segment_align: 8
    .kernarg_segment_size: 104
    .language:       OpenCL C
    .language_version:
      - 2
      - 0
    .max_flat_workgroup_size: 64
    .name:           _ZN9rocsparseL5csrsmILj64ELj64ELb1EiidEEv20rocsparse_operation_T3_S2_NS_24const_host_device_scalarIT4_EEPKT2_PKS2_PKS4_PS4_lPiSA_PS2_21rocsparse_index_base_20rocsparse_fill_mode_20rocsparse_diag_type_b
    .private_segment_fixed_size: 0
    .sgpr_count:     34
    .sgpr_spill_count: 0
    .symbol:         _ZN9rocsparseL5csrsmILj64ELj64ELb1EiidEEv20rocsparse_operation_T3_S2_NS_24const_host_device_scalarIT4_EEPKT2_PKS2_PKS4_PS4_lPiSA_PS2_21rocsparse_index_base_20rocsparse_fill_mode_20rocsparse_diag_type_b.kd
    .uniform_work_group_size: 1
    .uses_dynamic_stack: false
    .vgpr_count:     21
    .vgpr_spill_count: 0
    .wavefront_size: 32
    .workgroup_processor_mode: 1
  - .args:
      - .offset:         0
        .size:           4
        .value_kind:     by_value
      - .offset:         4
        .size:           4
        .value_kind:     by_value
      - .offset:         8
        .size:           4
        .value_kind:     by_value
      - .offset:         16
        .size:           8
        .value_kind:     by_value
      - .actual_access:  read_only
        .address_space:  global
        .offset:         24
        .size:           8
        .value_kind:     global_buffer
      - .actual_access:  read_only
        .address_space:  global
        .offset:         32
        .size:           8
        .value_kind:     global_buffer
      - .actual_access:  read_only
        .address_space:  global
        .offset:         40
        .size:           8
        .value_kind:     global_buffer
      - .address_space:  global
        .offset:         48
        .size:           8
        .value_kind:     global_buffer
      - .offset:         56
        .size:           8
        .value_kind:     by_value
      - .address_space:  global
        .offset:         64
        .size:           8
        .value_kind:     global_buffer
      - .actual_access:  read_only
        .address_space:  global
        .offset:         72
        .size:           8
        .value_kind:     global_buffer
      - .address_space:  global
        .offset:         80
        .size:           8
        .value_kind:     global_buffer
      - .offset:         88
        .size:           4
        .value_kind:     by_value
      - .offset:         92
        .size:           4
        .value_kind:     by_value
      - .offset:         96
        .size:           4
        .value_kind:     by_value
      - .offset:         100
        .size:           1
        .value_kind:     by_value
    .group_segment_fixed_size: 768
    .kernarg_segment_align: 8
    .kernarg_segment_size: 104
    .language:       OpenCL C
    .language_version:
      - 2
      - 0
    .max_flat_workgroup_size: 64
    .name:           _ZN9rocsparseL5csrsmILj64ELj64ELb0EiidEEv20rocsparse_operation_T3_S2_NS_24const_host_device_scalarIT4_EEPKT2_PKS2_PKS4_PS4_lPiSA_PS2_21rocsparse_index_base_20rocsparse_fill_mode_20rocsparse_diag_type_b
    .private_segment_fixed_size: 0
    .sgpr_count:     33
    .sgpr_spill_count: 0
    .symbol:         _ZN9rocsparseL5csrsmILj64ELj64ELb0EiidEEv20rocsparse_operation_T3_S2_NS_24const_host_device_scalarIT4_EEPKT2_PKS2_PKS4_PS4_lPiSA_PS2_21rocsparse_index_base_20rocsparse_fill_mode_20rocsparse_diag_type_b.kd
    .uniform_work_group_size: 1
    .uses_dynamic_stack: false
    .vgpr_count:     21
    .vgpr_spill_count: 0
    .wavefront_size: 32
    .workgroup_processor_mode: 1
  - .args:
      - .offset:         0
        .size:           4
        .value_kind:     by_value
      - .offset:         4
        .size:           4
        .value_kind:     by_value
      - .offset:         8
        .size:           4
        .value_kind:     by_value
      - .offset:         16
        .size:           8
        .value_kind:     by_value
      - .actual_access:  read_only
        .address_space:  global
        .offset:         24
        .size:           8
        .value_kind:     global_buffer
      - .actual_access:  read_only
        .address_space:  global
        .offset:         32
        .size:           8
        .value_kind:     global_buffer
      - .actual_access:  read_only
        .address_space:  global
        .offset:         40
        .size:           8
        .value_kind:     global_buffer
      - .address_space:  global
        .offset:         48
        .size:           8
        .value_kind:     global_buffer
      - .offset:         56
        .size:           8
        .value_kind:     by_value
      - .address_space:  global
        .offset:         64
        .size:           8
        .value_kind:     global_buffer
      - .actual_access:  read_only
        .address_space:  global
        .offset:         72
        .size:           8
        .value_kind:     global_buffer
      - .address_space:  global
        .offset:         80
        .size:           8
        .value_kind:     global_buffer
      - .offset:         88
        .size:           4
        .value_kind:     by_value
      - .offset:         92
        .size:           4
        .value_kind:     by_value
      - .offset:         96
        .size:           4
        .value_kind:     by_value
      - .offset:         100
        .size:           1
        .value_kind:     by_value
    .group_segment_fixed_size: 1536
    .kernarg_segment_align: 8
    .kernarg_segment_size: 104
    .language:       OpenCL C
    .language_version:
      - 2
      - 0
    .max_flat_workgroup_size: 128
    .name:           _ZN9rocsparseL5csrsmILj128ELj64ELb1EiidEEv20rocsparse_operation_T3_S2_NS_24const_host_device_scalarIT4_EEPKT2_PKS2_PKS4_PS4_lPiSA_PS2_21rocsparse_index_base_20rocsparse_fill_mode_20rocsparse_diag_type_b
    .private_segment_fixed_size: 0
    .sgpr_count:     34
    .sgpr_spill_count: 0
    .symbol:         _ZN9rocsparseL5csrsmILj128ELj64ELb1EiidEEv20rocsparse_operation_T3_S2_NS_24const_host_device_scalarIT4_EEPKT2_PKS2_PKS4_PS4_lPiSA_PS2_21rocsparse_index_base_20rocsparse_fill_mode_20rocsparse_diag_type_b.kd
    .uniform_work_group_size: 1
    .uses_dynamic_stack: false
    .vgpr_count:     21
    .vgpr_spill_count: 0
    .wavefront_size: 32
    .workgroup_processor_mode: 1
  - .args:
      - .offset:         0
        .size:           4
        .value_kind:     by_value
      - .offset:         4
        .size:           4
        .value_kind:     by_value
      - .offset:         8
        .size:           4
        .value_kind:     by_value
      - .offset:         16
        .size:           8
        .value_kind:     by_value
      - .actual_access:  read_only
        .address_space:  global
        .offset:         24
        .size:           8
        .value_kind:     global_buffer
      - .actual_access:  read_only
        .address_space:  global
        .offset:         32
        .size:           8
        .value_kind:     global_buffer
      - .actual_access:  read_only
        .address_space:  global
        .offset:         40
        .size:           8
        .value_kind:     global_buffer
      - .address_space:  global
        .offset:         48
        .size:           8
        .value_kind:     global_buffer
      - .offset:         56
        .size:           8
        .value_kind:     by_value
      - .address_space:  global
        .offset:         64
        .size:           8
        .value_kind:     global_buffer
      - .actual_access:  read_only
        .address_space:  global
        .offset:         72
        .size:           8
        .value_kind:     global_buffer
      - .address_space:  global
        .offset:         80
        .size:           8
        .value_kind:     global_buffer
      - .offset:         88
        .size:           4
        .value_kind:     by_value
      - .offset:         92
        .size:           4
        .value_kind:     by_value
      - .offset:         96
        .size:           4
        .value_kind:     by_value
      - .offset:         100
        .size:           1
        .value_kind:     by_value
    .group_segment_fixed_size: 1536
    .kernarg_segment_align: 8
    .kernarg_segment_size: 104
    .language:       OpenCL C
    .language_version:
      - 2
      - 0
    .max_flat_workgroup_size: 128
    .name:           _ZN9rocsparseL5csrsmILj128ELj64ELb0EiidEEv20rocsparse_operation_T3_S2_NS_24const_host_device_scalarIT4_EEPKT2_PKS2_PKS4_PS4_lPiSA_PS2_21rocsparse_index_base_20rocsparse_fill_mode_20rocsparse_diag_type_b
    .private_segment_fixed_size: 0
    .sgpr_count:     33
    .sgpr_spill_count: 0
    .symbol:         _ZN9rocsparseL5csrsmILj128ELj64ELb0EiidEEv20rocsparse_operation_T3_S2_NS_24const_host_device_scalarIT4_EEPKT2_PKS2_PKS4_PS4_lPiSA_PS2_21rocsparse_index_base_20rocsparse_fill_mode_20rocsparse_diag_type_b.kd
    .uniform_work_group_size: 1
    .uses_dynamic_stack: false
    .vgpr_count:     21
    .vgpr_spill_count: 0
    .wavefront_size: 32
    .workgroup_processor_mode: 1
  - .args:
      - .offset:         0
        .size:           4
        .value_kind:     by_value
      - .offset:         4
        .size:           4
        .value_kind:     by_value
      - .offset:         8
        .size:           4
        .value_kind:     by_value
      - .offset:         16
        .size:           8
        .value_kind:     by_value
      - .actual_access:  read_only
        .address_space:  global
        .offset:         24
        .size:           8
        .value_kind:     global_buffer
      - .actual_access:  read_only
        .address_space:  global
        .offset:         32
        .size:           8
        .value_kind:     global_buffer
      - .actual_access:  read_only
        .address_space:  global
        .offset:         40
        .size:           8
        .value_kind:     global_buffer
      - .address_space:  global
        .offset:         48
        .size:           8
        .value_kind:     global_buffer
      - .offset:         56
        .size:           8
        .value_kind:     by_value
      - .address_space:  global
        .offset:         64
        .size:           8
        .value_kind:     global_buffer
      - .actual_access:  read_only
        .address_space:  global
        .offset:         72
        .size:           8
        .value_kind:     global_buffer
      - .address_space:  global
        .offset:         80
        .size:           8
        .value_kind:     global_buffer
      - .offset:         88
        .size:           4
        .value_kind:     by_value
      - .offset:         92
        .size:           4
        .value_kind:     by_value
      - .offset:         96
        .size:           4
        .value_kind:     by_value
      - .offset:         100
        .size:           1
        .value_kind:     by_value
    .group_segment_fixed_size: 3072
    .kernarg_segment_align: 8
    .kernarg_segment_size: 104
    .language:       OpenCL C
    .language_version:
      - 2
      - 0
    .max_flat_workgroup_size: 256
    .name:           _ZN9rocsparseL5csrsmILj256ELj64ELb1EiidEEv20rocsparse_operation_T3_S2_NS_24const_host_device_scalarIT4_EEPKT2_PKS2_PKS4_PS4_lPiSA_PS2_21rocsparse_index_base_20rocsparse_fill_mode_20rocsparse_diag_type_b
    .private_segment_fixed_size: 0
    .sgpr_count:     34
    .sgpr_spill_count: 0
    .symbol:         _ZN9rocsparseL5csrsmILj256ELj64ELb1EiidEEv20rocsparse_operation_T3_S2_NS_24const_host_device_scalarIT4_EEPKT2_PKS2_PKS4_PS4_lPiSA_PS2_21rocsparse_index_base_20rocsparse_fill_mode_20rocsparse_diag_type_b.kd
    .uniform_work_group_size: 1
    .uses_dynamic_stack: false
    .vgpr_count:     21
    .vgpr_spill_count: 0
    .wavefront_size: 32
    .workgroup_processor_mode: 1
  - .args:
      - .offset:         0
        .size:           4
        .value_kind:     by_value
      - .offset:         4
        .size:           4
        .value_kind:     by_value
      - .offset:         8
        .size:           4
        .value_kind:     by_value
      - .offset:         16
        .size:           8
        .value_kind:     by_value
      - .actual_access:  read_only
        .address_space:  global
        .offset:         24
        .size:           8
        .value_kind:     global_buffer
      - .actual_access:  read_only
        .address_space:  global
        .offset:         32
        .size:           8
        .value_kind:     global_buffer
      - .actual_access:  read_only
        .address_space:  global
        .offset:         40
        .size:           8
        .value_kind:     global_buffer
      - .address_space:  global
        .offset:         48
        .size:           8
        .value_kind:     global_buffer
      - .offset:         56
        .size:           8
        .value_kind:     by_value
      - .address_space:  global
        .offset:         64
        .size:           8
        .value_kind:     global_buffer
      - .actual_access:  read_only
        .address_space:  global
        .offset:         72
        .size:           8
        .value_kind:     global_buffer
      - .address_space:  global
        .offset:         80
        .size:           8
        .value_kind:     global_buffer
      - .offset:         88
        .size:           4
        .value_kind:     by_value
      - .offset:         92
        .size:           4
        .value_kind:     by_value
      - .offset:         96
        .size:           4
        .value_kind:     by_value
      - .offset:         100
        .size:           1
        .value_kind:     by_value
    .group_segment_fixed_size: 3072
    .kernarg_segment_align: 8
    .kernarg_segment_size: 104
    .language:       OpenCL C
    .language_version:
      - 2
      - 0
    .max_flat_workgroup_size: 256
    .name:           _ZN9rocsparseL5csrsmILj256ELj64ELb0EiidEEv20rocsparse_operation_T3_S2_NS_24const_host_device_scalarIT4_EEPKT2_PKS2_PKS4_PS4_lPiSA_PS2_21rocsparse_index_base_20rocsparse_fill_mode_20rocsparse_diag_type_b
    .private_segment_fixed_size: 0
    .sgpr_count:     33
    .sgpr_spill_count: 0
    .symbol:         _ZN9rocsparseL5csrsmILj256ELj64ELb0EiidEEv20rocsparse_operation_T3_S2_NS_24const_host_device_scalarIT4_EEPKT2_PKS2_PKS4_PS4_lPiSA_PS2_21rocsparse_index_base_20rocsparse_fill_mode_20rocsparse_diag_type_b.kd
    .uniform_work_group_size: 1
    .uses_dynamic_stack: false
    .vgpr_count:     21
    .vgpr_spill_count: 0
    .wavefront_size: 32
    .workgroup_processor_mode: 1
  - .args:
      - .offset:         0
        .size:           4
        .value_kind:     by_value
      - .offset:         4
        .size:           4
        .value_kind:     by_value
      - .offset:         8
        .size:           4
        .value_kind:     by_value
      - .offset:         16
        .size:           8
        .value_kind:     by_value
      - .actual_access:  read_only
        .address_space:  global
        .offset:         24
        .size:           8
        .value_kind:     global_buffer
      - .actual_access:  read_only
        .address_space:  global
        .offset:         32
        .size:           8
        .value_kind:     global_buffer
      - .actual_access:  read_only
        .address_space:  global
        .offset:         40
        .size:           8
        .value_kind:     global_buffer
      - .address_space:  global
        .offset:         48
        .size:           8
        .value_kind:     global_buffer
      - .offset:         56
        .size:           8
        .value_kind:     by_value
      - .address_space:  global
        .offset:         64
        .size:           8
        .value_kind:     global_buffer
      - .actual_access:  read_only
        .address_space:  global
        .offset:         72
        .size:           8
        .value_kind:     global_buffer
      - .address_space:  global
        .offset:         80
        .size:           8
        .value_kind:     global_buffer
      - .offset:         88
        .size:           4
        .value_kind:     by_value
      - .offset:         92
        .size:           4
        .value_kind:     by_value
      - .offset:         96
        .size:           4
        .value_kind:     by_value
      - .offset:         100
        .size:           1
        .value_kind:     by_value
    .group_segment_fixed_size: 6144
    .kernarg_segment_align: 8
    .kernarg_segment_size: 104
    .language:       OpenCL C
    .language_version:
      - 2
      - 0
    .max_flat_workgroup_size: 512
    .name:           _ZN9rocsparseL5csrsmILj512ELj64ELb1EiidEEv20rocsparse_operation_T3_S2_NS_24const_host_device_scalarIT4_EEPKT2_PKS2_PKS4_PS4_lPiSA_PS2_21rocsparse_index_base_20rocsparse_fill_mode_20rocsparse_diag_type_b
    .private_segment_fixed_size: 0
    .sgpr_count:     34
    .sgpr_spill_count: 0
    .symbol:         _ZN9rocsparseL5csrsmILj512ELj64ELb1EiidEEv20rocsparse_operation_T3_S2_NS_24const_host_device_scalarIT4_EEPKT2_PKS2_PKS4_PS4_lPiSA_PS2_21rocsparse_index_base_20rocsparse_fill_mode_20rocsparse_diag_type_b.kd
    .uniform_work_group_size: 1
    .uses_dynamic_stack: false
    .vgpr_count:     21
    .vgpr_spill_count: 0
    .wavefront_size: 32
    .workgroup_processor_mode: 1
  - .args:
      - .offset:         0
        .size:           4
        .value_kind:     by_value
      - .offset:         4
        .size:           4
        .value_kind:     by_value
      - .offset:         8
        .size:           4
        .value_kind:     by_value
      - .offset:         16
        .size:           8
        .value_kind:     by_value
      - .actual_access:  read_only
        .address_space:  global
        .offset:         24
        .size:           8
        .value_kind:     global_buffer
      - .actual_access:  read_only
        .address_space:  global
        .offset:         32
        .size:           8
        .value_kind:     global_buffer
      - .actual_access:  read_only
        .address_space:  global
        .offset:         40
        .size:           8
        .value_kind:     global_buffer
      - .address_space:  global
        .offset:         48
        .size:           8
        .value_kind:     global_buffer
      - .offset:         56
        .size:           8
        .value_kind:     by_value
      - .address_space:  global
        .offset:         64
        .size:           8
        .value_kind:     global_buffer
      - .actual_access:  read_only
        .address_space:  global
        .offset:         72
        .size:           8
        .value_kind:     global_buffer
      - .address_space:  global
        .offset:         80
        .size:           8
        .value_kind:     global_buffer
      - .offset:         88
        .size:           4
        .value_kind:     by_value
      - .offset:         92
        .size:           4
        .value_kind:     by_value
      - .offset:         96
        .size:           4
        .value_kind:     by_value
      - .offset:         100
        .size:           1
        .value_kind:     by_value
    .group_segment_fixed_size: 6144
    .kernarg_segment_align: 8
    .kernarg_segment_size: 104
    .language:       OpenCL C
    .language_version:
      - 2
      - 0
    .max_flat_workgroup_size: 512
    .name:           _ZN9rocsparseL5csrsmILj512ELj64ELb0EiidEEv20rocsparse_operation_T3_S2_NS_24const_host_device_scalarIT4_EEPKT2_PKS2_PKS4_PS4_lPiSA_PS2_21rocsparse_index_base_20rocsparse_fill_mode_20rocsparse_diag_type_b
    .private_segment_fixed_size: 0
    .sgpr_count:     33
    .sgpr_spill_count: 0
    .symbol:         _ZN9rocsparseL5csrsmILj512ELj64ELb0EiidEEv20rocsparse_operation_T3_S2_NS_24const_host_device_scalarIT4_EEPKT2_PKS2_PKS4_PS4_lPiSA_PS2_21rocsparse_index_base_20rocsparse_fill_mode_20rocsparse_diag_type_b.kd
    .uniform_work_group_size: 1
    .uses_dynamic_stack: false
    .vgpr_count:     21
    .vgpr_spill_count: 0
    .wavefront_size: 32
    .workgroup_processor_mode: 1
  - .args:
      - .offset:         0
        .size:           4
        .value_kind:     by_value
      - .offset:         4
        .size:           4
        .value_kind:     by_value
      - .offset:         8
        .size:           4
        .value_kind:     by_value
      - .offset:         16
        .size:           8
        .value_kind:     by_value
      - .actual_access:  read_only
        .address_space:  global
        .offset:         24
        .size:           8
        .value_kind:     global_buffer
      - .actual_access:  read_only
        .address_space:  global
        .offset:         32
        .size:           8
        .value_kind:     global_buffer
      - .actual_access:  read_only
        .address_space:  global
        .offset:         40
        .size:           8
        .value_kind:     global_buffer
      - .address_space:  global
        .offset:         48
        .size:           8
        .value_kind:     global_buffer
      - .offset:         56
        .size:           8
        .value_kind:     by_value
      - .address_space:  global
        .offset:         64
        .size:           8
        .value_kind:     global_buffer
      - .actual_access:  read_only
        .address_space:  global
        .offset:         72
        .size:           8
        .value_kind:     global_buffer
      - .address_space:  global
        .offset:         80
        .size:           8
        .value_kind:     global_buffer
      - .offset:         88
        .size:           4
        .value_kind:     by_value
      - .offset:         92
        .size:           4
        .value_kind:     by_value
      - .offset:         96
        .size:           4
        .value_kind:     by_value
      - .offset:         100
        .size:           1
        .value_kind:     by_value
    .group_segment_fixed_size: 12288
    .kernarg_segment_align: 8
    .kernarg_segment_size: 104
    .language:       OpenCL C
    .language_version:
      - 2
      - 0
    .max_flat_workgroup_size: 1024
    .name:           _ZN9rocsparseL5csrsmILj1024ELj64ELb1EiidEEv20rocsparse_operation_T3_S2_NS_24const_host_device_scalarIT4_EEPKT2_PKS2_PKS4_PS4_lPiSA_PS2_21rocsparse_index_base_20rocsparse_fill_mode_20rocsparse_diag_type_b
    .private_segment_fixed_size: 0
    .sgpr_count:     34
    .sgpr_spill_count: 0
    .symbol:         _ZN9rocsparseL5csrsmILj1024ELj64ELb1EiidEEv20rocsparse_operation_T3_S2_NS_24const_host_device_scalarIT4_EEPKT2_PKS2_PKS4_PS4_lPiSA_PS2_21rocsparse_index_base_20rocsparse_fill_mode_20rocsparse_diag_type_b.kd
    .uniform_work_group_size: 1
    .uses_dynamic_stack: false
    .vgpr_count:     21
    .vgpr_spill_count: 0
    .wavefront_size: 32
    .workgroup_processor_mode: 1
  - .args:
      - .offset:         0
        .size:           4
        .value_kind:     by_value
      - .offset:         4
        .size:           4
        .value_kind:     by_value
      - .offset:         8
        .size:           4
        .value_kind:     by_value
      - .offset:         16
        .size:           8
        .value_kind:     by_value
      - .actual_access:  read_only
        .address_space:  global
        .offset:         24
        .size:           8
        .value_kind:     global_buffer
      - .actual_access:  read_only
        .address_space:  global
        .offset:         32
        .size:           8
        .value_kind:     global_buffer
      - .actual_access:  read_only
        .address_space:  global
        .offset:         40
        .size:           8
        .value_kind:     global_buffer
      - .address_space:  global
        .offset:         48
        .size:           8
        .value_kind:     global_buffer
      - .offset:         56
        .size:           8
        .value_kind:     by_value
      - .address_space:  global
        .offset:         64
        .size:           8
        .value_kind:     global_buffer
      - .actual_access:  read_only
        .address_space:  global
        .offset:         72
        .size:           8
        .value_kind:     global_buffer
      - .address_space:  global
        .offset:         80
        .size:           8
        .value_kind:     global_buffer
      - .offset:         88
        .size:           4
        .value_kind:     by_value
      - .offset:         92
        .size:           4
        .value_kind:     by_value
      - .offset:         96
        .size:           4
        .value_kind:     by_value
      - .offset:         100
        .size:           1
        .value_kind:     by_value
    .group_segment_fixed_size: 12288
    .kernarg_segment_align: 8
    .kernarg_segment_size: 104
    .language:       OpenCL C
    .language_version:
      - 2
      - 0
    .max_flat_workgroup_size: 1024
    .name:           _ZN9rocsparseL5csrsmILj1024ELj64ELb0EiidEEv20rocsparse_operation_T3_S2_NS_24const_host_device_scalarIT4_EEPKT2_PKS2_PKS4_PS4_lPiSA_PS2_21rocsparse_index_base_20rocsparse_fill_mode_20rocsparse_diag_type_b
    .private_segment_fixed_size: 0
    .sgpr_count:     33
    .sgpr_spill_count: 0
    .symbol:         _ZN9rocsparseL5csrsmILj1024ELj64ELb0EiidEEv20rocsparse_operation_T3_S2_NS_24const_host_device_scalarIT4_EEPKT2_PKS2_PKS4_PS4_lPiSA_PS2_21rocsparse_index_base_20rocsparse_fill_mode_20rocsparse_diag_type_b.kd
    .uniform_work_group_size: 1
    .uses_dynamic_stack: false
    .vgpr_count:     21
    .vgpr_spill_count: 0
    .wavefront_size: 32
    .workgroup_processor_mode: 1
  - .args:
      - .offset:         0
        .size:           8
        .value_kind:     by_value
      - .address_space:  global
        .offset:         8
        .size:           8
        .value_kind:     global_buffer
      - .offset:         16
        .size:           8
        .value_kind:     by_value
      - .address_space:  global
        .offset:         24
        .size:           8
        .value_kind:     global_buffer
    .group_segment_fixed_size: 0
    .kernarg_segment_align: 8
    .kernarg_segment_size: 32
    .language:       OpenCL C
    .language_version:
      - 2
      - 0
    .max_flat_workgroup_size: 1024
    .name:           _ZN9rocsparseL23csrsm_solve_copy_y_to_BILj1024E21rocsparse_complex_numIfEEEvlPT0_lPKS3_
    .private_segment_fixed_size: 0
    .sgpr_count:     18
    .sgpr_spill_count: 0
    .symbol:         _ZN9rocsparseL23csrsm_solve_copy_y_to_BILj1024E21rocsparse_complex_numIfEEEvlPT0_lPKS3_.kd
    .uniform_work_group_size: 1
    .uses_dynamic_stack: false
    .vgpr_count:     7
    .vgpr_spill_count: 0
    .wavefront_size: 32
    .workgroup_processor_mode: 1
  - .args:
      - .offset:         0
        .size:           4
        .value_kind:     by_value
      - .offset:         4
        .size:           4
        .value_kind:     by_value
      - .offset:         8
        .size:           4
        .value_kind:     by_value
      - .offset:         16
        .size:           8
        .value_kind:     by_value
      - .actual_access:  read_only
        .address_space:  global
        .offset:         24
        .size:           8
        .value_kind:     global_buffer
      - .actual_access:  read_only
        .address_space:  global
        .offset:         32
        .size:           8
        .value_kind:     global_buffer
      - .actual_access:  read_only
        .address_space:  global
        .offset:         40
        .size:           8
        .value_kind:     global_buffer
      - .address_space:  global
        .offset:         48
        .size:           8
        .value_kind:     global_buffer
      - .offset:         56
        .size:           8
        .value_kind:     by_value
      - .address_space:  global
        .offset:         64
        .size:           8
        .value_kind:     global_buffer
      - .actual_access:  read_only
        .address_space:  global
        .offset:         72
        .size:           8
        .value_kind:     global_buffer
      - .address_space:  global
        .offset:         80
        .size:           8
        .value_kind:     global_buffer
      - .offset:         88
        .size:           4
        .value_kind:     by_value
      - .offset:         92
        .size:           4
        .value_kind:     by_value
      - .offset:         96
        .size:           4
        .value_kind:     by_value
      - .offset:         100
        .size:           1
        .value_kind:     by_value
    .group_segment_fixed_size: 768
    .kernarg_segment_align: 8
    .kernarg_segment_size: 104
    .language:       OpenCL C
    .language_version:
      - 2
      - 0
    .max_flat_workgroup_size: 64
    .name:           _ZN9rocsparseL5csrsmILj64ELj64ELb1Eii21rocsparse_complex_numIfEEEv20rocsparse_operation_T3_S4_NS_24const_host_device_scalarIT4_EEPKT2_PKS4_PKS6_PS6_lPiSC_PS4_21rocsparse_index_base_20rocsparse_fill_mode_20rocsparse_diag_type_b
    .private_segment_fixed_size: 0
    .sgpr_count:     32
    .sgpr_spill_count: 0
    .symbol:         _ZN9rocsparseL5csrsmILj64ELj64ELb1Eii21rocsparse_complex_numIfEEEv20rocsparse_operation_T3_S4_NS_24const_host_device_scalarIT4_EEPKT2_PKS4_PKS6_PS6_lPiSC_PS4_21rocsparse_index_base_20rocsparse_fill_mode_20rocsparse_diag_type_b.kd
    .uniform_work_group_size: 1
    .uses_dynamic_stack: false
    .vgpr_count:     18
    .vgpr_spill_count: 0
    .wavefront_size: 32
    .workgroup_processor_mode: 1
  - .args:
      - .offset:         0
        .size:           4
        .value_kind:     by_value
      - .offset:         4
        .size:           4
        .value_kind:     by_value
      - .offset:         8
        .size:           4
        .value_kind:     by_value
      - .offset:         16
        .size:           8
        .value_kind:     by_value
      - .actual_access:  read_only
        .address_space:  global
        .offset:         24
        .size:           8
        .value_kind:     global_buffer
      - .actual_access:  read_only
        .address_space:  global
        .offset:         32
        .size:           8
        .value_kind:     global_buffer
      - .actual_access:  read_only
        .address_space:  global
        .offset:         40
        .size:           8
        .value_kind:     global_buffer
      - .address_space:  global
        .offset:         48
        .size:           8
        .value_kind:     global_buffer
      - .offset:         56
        .size:           8
        .value_kind:     by_value
      - .address_space:  global
        .offset:         64
        .size:           8
        .value_kind:     global_buffer
      - .actual_access:  read_only
        .address_space:  global
        .offset:         72
        .size:           8
        .value_kind:     global_buffer
      - .address_space:  global
        .offset:         80
        .size:           8
        .value_kind:     global_buffer
      - .offset:         88
        .size:           4
        .value_kind:     by_value
      - .offset:         92
        .size:           4
        .value_kind:     by_value
      - .offset:         96
        .size:           4
        .value_kind:     by_value
      - .offset:         100
        .size:           1
        .value_kind:     by_value
    .group_segment_fixed_size: 768
    .kernarg_segment_align: 8
    .kernarg_segment_size: 104
    .language:       OpenCL C
    .language_version:
      - 2
      - 0
    .max_flat_workgroup_size: 64
    .name:           _ZN9rocsparseL5csrsmILj64ELj64ELb0Eii21rocsparse_complex_numIfEEEv20rocsparse_operation_T3_S4_NS_24const_host_device_scalarIT4_EEPKT2_PKS4_PKS6_PS6_lPiSC_PS4_21rocsparse_index_base_20rocsparse_fill_mode_20rocsparse_diag_type_b
    .private_segment_fixed_size: 0
    .sgpr_count:     32
    .sgpr_spill_count: 0
    .symbol:         _ZN9rocsparseL5csrsmILj64ELj64ELb0Eii21rocsparse_complex_numIfEEEv20rocsparse_operation_T3_S4_NS_24const_host_device_scalarIT4_EEPKT2_PKS4_PKS6_PS6_lPiSC_PS4_21rocsparse_index_base_20rocsparse_fill_mode_20rocsparse_diag_type_b.kd
    .uniform_work_group_size: 1
    .uses_dynamic_stack: false
    .vgpr_count:     18
    .vgpr_spill_count: 0
    .wavefront_size: 32
    .workgroup_processor_mode: 1
  - .args:
      - .offset:         0
        .size:           4
        .value_kind:     by_value
      - .offset:         4
        .size:           4
        .value_kind:     by_value
      - .offset:         8
        .size:           4
        .value_kind:     by_value
      - .offset:         16
        .size:           8
        .value_kind:     by_value
      - .actual_access:  read_only
        .address_space:  global
        .offset:         24
        .size:           8
        .value_kind:     global_buffer
      - .actual_access:  read_only
        .address_space:  global
        .offset:         32
        .size:           8
        .value_kind:     global_buffer
      - .actual_access:  read_only
        .address_space:  global
        .offset:         40
        .size:           8
        .value_kind:     global_buffer
      - .address_space:  global
        .offset:         48
        .size:           8
        .value_kind:     global_buffer
      - .offset:         56
        .size:           8
        .value_kind:     by_value
      - .address_space:  global
        .offset:         64
        .size:           8
        .value_kind:     global_buffer
      - .actual_access:  read_only
        .address_space:  global
        .offset:         72
        .size:           8
        .value_kind:     global_buffer
      - .address_space:  global
        .offset:         80
        .size:           8
        .value_kind:     global_buffer
      - .offset:         88
        .size:           4
        .value_kind:     by_value
      - .offset:         92
        .size:           4
        .value_kind:     by_value
      - .offset:         96
        .size:           4
        .value_kind:     by_value
      - .offset:         100
        .size:           1
        .value_kind:     by_value
    .group_segment_fixed_size: 1536
    .kernarg_segment_align: 8
    .kernarg_segment_size: 104
    .language:       OpenCL C
    .language_version:
      - 2
      - 0
    .max_flat_workgroup_size: 128
    .name:           _ZN9rocsparseL5csrsmILj128ELj64ELb1Eii21rocsparse_complex_numIfEEEv20rocsparse_operation_T3_S4_NS_24const_host_device_scalarIT4_EEPKT2_PKS4_PKS6_PS6_lPiSC_PS4_21rocsparse_index_base_20rocsparse_fill_mode_20rocsparse_diag_type_b
    .private_segment_fixed_size: 0
    .sgpr_count:     32
    .sgpr_spill_count: 0
    .symbol:         _ZN9rocsparseL5csrsmILj128ELj64ELb1Eii21rocsparse_complex_numIfEEEv20rocsparse_operation_T3_S4_NS_24const_host_device_scalarIT4_EEPKT2_PKS4_PKS6_PS6_lPiSC_PS4_21rocsparse_index_base_20rocsparse_fill_mode_20rocsparse_diag_type_b.kd
    .uniform_work_group_size: 1
    .uses_dynamic_stack: false
    .vgpr_count:     18
    .vgpr_spill_count: 0
    .wavefront_size: 32
    .workgroup_processor_mode: 1
  - .args:
      - .offset:         0
        .size:           4
        .value_kind:     by_value
      - .offset:         4
        .size:           4
        .value_kind:     by_value
      - .offset:         8
        .size:           4
        .value_kind:     by_value
      - .offset:         16
        .size:           8
        .value_kind:     by_value
      - .actual_access:  read_only
        .address_space:  global
        .offset:         24
        .size:           8
        .value_kind:     global_buffer
      - .actual_access:  read_only
        .address_space:  global
        .offset:         32
        .size:           8
        .value_kind:     global_buffer
      - .actual_access:  read_only
        .address_space:  global
        .offset:         40
        .size:           8
        .value_kind:     global_buffer
      - .address_space:  global
        .offset:         48
        .size:           8
        .value_kind:     global_buffer
      - .offset:         56
        .size:           8
        .value_kind:     by_value
      - .address_space:  global
        .offset:         64
        .size:           8
        .value_kind:     global_buffer
      - .actual_access:  read_only
        .address_space:  global
        .offset:         72
        .size:           8
        .value_kind:     global_buffer
      - .address_space:  global
        .offset:         80
        .size:           8
        .value_kind:     global_buffer
      - .offset:         88
        .size:           4
        .value_kind:     by_value
      - .offset:         92
        .size:           4
        .value_kind:     by_value
      - .offset:         96
        .size:           4
        .value_kind:     by_value
      - .offset:         100
        .size:           1
        .value_kind:     by_value
    .group_segment_fixed_size: 1536
    .kernarg_segment_align: 8
    .kernarg_segment_size: 104
    .language:       OpenCL C
    .language_version:
      - 2
      - 0
    .max_flat_workgroup_size: 128
    .name:           _ZN9rocsparseL5csrsmILj128ELj64ELb0Eii21rocsparse_complex_numIfEEEv20rocsparse_operation_T3_S4_NS_24const_host_device_scalarIT4_EEPKT2_PKS4_PKS6_PS6_lPiSC_PS4_21rocsparse_index_base_20rocsparse_fill_mode_20rocsparse_diag_type_b
    .private_segment_fixed_size: 0
    .sgpr_count:     32
    .sgpr_spill_count: 0
    .symbol:         _ZN9rocsparseL5csrsmILj128ELj64ELb0Eii21rocsparse_complex_numIfEEEv20rocsparse_operation_T3_S4_NS_24const_host_device_scalarIT4_EEPKT2_PKS4_PKS6_PS6_lPiSC_PS4_21rocsparse_index_base_20rocsparse_fill_mode_20rocsparse_diag_type_b.kd
    .uniform_work_group_size: 1
    .uses_dynamic_stack: false
    .vgpr_count:     18
    .vgpr_spill_count: 0
    .wavefront_size: 32
    .workgroup_processor_mode: 1
  - .args:
      - .offset:         0
        .size:           4
        .value_kind:     by_value
      - .offset:         4
        .size:           4
        .value_kind:     by_value
      - .offset:         8
        .size:           4
        .value_kind:     by_value
      - .offset:         16
        .size:           8
        .value_kind:     by_value
      - .actual_access:  read_only
        .address_space:  global
        .offset:         24
        .size:           8
        .value_kind:     global_buffer
      - .actual_access:  read_only
        .address_space:  global
        .offset:         32
        .size:           8
        .value_kind:     global_buffer
      - .actual_access:  read_only
        .address_space:  global
        .offset:         40
        .size:           8
        .value_kind:     global_buffer
      - .address_space:  global
        .offset:         48
        .size:           8
        .value_kind:     global_buffer
      - .offset:         56
        .size:           8
        .value_kind:     by_value
      - .address_space:  global
        .offset:         64
        .size:           8
        .value_kind:     global_buffer
      - .actual_access:  read_only
        .address_space:  global
        .offset:         72
        .size:           8
        .value_kind:     global_buffer
      - .address_space:  global
        .offset:         80
        .size:           8
        .value_kind:     global_buffer
      - .offset:         88
        .size:           4
        .value_kind:     by_value
      - .offset:         92
        .size:           4
        .value_kind:     by_value
      - .offset:         96
        .size:           4
        .value_kind:     by_value
      - .offset:         100
        .size:           1
        .value_kind:     by_value
    .group_segment_fixed_size: 3072
    .kernarg_segment_align: 8
    .kernarg_segment_size: 104
    .language:       OpenCL C
    .language_version:
      - 2
      - 0
    .max_flat_workgroup_size: 256
    .name:           _ZN9rocsparseL5csrsmILj256ELj64ELb1Eii21rocsparse_complex_numIfEEEv20rocsparse_operation_T3_S4_NS_24const_host_device_scalarIT4_EEPKT2_PKS4_PKS6_PS6_lPiSC_PS4_21rocsparse_index_base_20rocsparse_fill_mode_20rocsparse_diag_type_b
    .private_segment_fixed_size: 0
    .sgpr_count:     32
    .sgpr_spill_count: 0
    .symbol:         _ZN9rocsparseL5csrsmILj256ELj64ELb1Eii21rocsparse_complex_numIfEEEv20rocsparse_operation_T3_S4_NS_24const_host_device_scalarIT4_EEPKT2_PKS4_PKS6_PS6_lPiSC_PS4_21rocsparse_index_base_20rocsparse_fill_mode_20rocsparse_diag_type_b.kd
    .uniform_work_group_size: 1
    .uses_dynamic_stack: false
    .vgpr_count:     18
    .vgpr_spill_count: 0
    .wavefront_size: 32
    .workgroup_processor_mode: 1
  - .args:
      - .offset:         0
        .size:           4
        .value_kind:     by_value
      - .offset:         4
        .size:           4
        .value_kind:     by_value
      - .offset:         8
        .size:           4
        .value_kind:     by_value
      - .offset:         16
        .size:           8
        .value_kind:     by_value
      - .actual_access:  read_only
        .address_space:  global
        .offset:         24
        .size:           8
        .value_kind:     global_buffer
      - .actual_access:  read_only
        .address_space:  global
        .offset:         32
        .size:           8
        .value_kind:     global_buffer
      - .actual_access:  read_only
        .address_space:  global
        .offset:         40
        .size:           8
        .value_kind:     global_buffer
      - .address_space:  global
        .offset:         48
        .size:           8
        .value_kind:     global_buffer
      - .offset:         56
        .size:           8
        .value_kind:     by_value
      - .address_space:  global
        .offset:         64
        .size:           8
        .value_kind:     global_buffer
      - .actual_access:  read_only
        .address_space:  global
        .offset:         72
        .size:           8
        .value_kind:     global_buffer
      - .address_space:  global
        .offset:         80
        .size:           8
        .value_kind:     global_buffer
      - .offset:         88
        .size:           4
        .value_kind:     by_value
      - .offset:         92
        .size:           4
        .value_kind:     by_value
      - .offset:         96
        .size:           4
        .value_kind:     by_value
      - .offset:         100
        .size:           1
        .value_kind:     by_value
    .group_segment_fixed_size: 3072
    .kernarg_segment_align: 8
    .kernarg_segment_size: 104
    .language:       OpenCL C
    .language_version:
      - 2
      - 0
    .max_flat_workgroup_size: 256
    .name:           _ZN9rocsparseL5csrsmILj256ELj64ELb0Eii21rocsparse_complex_numIfEEEv20rocsparse_operation_T3_S4_NS_24const_host_device_scalarIT4_EEPKT2_PKS4_PKS6_PS6_lPiSC_PS4_21rocsparse_index_base_20rocsparse_fill_mode_20rocsparse_diag_type_b
    .private_segment_fixed_size: 0
    .sgpr_count:     32
    .sgpr_spill_count: 0
    .symbol:         _ZN9rocsparseL5csrsmILj256ELj64ELb0Eii21rocsparse_complex_numIfEEEv20rocsparse_operation_T3_S4_NS_24const_host_device_scalarIT4_EEPKT2_PKS4_PKS6_PS6_lPiSC_PS4_21rocsparse_index_base_20rocsparse_fill_mode_20rocsparse_diag_type_b.kd
    .uniform_work_group_size: 1
    .uses_dynamic_stack: false
    .vgpr_count:     18
    .vgpr_spill_count: 0
    .wavefront_size: 32
    .workgroup_processor_mode: 1
  - .args:
      - .offset:         0
        .size:           4
        .value_kind:     by_value
      - .offset:         4
        .size:           4
        .value_kind:     by_value
      - .offset:         8
        .size:           4
        .value_kind:     by_value
      - .offset:         16
        .size:           8
        .value_kind:     by_value
      - .actual_access:  read_only
        .address_space:  global
        .offset:         24
        .size:           8
        .value_kind:     global_buffer
      - .actual_access:  read_only
        .address_space:  global
        .offset:         32
        .size:           8
        .value_kind:     global_buffer
      - .actual_access:  read_only
        .address_space:  global
        .offset:         40
        .size:           8
        .value_kind:     global_buffer
      - .address_space:  global
        .offset:         48
        .size:           8
        .value_kind:     global_buffer
      - .offset:         56
        .size:           8
        .value_kind:     by_value
      - .address_space:  global
        .offset:         64
        .size:           8
        .value_kind:     global_buffer
      - .actual_access:  read_only
        .address_space:  global
        .offset:         72
        .size:           8
        .value_kind:     global_buffer
      - .address_space:  global
        .offset:         80
        .size:           8
        .value_kind:     global_buffer
      - .offset:         88
        .size:           4
        .value_kind:     by_value
      - .offset:         92
        .size:           4
        .value_kind:     by_value
      - .offset:         96
        .size:           4
        .value_kind:     by_value
      - .offset:         100
        .size:           1
        .value_kind:     by_value
    .group_segment_fixed_size: 6144
    .kernarg_segment_align: 8
    .kernarg_segment_size: 104
    .language:       OpenCL C
    .language_version:
      - 2
      - 0
    .max_flat_workgroup_size: 512
    .name:           _ZN9rocsparseL5csrsmILj512ELj64ELb1Eii21rocsparse_complex_numIfEEEv20rocsparse_operation_T3_S4_NS_24const_host_device_scalarIT4_EEPKT2_PKS4_PKS6_PS6_lPiSC_PS4_21rocsparse_index_base_20rocsparse_fill_mode_20rocsparse_diag_type_b
    .private_segment_fixed_size: 0
    .sgpr_count:     32
    .sgpr_spill_count: 0
    .symbol:         _ZN9rocsparseL5csrsmILj512ELj64ELb1Eii21rocsparse_complex_numIfEEEv20rocsparse_operation_T3_S4_NS_24const_host_device_scalarIT4_EEPKT2_PKS4_PKS6_PS6_lPiSC_PS4_21rocsparse_index_base_20rocsparse_fill_mode_20rocsparse_diag_type_b.kd
    .uniform_work_group_size: 1
    .uses_dynamic_stack: false
    .vgpr_count:     18
    .vgpr_spill_count: 0
    .wavefront_size: 32
    .workgroup_processor_mode: 1
  - .args:
      - .offset:         0
        .size:           4
        .value_kind:     by_value
      - .offset:         4
        .size:           4
        .value_kind:     by_value
      - .offset:         8
        .size:           4
        .value_kind:     by_value
      - .offset:         16
        .size:           8
        .value_kind:     by_value
      - .actual_access:  read_only
        .address_space:  global
        .offset:         24
        .size:           8
        .value_kind:     global_buffer
      - .actual_access:  read_only
        .address_space:  global
        .offset:         32
        .size:           8
        .value_kind:     global_buffer
      - .actual_access:  read_only
        .address_space:  global
        .offset:         40
        .size:           8
        .value_kind:     global_buffer
      - .address_space:  global
        .offset:         48
        .size:           8
        .value_kind:     global_buffer
      - .offset:         56
        .size:           8
        .value_kind:     by_value
      - .address_space:  global
        .offset:         64
        .size:           8
        .value_kind:     global_buffer
      - .actual_access:  read_only
        .address_space:  global
        .offset:         72
        .size:           8
        .value_kind:     global_buffer
      - .address_space:  global
        .offset:         80
        .size:           8
        .value_kind:     global_buffer
      - .offset:         88
        .size:           4
        .value_kind:     by_value
      - .offset:         92
        .size:           4
        .value_kind:     by_value
      - .offset:         96
        .size:           4
        .value_kind:     by_value
      - .offset:         100
        .size:           1
        .value_kind:     by_value
    .group_segment_fixed_size: 6144
    .kernarg_segment_align: 8
    .kernarg_segment_size: 104
    .language:       OpenCL C
    .language_version:
      - 2
      - 0
    .max_flat_workgroup_size: 512
    .name:           _ZN9rocsparseL5csrsmILj512ELj64ELb0Eii21rocsparse_complex_numIfEEEv20rocsparse_operation_T3_S4_NS_24const_host_device_scalarIT4_EEPKT2_PKS4_PKS6_PS6_lPiSC_PS4_21rocsparse_index_base_20rocsparse_fill_mode_20rocsparse_diag_type_b
    .private_segment_fixed_size: 0
    .sgpr_count:     32
    .sgpr_spill_count: 0
    .symbol:         _ZN9rocsparseL5csrsmILj512ELj64ELb0Eii21rocsparse_complex_numIfEEEv20rocsparse_operation_T3_S4_NS_24const_host_device_scalarIT4_EEPKT2_PKS4_PKS6_PS6_lPiSC_PS4_21rocsparse_index_base_20rocsparse_fill_mode_20rocsparse_diag_type_b.kd
    .uniform_work_group_size: 1
    .uses_dynamic_stack: false
    .vgpr_count:     18
    .vgpr_spill_count: 0
    .wavefront_size: 32
    .workgroup_processor_mode: 1
  - .args:
      - .offset:         0
        .size:           4
        .value_kind:     by_value
      - .offset:         4
        .size:           4
        .value_kind:     by_value
      - .offset:         8
        .size:           4
        .value_kind:     by_value
      - .offset:         16
        .size:           8
        .value_kind:     by_value
      - .actual_access:  read_only
        .address_space:  global
        .offset:         24
        .size:           8
        .value_kind:     global_buffer
      - .actual_access:  read_only
        .address_space:  global
        .offset:         32
        .size:           8
        .value_kind:     global_buffer
      - .actual_access:  read_only
        .address_space:  global
        .offset:         40
        .size:           8
        .value_kind:     global_buffer
      - .address_space:  global
        .offset:         48
        .size:           8
        .value_kind:     global_buffer
      - .offset:         56
        .size:           8
        .value_kind:     by_value
      - .address_space:  global
        .offset:         64
        .size:           8
        .value_kind:     global_buffer
      - .actual_access:  read_only
        .address_space:  global
        .offset:         72
        .size:           8
        .value_kind:     global_buffer
      - .address_space:  global
        .offset:         80
        .size:           8
        .value_kind:     global_buffer
      - .offset:         88
        .size:           4
        .value_kind:     by_value
      - .offset:         92
        .size:           4
        .value_kind:     by_value
      - .offset:         96
        .size:           4
        .value_kind:     by_value
      - .offset:         100
        .size:           1
        .value_kind:     by_value
    .group_segment_fixed_size: 12288
    .kernarg_segment_align: 8
    .kernarg_segment_size: 104
    .language:       OpenCL C
    .language_version:
      - 2
      - 0
    .max_flat_workgroup_size: 1024
    .name:           _ZN9rocsparseL5csrsmILj1024ELj64ELb1Eii21rocsparse_complex_numIfEEEv20rocsparse_operation_T3_S4_NS_24const_host_device_scalarIT4_EEPKT2_PKS4_PKS6_PS6_lPiSC_PS4_21rocsparse_index_base_20rocsparse_fill_mode_20rocsparse_diag_type_b
    .private_segment_fixed_size: 0
    .sgpr_count:     32
    .sgpr_spill_count: 0
    .symbol:         _ZN9rocsparseL5csrsmILj1024ELj64ELb1Eii21rocsparse_complex_numIfEEEv20rocsparse_operation_T3_S4_NS_24const_host_device_scalarIT4_EEPKT2_PKS4_PKS6_PS6_lPiSC_PS4_21rocsparse_index_base_20rocsparse_fill_mode_20rocsparse_diag_type_b.kd
    .uniform_work_group_size: 1
    .uses_dynamic_stack: false
    .vgpr_count:     20
    .vgpr_spill_count: 0
    .wavefront_size: 32
    .workgroup_processor_mode: 1
  - .args:
      - .offset:         0
        .size:           4
        .value_kind:     by_value
      - .offset:         4
        .size:           4
        .value_kind:     by_value
      - .offset:         8
        .size:           4
        .value_kind:     by_value
      - .offset:         16
        .size:           8
        .value_kind:     by_value
      - .actual_access:  read_only
        .address_space:  global
        .offset:         24
        .size:           8
        .value_kind:     global_buffer
      - .actual_access:  read_only
        .address_space:  global
        .offset:         32
        .size:           8
        .value_kind:     global_buffer
      - .actual_access:  read_only
        .address_space:  global
        .offset:         40
        .size:           8
        .value_kind:     global_buffer
      - .address_space:  global
        .offset:         48
        .size:           8
        .value_kind:     global_buffer
      - .offset:         56
        .size:           8
        .value_kind:     by_value
      - .address_space:  global
        .offset:         64
        .size:           8
        .value_kind:     global_buffer
      - .actual_access:  read_only
        .address_space:  global
        .offset:         72
        .size:           8
        .value_kind:     global_buffer
      - .address_space:  global
        .offset:         80
        .size:           8
        .value_kind:     global_buffer
      - .offset:         88
        .size:           4
        .value_kind:     by_value
      - .offset:         92
        .size:           4
        .value_kind:     by_value
      - .offset:         96
        .size:           4
        .value_kind:     by_value
      - .offset:         100
        .size:           1
        .value_kind:     by_value
    .group_segment_fixed_size: 12288
    .kernarg_segment_align: 8
    .kernarg_segment_size: 104
    .language:       OpenCL C
    .language_version:
      - 2
      - 0
    .max_flat_workgroup_size: 1024
    .name:           _ZN9rocsparseL5csrsmILj1024ELj64ELb0Eii21rocsparse_complex_numIfEEEv20rocsparse_operation_T3_S4_NS_24const_host_device_scalarIT4_EEPKT2_PKS4_PKS6_PS6_lPiSC_PS4_21rocsparse_index_base_20rocsparse_fill_mode_20rocsparse_diag_type_b
    .private_segment_fixed_size: 0
    .sgpr_count:     32
    .sgpr_spill_count: 0
    .symbol:         _ZN9rocsparseL5csrsmILj1024ELj64ELb0Eii21rocsparse_complex_numIfEEEv20rocsparse_operation_T3_S4_NS_24const_host_device_scalarIT4_EEPKT2_PKS4_PKS6_PS6_lPiSC_PS4_21rocsparse_index_base_20rocsparse_fill_mode_20rocsparse_diag_type_b.kd
    .uniform_work_group_size: 1
    .uses_dynamic_stack: false
    .vgpr_count:     20
    .vgpr_spill_count: 0
    .wavefront_size: 32
    .workgroup_processor_mode: 1
  - .args:
      - .offset:         0
        .size:           8
        .value_kind:     by_value
      - .address_space:  global
        .offset:         8
        .size:           8
        .value_kind:     global_buffer
      - .offset:         16
        .size:           8
        .value_kind:     by_value
      - .address_space:  global
        .offset:         24
        .size:           8
        .value_kind:     global_buffer
    .group_segment_fixed_size: 0
    .kernarg_segment_align: 8
    .kernarg_segment_size: 32
    .language:       OpenCL C
    .language_version:
      - 2
      - 0
    .max_flat_workgroup_size: 1024
    .name:           _ZN9rocsparseL23csrsm_solve_copy_y_to_BILj1024E21rocsparse_complex_numIdEEEvlPT0_lPKS3_
    .private_segment_fixed_size: 0
    .sgpr_count:     18
    .sgpr_spill_count: 0
    .symbol:         _ZN9rocsparseL23csrsm_solve_copy_y_to_BILj1024E21rocsparse_complex_numIdEEEvlPT0_lPKS3_.kd
    .uniform_work_group_size: 1
    .uses_dynamic_stack: false
    .vgpr_count:     9
    .vgpr_spill_count: 0
    .wavefront_size: 32
    .workgroup_processor_mode: 1
  - .args:
      - .offset:         0
        .size:           4
        .value_kind:     by_value
      - .offset:         4
        .size:           4
        .value_kind:     by_value
      - .offset:         8
        .size:           4
        .value_kind:     by_value
      - .offset:         16
        .size:           16
        .value_kind:     by_value
      - .actual_access:  read_only
        .address_space:  global
        .offset:         32
        .size:           8
        .value_kind:     global_buffer
      - .actual_access:  read_only
        .address_space:  global
        .offset:         40
        .size:           8
        .value_kind:     global_buffer
      - .actual_access:  read_only
        .address_space:  global
        .offset:         48
        .size:           8
        .value_kind:     global_buffer
      - .address_space:  global
        .offset:         56
        .size:           8
        .value_kind:     global_buffer
      - .offset:         64
        .size:           8
        .value_kind:     by_value
      - .address_space:  global
        .offset:         72
        .size:           8
        .value_kind:     global_buffer
      - .actual_access:  read_only
        .address_space:  global
        .offset:         80
        .size:           8
        .value_kind:     global_buffer
      - .address_space:  global
        .offset:         88
        .size:           8
        .value_kind:     global_buffer
      - .offset:         96
        .size:           4
        .value_kind:     by_value
      - .offset:         100
        .size:           4
        .value_kind:     by_value
      - .offset:         104
        .size:           4
        .value_kind:     by_value
      - .offset:         108
        .size:           1
        .value_kind:     by_value
    .group_segment_fixed_size: 1792
    .kernarg_segment_align: 8
    .kernarg_segment_size: 112
    .language:       OpenCL C
    .language_version:
      - 2
      - 0
    .max_flat_workgroup_size: 64
    .name:           _ZN9rocsparseL5csrsmILj64ELj64ELb1Eii21rocsparse_complex_numIdEEEv20rocsparse_operation_T3_S4_NS_24const_host_device_scalarIT4_EEPKT2_PKS4_PKS6_PS6_lPiSC_PS4_21rocsparse_index_base_20rocsparse_fill_mode_20rocsparse_diag_type_b
    .private_segment_fixed_size: 0
    .sgpr_count:     32
    .sgpr_spill_count: 0
    .symbol:         _ZN9rocsparseL5csrsmILj64ELj64ELb1Eii21rocsparse_complex_numIdEEEv20rocsparse_operation_T3_S4_NS_24const_host_device_scalarIT4_EEPKT2_PKS4_PKS6_PS6_lPiSC_PS4_21rocsparse_index_base_20rocsparse_fill_mode_20rocsparse_diag_type_b.kd
    .uniform_work_group_size: 1
    .uses_dynamic_stack: false
    .vgpr_count:     28
    .vgpr_spill_count: 0
    .wavefront_size: 32
    .workgroup_processor_mode: 1
  - .args:
      - .offset:         0
        .size:           4
        .value_kind:     by_value
      - .offset:         4
        .size:           4
        .value_kind:     by_value
      - .offset:         8
        .size:           4
        .value_kind:     by_value
      - .offset:         16
        .size:           16
        .value_kind:     by_value
      - .actual_access:  read_only
        .address_space:  global
        .offset:         32
        .size:           8
        .value_kind:     global_buffer
      - .actual_access:  read_only
        .address_space:  global
        .offset:         40
        .size:           8
        .value_kind:     global_buffer
      - .actual_access:  read_only
        .address_space:  global
        .offset:         48
        .size:           8
        .value_kind:     global_buffer
      - .address_space:  global
        .offset:         56
        .size:           8
        .value_kind:     global_buffer
      - .offset:         64
        .size:           8
        .value_kind:     by_value
      - .address_space:  global
        .offset:         72
        .size:           8
        .value_kind:     global_buffer
      - .actual_access:  read_only
        .address_space:  global
        .offset:         80
        .size:           8
        .value_kind:     global_buffer
      - .address_space:  global
        .offset:         88
        .size:           8
        .value_kind:     global_buffer
      - .offset:         96
        .size:           4
        .value_kind:     by_value
      - .offset:         100
        .size:           4
        .value_kind:     by_value
      - .offset:         104
        .size:           4
        .value_kind:     by_value
      - .offset:         108
        .size:           1
        .value_kind:     by_value
    .group_segment_fixed_size: 1792
    .kernarg_segment_align: 8
    .kernarg_segment_size: 112
    .language:       OpenCL C
    .language_version:
      - 2
      - 0
    .max_flat_workgroup_size: 64
    .name:           _ZN9rocsparseL5csrsmILj64ELj64ELb0Eii21rocsparse_complex_numIdEEEv20rocsparse_operation_T3_S4_NS_24const_host_device_scalarIT4_EEPKT2_PKS4_PKS6_PS6_lPiSC_PS4_21rocsparse_index_base_20rocsparse_fill_mode_20rocsparse_diag_type_b
    .private_segment_fixed_size: 0
    .sgpr_count:     31
    .sgpr_spill_count: 0
    .symbol:         _ZN9rocsparseL5csrsmILj64ELj64ELb0Eii21rocsparse_complex_numIdEEEv20rocsparse_operation_T3_S4_NS_24const_host_device_scalarIT4_EEPKT2_PKS4_PKS6_PS6_lPiSC_PS4_21rocsparse_index_base_20rocsparse_fill_mode_20rocsparse_diag_type_b.kd
    .uniform_work_group_size: 1
    .uses_dynamic_stack: false
    .vgpr_count:     28
    .vgpr_spill_count: 0
    .wavefront_size: 32
    .workgroup_processor_mode: 1
  - .args:
      - .offset:         0
        .size:           4
        .value_kind:     by_value
      - .offset:         4
        .size:           4
        .value_kind:     by_value
      - .offset:         8
        .size:           4
        .value_kind:     by_value
      - .offset:         16
        .size:           16
        .value_kind:     by_value
      - .actual_access:  read_only
        .address_space:  global
        .offset:         32
        .size:           8
        .value_kind:     global_buffer
      - .actual_access:  read_only
        .address_space:  global
        .offset:         40
        .size:           8
        .value_kind:     global_buffer
      - .actual_access:  read_only
        .address_space:  global
        .offset:         48
        .size:           8
        .value_kind:     global_buffer
      - .address_space:  global
        .offset:         56
        .size:           8
        .value_kind:     global_buffer
      - .offset:         64
        .size:           8
        .value_kind:     by_value
      - .address_space:  global
        .offset:         72
        .size:           8
        .value_kind:     global_buffer
      - .actual_access:  read_only
        .address_space:  global
        .offset:         80
        .size:           8
        .value_kind:     global_buffer
      - .address_space:  global
        .offset:         88
        .size:           8
        .value_kind:     global_buffer
      - .offset:         96
        .size:           4
        .value_kind:     by_value
      - .offset:         100
        .size:           4
        .value_kind:     by_value
      - .offset:         104
        .size:           4
        .value_kind:     by_value
      - .offset:         108
        .size:           1
        .value_kind:     by_value
    .group_segment_fixed_size: 3584
    .kernarg_segment_align: 8
    .kernarg_segment_size: 112
    .language:       OpenCL C
    .language_version:
      - 2
      - 0
    .max_flat_workgroup_size: 128
    .name:           _ZN9rocsparseL5csrsmILj128ELj64ELb1Eii21rocsparse_complex_numIdEEEv20rocsparse_operation_T3_S4_NS_24const_host_device_scalarIT4_EEPKT2_PKS4_PKS6_PS6_lPiSC_PS4_21rocsparse_index_base_20rocsparse_fill_mode_20rocsparse_diag_type_b
    .private_segment_fixed_size: 0
    .sgpr_count:     32
    .sgpr_spill_count: 0
    .symbol:         _ZN9rocsparseL5csrsmILj128ELj64ELb1Eii21rocsparse_complex_numIdEEEv20rocsparse_operation_T3_S4_NS_24const_host_device_scalarIT4_EEPKT2_PKS4_PKS6_PS6_lPiSC_PS4_21rocsparse_index_base_20rocsparse_fill_mode_20rocsparse_diag_type_b.kd
    .uniform_work_group_size: 1
    .uses_dynamic_stack: false
    .vgpr_count:     28
    .vgpr_spill_count: 0
    .wavefront_size: 32
    .workgroup_processor_mode: 1
  - .args:
      - .offset:         0
        .size:           4
        .value_kind:     by_value
      - .offset:         4
        .size:           4
        .value_kind:     by_value
      - .offset:         8
        .size:           4
        .value_kind:     by_value
      - .offset:         16
        .size:           16
        .value_kind:     by_value
      - .actual_access:  read_only
        .address_space:  global
        .offset:         32
        .size:           8
        .value_kind:     global_buffer
      - .actual_access:  read_only
        .address_space:  global
        .offset:         40
        .size:           8
        .value_kind:     global_buffer
      - .actual_access:  read_only
        .address_space:  global
        .offset:         48
        .size:           8
        .value_kind:     global_buffer
      - .address_space:  global
        .offset:         56
        .size:           8
        .value_kind:     global_buffer
      - .offset:         64
        .size:           8
        .value_kind:     by_value
      - .address_space:  global
        .offset:         72
        .size:           8
        .value_kind:     global_buffer
      - .actual_access:  read_only
        .address_space:  global
        .offset:         80
        .size:           8
        .value_kind:     global_buffer
      - .address_space:  global
        .offset:         88
        .size:           8
        .value_kind:     global_buffer
      - .offset:         96
        .size:           4
        .value_kind:     by_value
      - .offset:         100
        .size:           4
        .value_kind:     by_value
      - .offset:         104
        .size:           4
        .value_kind:     by_value
      - .offset:         108
        .size:           1
        .value_kind:     by_value
    .group_segment_fixed_size: 3584
    .kernarg_segment_align: 8
    .kernarg_segment_size: 112
    .language:       OpenCL C
    .language_version:
      - 2
      - 0
    .max_flat_workgroup_size: 128
    .name:           _ZN9rocsparseL5csrsmILj128ELj64ELb0Eii21rocsparse_complex_numIdEEEv20rocsparse_operation_T3_S4_NS_24const_host_device_scalarIT4_EEPKT2_PKS4_PKS6_PS6_lPiSC_PS4_21rocsparse_index_base_20rocsparse_fill_mode_20rocsparse_diag_type_b
    .private_segment_fixed_size: 0
    .sgpr_count:     31
    .sgpr_spill_count: 0
    .symbol:         _ZN9rocsparseL5csrsmILj128ELj64ELb0Eii21rocsparse_complex_numIdEEEv20rocsparse_operation_T3_S4_NS_24const_host_device_scalarIT4_EEPKT2_PKS4_PKS6_PS6_lPiSC_PS4_21rocsparse_index_base_20rocsparse_fill_mode_20rocsparse_diag_type_b.kd
    .uniform_work_group_size: 1
    .uses_dynamic_stack: false
    .vgpr_count:     28
    .vgpr_spill_count: 0
    .wavefront_size: 32
    .workgroup_processor_mode: 1
  - .args:
      - .offset:         0
        .size:           4
        .value_kind:     by_value
      - .offset:         4
        .size:           4
        .value_kind:     by_value
      - .offset:         8
        .size:           4
        .value_kind:     by_value
      - .offset:         16
        .size:           16
        .value_kind:     by_value
      - .actual_access:  read_only
        .address_space:  global
        .offset:         32
        .size:           8
        .value_kind:     global_buffer
      - .actual_access:  read_only
        .address_space:  global
        .offset:         40
        .size:           8
        .value_kind:     global_buffer
      - .actual_access:  read_only
        .address_space:  global
        .offset:         48
        .size:           8
        .value_kind:     global_buffer
      - .address_space:  global
        .offset:         56
        .size:           8
        .value_kind:     global_buffer
      - .offset:         64
        .size:           8
        .value_kind:     by_value
      - .address_space:  global
        .offset:         72
        .size:           8
        .value_kind:     global_buffer
      - .actual_access:  read_only
        .address_space:  global
        .offset:         80
        .size:           8
        .value_kind:     global_buffer
      - .address_space:  global
        .offset:         88
        .size:           8
        .value_kind:     global_buffer
      - .offset:         96
        .size:           4
        .value_kind:     by_value
      - .offset:         100
        .size:           4
        .value_kind:     by_value
      - .offset:         104
        .size:           4
        .value_kind:     by_value
      - .offset:         108
        .size:           1
        .value_kind:     by_value
    .group_segment_fixed_size: 7168
    .kernarg_segment_align: 8
    .kernarg_segment_size: 112
    .language:       OpenCL C
    .language_version:
      - 2
      - 0
    .max_flat_workgroup_size: 256
    .name:           _ZN9rocsparseL5csrsmILj256ELj64ELb1Eii21rocsparse_complex_numIdEEEv20rocsparse_operation_T3_S4_NS_24const_host_device_scalarIT4_EEPKT2_PKS4_PKS6_PS6_lPiSC_PS4_21rocsparse_index_base_20rocsparse_fill_mode_20rocsparse_diag_type_b
    .private_segment_fixed_size: 0
    .sgpr_count:     32
    .sgpr_spill_count: 0
    .symbol:         _ZN9rocsparseL5csrsmILj256ELj64ELb1Eii21rocsparse_complex_numIdEEEv20rocsparse_operation_T3_S4_NS_24const_host_device_scalarIT4_EEPKT2_PKS4_PKS6_PS6_lPiSC_PS4_21rocsparse_index_base_20rocsparse_fill_mode_20rocsparse_diag_type_b.kd
    .uniform_work_group_size: 1
    .uses_dynamic_stack: false
    .vgpr_count:     28
    .vgpr_spill_count: 0
    .wavefront_size: 32
    .workgroup_processor_mode: 1
  - .args:
      - .offset:         0
        .size:           4
        .value_kind:     by_value
      - .offset:         4
        .size:           4
        .value_kind:     by_value
      - .offset:         8
        .size:           4
        .value_kind:     by_value
      - .offset:         16
        .size:           16
        .value_kind:     by_value
      - .actual_access:  read_only
        .address_space:  global
        .offset:         32
        .size:           8
        .value_kind:     global_buffer
      - .actual_access:  read_only
        .address_space:  global
        .offset:         40
        .size:           8
        .value_kind:     global_buffer
      - .actual_access:  read_only
        .address_space:  global
        .offset:         48
        .size:           8
        .value_kind:     global_buffer
      - .address_space:  global
        .offset:         56
        .size:           8
        .value_kind:     global_buffer
      - .offset:         64
        .size:           8
        .value_kind:     by_value
      - .address_space:  global
        .offset:         72
        .size:           8
        .value_kind:     global_buffer
      - .actual_access:  read_only
        .address_space:  global
        .offset:         80
        .size:           8
        .value_kind:     global_buffer
      - .address_space:  global
        .offset:         88
        .size:           8
        .value_kind:     global_buffer
      - .offset:         96
        .size:           4
        .value_kind:     by_value
      - .offset:         100
        .size:           4
        .value_kind:     by_value
      - .offset:         104
        .size:           4
        .value_kind:     by_value
      - .offset:         108
        .size:           1
        .value_kind:     by_value
    .group_segment_fixed_size: 7168
    .kernarg_segment_align: 8
    .kernarg_segment_size: 112
    .language:       OpenCL C
    .language_version:
      - 2
      - 0
    .max_flat_workgroup_size: 256
    .name:           _ZN9rocsparseL5csrsmILj256ELj64ELb0Eii21rocsparse_complex_numIdEEEv20rocsparse_operation_T3_S4_NS_24const_host_device_scalarIT4_EEPKT2_PKS4_PKS6_PS6_lPiSC_PS4_21rocsparse_index_base_20rocsparse_fill_mode_20rocsparse_diag_type_b
    .private_segment_fixed_size: 0
    .sgpr_count:     31
    .sgpr_spill_count: 0
    .symbol:         _ZN9rocsparseL5csrsmILj256ELj64ELb0Eii21rocsparse_complex_numIdEEEv20rocsparse_operation_T3_S4_NS_24const_host_device_scalarIT4_EEPKT2_PKS4_PKS6_PS6_lPiSC_PS4_21rocsparse_index_base_20rocsparse_fill_mode_20rocsparse_diag_type_b.kd
    .uniform_work_group_size: 1
    .uses_dynamic_stack: false
    .vgpr_count:     28
    .vgpr_spill_count: 0
    .wavefront_size: 32
    .workgroup_processor_mode: 1
  - .args:
      - .offset:         0
        .size:           4
        .value_kind:     by_value
      - .offset:         4
        .size:           4
        .value_kind:     by_value
      - .offset:         8
        .size:           4
        .value_kind:     by_value
      - .offset:         16
        .size:           16
        .value_kind:     by_value
      - .actual_access:  read_only
        .address_space:  global
        .offset:         32
        .size:           8
        .value_kind:     global_buffer
      - .actual_access:  read_only
        .address_space:  global
        .offset:         40
        .size:           8
        .value_kind:     global_buffer
      - .actual_access:  read_only
        .address_space:  global
        .offset:         48
        .size:           8
        .value_kind:     global_buffer
      - .address_space:  global
        .offset:         56
        .size:           8
        .value_kind:     global_buffer
      - .offset:         64
        .size:           8
        .value_kind:     by_value
      - .address_space:  global
        .offset:         72
        .size:           8
        .value_kind:     global_buffer
      - .actual_access:  read_only
        .address_space:  global
        .offset:         80
        .size:           8
        .value_kind:     global_buffer
      - .address_space:  global
        .offset:         88
        .size:           8
        .value_kind:     global_buffer
      - .offset:         96
        .size:           4
        .value_kind:     by_value
      - .offset:         100
        .size:           4
        .value_kind:     by_value
      - .offset:         104
        .size:           4
        .value_kind:     by_value
      - .offset:         108
        .size:           1
        .value_kind:     by_value
    .group_segment_fixed_size: 14336
    .kernarg_segment_align: 8
    .kernarg_segment_size: 112
    .language:       OpenCL C
    .language_version:
      - 2
      - 0
    .max_flat_workgroup_size: 512
    .name:           _ZN9rocsparseL5csrsmILj512ELj64ELb1Eii21rocsparse_complex_numIdEEEv20rocsparse_operation_T3_S4_NS_24const_host_device_scalarIT4_EEPKT2_PKS4_PKS6_PS6_lPiSC_PS4_21rocsparse_index_base_20rocsparse_fill_mode_20rocsparse_diag_type_b
    .private_segment_fixed_size: 0
    .sgpr_count:     32
    .sgpr_spill_count: 0
    .symbol:         _ZN9rocsparseL5csrsmILj512ELj64ELb1Eii21rocsparse_complex_numIdEEEv20rocsparse_operation_T3_S4_NS_24const_host_device_scalarIT4_EEPKT2_PKS4_PKS6_PS6_lPiSC_PS4_21rocsparse_index_base_20rocsparse_fill_mode_20rocsparse_diag_type_b.kd
    .uniform_work_group_size: 1
    .uses_dynamic_stack: false
    .vgpr_count:     28
    .vgpr_spill_count: 0
    .wavefront_size: 32
    .workgroup_processor_mode: 1
  - .args:
      - .offset:         0
        .size:           4
        .value_kind:     by_value
      - .offset:         4
        .size:           4
        .value_kind:     by_value
      - .offset:         8
        .size:           4
        .value_kind:     by_value
      - .offset:         16
        .size:           16
        .value_kind:     by_value
      - .actual_access:  read_only
        .address_space:  global
        .offset:         32
        .size:           8
        .value_kind:     global_buffer
      - .actual_access:  read_only
        .address_space:  global
        .offset:         40
        .size:           8
        .value_kind:     global_buffer
      - .actual_access:  read_only
        .address_space:  global
        .offset:         48
        .size:           8
        .value_kind:     global_buffer
      - .address_space:  global
        .offset:         56
        .size:           8
        .value_kind:     global_buffer
      - .offset:         64
        .size:           8
        .value_kind:     by_value
      - .address_space:  global
        .offset:         72
        .size:           8
        .value_kind:     global_buffer
      - .actual_access:  read_only
        .address_space:  global
        .offset:         80
        .size:           8
        .value_kind:     global_buffer
      - .address_space:  global
        .offset:         88
        .size:           8
        .value_kind:     global_buffer
      - .offset:         96
        .size:           4
        .value_kind:     by_value
      - .offset:         100
        .size:           4
        .value_kind:     by_value
      - .offset:         104
        .size:           4
        .value_kind:     by_value
      - .offset:         108
        .size:           1
        .value_kind:     by_value
    .group_segment_fixed_size: 14336
    .kernarg_segment_align: 8
    .kernarg_segment_size: 112
    .language:       OpenCL C
    .language_version:
      - 2
      - 0
    .max_flat_workgroup_size: 512
    .name:           _ZN9rocsparseL5csrsmILj512ELj64ELb0Eii21rocsparse_complex_numIdEEEv20rocsparse_operation_T3_S4_NS_24const_host_device_scalarIT4_EEPKT2_PKS4_PKS6_PS6_lPiSC_PS4_21rocsparse_index_base_20rocsparse_fill_mode_20rocsparse_diag_type_b
    .private_segment_fixed_size: 0
    .sgpr_count:     31
    .sgpr_spill_count: 0
    .symbol:         _ZN9rocsparseL5csrsmILj512ELj64ELb0Eii21rocsparse_complex_numIdEEEv20rocsparse_operation_T3_S4_NS_24const_host_device_scalarIT4_EEPKT2_PKS4_PKS6_PS6_lPiSC_PS4_21rocsparse_index_base_20rocsparse_fill_mode_20rocsparse_diag_type_b.kd
    .uniform_work_group_size: 1
    .uses_dynamic_stack: false
    .vgpr_count:     28
    .vgpr_spill_count: 0
    .wavefront_size: 32
    .workgroup_processor_mode: 1
  - .args:
      - .offset:         0
        .size:           4
        .value_kind:     by_value
      - .offset:         4
        .size:           4
        .value_kind:     by_value
      - .offset:         8
        .size:           4
        .value_kind:     by_value
      - .offset:         16
        .size:           16
        .value_kind:     by_value
      - .actual_access:  read_only
        .address_space:  global
        .offset:         32
        .size:           8
        .value_kind:     global_buffer
      - .actual_access:  read_only
        .address_space:  global
        .offset:         40
        .size:           8
        .value_kind:     global_buffer
      - .actual_access:  read_only
        .address_space:  global
        .offset:         48
        .size:           8
        .value_kind:     global_buffer
      - .address_space:  global
        .offset:         56
        .size:           8
        .value_kind:     global_buffer
      - .offset:         64
        .size:           8
        .value_kind:     by_value
      - .address_space:  global
        .offset:         72
        .size:           8
        .value_kind:     global_buffer
      - .actual_access:  read_only
        .address_space:  global
        .offset:         80
        .size:           8
        .value_kind:     global_buffer
      - .address_space:  global
        .offset:         88
        .size:           8
        .value_kind:     global_buffer
      - .offset:         96
        .size:           4
        .value_kind:     by_value
      - .offset:         100
        .size:           4
        .value_kind:     by_value
      - .offset:         104
        .size:           4
        .value_kind:     by_value
      - .offset:         108
        .size:           1
        .value_kind:     by_value
    .group_segment_fixed_size: 28672
    .kernarg_segment_align: 8
    .kernarg_segment_size: 112
    .language:       OpenCL C
    .language_version:
      - 2
      - 0
    .max_flat_workgroup_size: 1024
    .name:           _ZN9rocsparseL5csrsmILj1024ELj64ELb1Eii21rocsparse_complex_numIdEEEv20rocsparse_operation_T3_S4_NS_24const_host_device_scalarIT4_EEPKT2_PKS4_PKS6_PS6_lPiSC_PS4_21rocsparse_index_base_20rocsparse_fill_mode_20rocsparse_diag_type_b
    .private_segment_fixed_size: 0
    .sgpr_count:     32
    .sgpr_spill_count: 0
    .symbol:         _ZN9rocsparseL5csrsmILj1024ELj64ELb1Eii21rocsparse_complex_numIdEEEv20rocsparse_operation_T3_S4_NS_24const_host_device_scalarIT4_EEPKT2_PKS4_PKS6_PS6_lPiSC_PS4_21rocsparse_index_base_20rocsparse_fill_mode_20rocsparse_diag_type_b.kd
    .uniform_work_group_size: 1
    .uses_dynamic_stack: false
    .vgpr_count:     31
    .vgpr_spill_count: 0
    .wavefront_size: 32
    .workgroup_processor_mode: 1
  - .args:
      - .offset:         0
        .size:           4
        .value_kind:     by_value
      - .offset:         4
        .size:           4
        .value_kind:     by_value
      - .offset:         8
        .size:           4
        .value_kind:     by_value
      - .offset:         16
        .size:           16
        .value_kind:     by_value
      - .actual_access:  read_only
        .address_space:  global
        .offset:         32
        .size:           8
        .value_kind:     global_buffer
      - .actual_access:  read_only
        .address_space:  global
        .offset:         40
        .size:           8
        .value_kind:     global_buffer
      - .actual_access:  read_only
        .address_space:  global
        .offset:         48
        .size:           8
        .value_kind:     global_buffer
      - .address_space:  global
        .offset:         56
        .size:           8
        .value_kind:     global_buffer
      - .offset:         64
        .size:           8
        .value_kind:     by_value
      - .address_space:  global
        .offset:         72
        .size:           8
        .value_kind:     global_buffer
      - .actual_access:  read_only
        .address_space:  global
        .offset:         80
        .size:           8
        .value_kind:     global_buffer
      - .address_space:  global
        .offset:         88
        .size:           8
        .value_kind:     global_buffer
      - .offset:         96
        .size:           4
        .value_kind:     by_value
      - .offset:         100
        .size:           4
        .value_kind:     by_value
      - .offset:         104
        .size:           4
        .value_kind:     by_value
      - .offset:         108
        .size:           1
        .value_kind:     by_value
    .group_segment_fixed_size: 28672
    .kernarg_segment_align: 8
    .kernarg_segment_size: 112
    .language:       OpenCL C
    .language_version:
      - 2
      - 0
    .max_flat_workgroup_size: 1024
    .name:           _ZN9rocsparseL5csrsmILj1024ELj64ELb0Eii21rocsparse_complex_numIdEEEv20rocsparse_operation_T3_S4_NS_24const_host_device_scalarIT4_EEPKT2_PKS4_PKS6_PS6_lPiSC_PS4_21rocsparse_index_base_20rocsparse_fill_mode_20rocsparse_diag_type_b
    .private_segment_fixed_size: 0
    .sgpr_count:     31
    .sgpr_spill_count: 0
    .symbol:         _ZN9rocsparseL5csrsmILj1024ELj64ELb0Eii21rocsparse_complex_numIdEEEv20rocsparse_operation_T3_S4_NS_24const_host_device_scalarIT4_EEPKT2_PKS4_PKS6_PS6_lPiSC_PS4_21rocsparse_index_base_20rocsparse_fill_mode_20rocsparse_diag_type_b.kd
    .uniform_work_group_size: 1
    .uses_dynamic_stack: false
    .vgpr_count:     31
    .vgpr_spill_count: 0
    .wavefront_size: 32
    .workgroup_processor_mode: 1
  - .args:
      - .offset:         0
        .size:           4
        .value_kind:     by_value
      - .offset:         4
        .size:           4
        .value_kind:     by_value
      - .offset:         8
        .size:           4
        .value_kind:     by_value
      - .offset:         16
        .size:           8
        .value_kind:     by_value
      - .actual_access:  read_only
        .address_space:  global
        .offset:         24
        .size:           8
        .value_kind:     global_buffer
      - .actual_access:  read_only
        .address_space:  global
        .offset:         32
        .size:           8
        .value_kind:     global_buffer
      - .actual_access:  read_only
        .address_space:  global
        .offset:         40
        .size:           8
        .value_kind:     global_buffer
      - .address_space:  global
        .offset:         48
        .size:           8
        .value_kind:     global_buffer
      - .offset:         56
        .size:           8
        .value_kind:     by_value
      - .address_space:  global
        .offset:         64
        .size:           8
        .value_kind:     global_buffer
      - .actual_access:  read_only
        .address_space:  global
        .offset:         72
        .size:           8
        .value_kind:     global_buffer
      - .address_space:  global
        .offset:         80
        .size:           8
        .value_kind:     global_buffer
      - .offset:         88
        .size:           4
        .value_kind:     by_value
      - .offset:         92
        .size:           4
        .value_kind:     by_value
      - .offset:         96
        .size:           4
        .value_kind:     by_value
      - .offset:         100
        .size:           1
        .value_kind:     by_value
    .group_segment_fixed_size: 512
    .kernarg_segment_align: 8
    .kernarg_segment_size: 104
    .language:       OpenCL C
    .language_version:
      - 2
      - 0
    .max_flat_workgroup_size: 64
    .name:           _ZN9rocsparseL5csrsmILj64ELj64ELb1ElifEEv20rocsparse_operation_T3_S2_NS_24const_host_device_scalarIT4_EEPKT2_PKS2_PKS4_PS4_lPiSA_PS2_21rocsparse_index_base_20rocsparse_fill_mode_20rocsparse_diag_type_b
    .private_segment_fixed_size: 0
    .sgpr_count:     34
    .sgpr_spill_count: 0
    .symbol:         _ZN9rocsparseL5csrsmILj64ELj64ELb1ElifEEv20rocsparse_operation_T3_S2_NS_24const_host_device_scalarIT4_EEPKT2_PKS2_PKS4_PS4_lPiSA_PS2_21rocsparse_index_base_20rocsparse_fill_mode_20rocsparse_diag_type_b.kd
    .uniform_work_group_size: 1
    .uses_dynamic_stack: false
    .vgpr_count:     18
    .vgpr_spill_count: 0
    .wavefront_size: 32
    .workgroup_processor_mode: 1
  - .args:
      - .offset:         0
        .size:           4
        .value_kind:     by_value
      - .offset:         4
        .size:           4
        .value_kind:     by_value
      - .offset:         8
        .size:           4
        .value_kind:     by_value
      - .offset:         16
        .size:           8
        .value_kind:     by_value
      - .actual_access:  read_only
        .address_space:  global
        .offset:         24
        .size:           8
        .value_kind:     global_buffer
      - .actual_access:  read_only
        .address_space:  global
        .offset:         32
        .size:           8
        .value_kind:     global_buffer
      - .actual_access:  read_only
        .address_space:  global
        .offset:         40
        .size:           8
        .value_kind:     global_buffer
      - .address_space:  global
        .offset:         48
        .size:           8
        .value_kind:     global_buffer
      - .offset:         56
        .size:           8
        .value_kind:     by_value
      - .address_space:  global
        .offset:         64
        .size:           8
        .value_kind:     global_buffer
      - .actual_access:  read_only
        .address_space:  global
        .offset:         72
        .size:           8
        .value_kind:     global_buffer
      - .address_space:  global
        .offset:         80
        .size:           8
        .value_kind:     global_buffer
      - .offset:         88
        .size:           4
        .value_kind:     by_value
      - .offset:         92
        .size:           4
        .value_kind:     by_value
      - .offset:         96
        .size:           4
        .value_kind:     by_value
      - .offset:         100
        .size:           1
        .value_kind:     by_value
    .group_segment_fixed_size: 512
    .kernarg_segment_align: 8
    .kernarg_segment_size: 104
    .language:       OpenCL C
    .language_version:
      - 2
      - 0
    .max_flat_workgroup_size: 64
    .name:           _ZN9rocsparseL5csrsmILj64ELj64ELb0ElifEEv20rocsparse_operation_T3_S2_NS_24const_host_device_scalarIT4_EEPKT2_PKS2_PKS4_PS4_lPiSA_PS2_21rocsparse_index_base_20rocsparse_fill_mode_20rocsparse_diag_type_b
    .private_segment_fixed_size: 0
    .sgpr_count:     34
    .sgpr_spill_count: 0
    .symbol:         _ZN9rocsparseL5csrsmILj64ELj64ELb0ElifEEv20rocsparse_operation_T3_S2_NS_24const_host_device_scalarIT4_EEPKT2_PKS2_PKS4_PS4_lPiSA_PS2_21rocsparse_index_base_20rocsparse_fill_mode_20rocsparse_diag_type_b.kd
    .uniform_work_group_size: 1
    .uses_dynamic_stack: false
    .vgpr_count:     18
    .vgpr_spill_count: 0
    .wavefront_size: 32
    .workgroup_processor_mode: 1
  - .args:
      - .offset:         0
        .size:           4
        .value_kind:     by_value
      - .offset:         4
        .size:           4
        .value_kind:     by_value
      - .offset:         8
        .size:           4
        .value_kind:     by_value
      - .offset:         16
        .size:           8
        .value_kind:     by_value
      - .actual_access:  read_only
        .address_space:  global
        .offset:         24
        .size:           8
        .value_kind:     global_buffer
      - .actual_access:  read_only
        .address_space:  global
        .offset:         32
        .size:           8
        .value_kind:     global_buffer
      - .actual_access:  read_only
        .address_space:  global
        .offset:         40
        .size:           8
        .value_kind:     global_buffer
      - .address_space:  global
        .offset:         48
        .size:           8
        .value_kind:     global_buffer
      - .offset:         56
        .size:           8
        .value_kind:     by_value
      - .address_space:  global
        .offset:         64
        .size:           8
        .value_kind:     global_buffer
      - .actual_access:  read_only
        .address_space:  global
        .offset:         72
        .size:           8
        .value_kind:     global_buffer
      - .address_space:  global
        .offset:         80
        .size:           8
        .value_kind:     global_buffer
      - .offset:         88
        .size:           4
        .value_kind:     by_value
      - .offset:         92
        .size:           4
        .value_kind:     by_value
      - .offset:         96
        .size:           4
        .value_kind:     by_value
      - .offset:         100
        .size:           1
        .value_kind:     by_value
    .group_segment_fixed_size: 1024
    .kernarg_segment_align: 8
    .kernarg_segment_size: 104
    .language:       OpenCL C
    .language_version:
      - 2
      - 0
    .max_flat_workgroup_size: 128
    .name:           _ZN9rocsparseL5csrsmILj128ELj64ELb1ElifEEv20rocsparse_operation_T3_S2_NS_24const_host_device_scalarIT4_EEPKT2_PKS2_PKS4_PS4_lPiSA_PS2_21rocsparse_index_base_20rocsparse_fill_mode_20rocsparse_diag_type_b
    .private_segment_fixed_size: 0
    .sgpr_count:     34
    .sgpr_spill_count: 0
    .symbol:         _ZN9rocsparseL5csrsmILj128ELj64ELb1ElifEEv20rocsparse_operation_T3_S2_NS_24const_host_device_scalarIT4_EEPKT2_PKS2_PKS4_PS4_lPiSA_PS2_21rocsparse_index_base_20rocsparse_fill_mode_20rocsparse_diag_type_b.kd
    .uniform_work_group_size: 1
    .uses_dynamic_stack: false
    .vgpr_count:     18
    .vgpr_spill_count: 0
    .wavefront_size: 32
    .workgroup_processor_mode: 1
  - .args:
      - .offset:         0
        .size:           4
        .value_kind:     by_value
      - .offset:         4
        .size:           4
        .value_kind:     by_value
      - .offset:         8
        .size:           4
        .value_kind:     by_value
      - .offset:         16
        .size:           8
        .value_kind:     by_value
      - .actual_access:  read_only
        .address_space:  global
        .offset:         24
        .size:           8
        .value_kind:     global_buffer
      - .actual_access:  read_only
        .address_space:  global
        .offset:         32
        .size:           8
        .value_kind:     global_buffer
      - .actual_access:  read_only
        .address_space:  global
        .offset:         40
        .size:           8
        .value_kind:     global_buffer
      - .address_space:  global
        .offset:         48
        .size:           8
        .value_kind:     global_buffer
      - .offset:         56
        .size:           8
        .value_kind:     by_value
      - .address_space:  global
        .offset:         64
        .size:           8
        .value_kind:     global_buffer
      - .actual_access:  read_only
        .address_space:  global
        .offset:         72
        .size:           8
        .value_kind:     global_buffer
      - .address_space:  global
        .offset:         80
        .size:           8
        .value_kind:     global_buffer
      - .offset:         88
        .size:           4
        .value_kind:     by_value
      - .offset:         92
        .size:           4
        .value_kind:     by_value
      - .offset:         96
        .size:           4
        .value_kind:     by_value
      - .offset:         100
        .size:           1
        .value_kind:     by_value
    .group_segment_fixed_size: 1024
    .kernarg_segment_align: 8
    .kernarg_segment_size: 104
    .language:       OpenCL C
    .language_version:
      - 2
      - 0
    .max_flat_workgroup_size: 128
    .name:           _ZN9rocsparseL5csrsmILj128ELj64ELb0ElifEEv20rocsparse_operation_T3_S2_NS_24const_host_device_scalarIT4_EEPKT2_PKS2_PKS4_PS4_lPiSA_PS2_21rocsparse_index_base_20rocsparse_fill_mode_20rocsparse_diag_type_b
    .private_segment_fixed_size: 0
    .sgpr_count:     34
    .sgpr_spill_count: 0
    .symbol:         _ZN9rocsparseL5csrsmILj128ELj64ELb0ElifEEv20rocsparse_operation_T3_S2_NS_24const_host_device_scalarIT4_EEPKT2_PKS2_PKS4_PS4_lPiSA_PS2_21rocsparse_index_base_20rocsparse_fill_mode_20rocsparse_diag_type_b.kd
    .uniform_work_group_size: 1
    .uses_dynamic_stack: false
    .vgpr_count:     18
    .vgpr_spill_count: 0
    .wavefront_size: 32
    .workgroup_processor_mode: 1
  - .args:
      - .offset:         0
        .size:           4
        .value_kind:     by_value
      - .offset:         4
        .size:           4
        .value_kind:     by_value
      - .offset:         8
        .size:           4
        .value_kind:     by_value
      - .offset:         16
        .size:           8
        .value_kind:     by_value
      - .actual_access:  read_only
        .address_space:  global
        .offset:         24
        .size:           8
        .value_kind:     global_buffer
      - .actual_access:  read_only
        .address_space:  global
        .offset:         32
        .size:           8
        .value_kind:     global_buffer
      - .actual_access:  read_only
        .address_space:  global
        .offset:         40
        .size:           8
        .value_kind:     global_buffer
      - .address_space:  global
        .offset:         48
        .size:           8
        .value_kind:     global_buffer
      - .offset:         56
        .size:           8
        .value_kind:     by_value
      - .address_space:  global
        .offset:         64
        .size:           8
        .value_kind:     global_buffer
      - .actual_access:  read_only
        .address_space:  global
        .offset:         72
        .size:           8
        .value_kind:     global_buffer
      - .address_space:  global
        .offset:         80
        .size:           8
        .value_kind:     global_buffer
      - .offset:         88
        .size:           4
        .value_kind:     by_value
      - .offset:         92
        .size:           4
        .value_kind:     by_value
      - .offset:         96
        .size:           4
        .value_kind:     by_value
      - .offset:         100
        .size:           1
        .value_kind:     by_value
    .group_segment_fixed_size: 2048
    .kernarg_segment_align: 8
    .kernarg_segment_size: 104
    .language:       OpenCL C
    .language_version:
      - 2
      - 0
    .max_flat_workgroup_size: 256
    .name:           _ZN9rocsparseL5csrsmILj256ELj64ELb1ElifEEv20rocsparse_operation_T3_S2_NS_24const_host_device_scalarIT4_EEPKT2_PKS2_PKS4_PS4_lPiSA_PS2_21rocsparse_index_base_20rocsparse_fill_mode_20rocsparse_diag_type_b
    .private_segment_fixed_size: 0
    .sgpr_count:     34
    .sgpr_spill_count: 0
    .symbol:         _ZN9rocsparseL5csrsmILj256ELj64ELb1ElifEEv20rocsparse_operation_T3_S2_NS_24const_host_device_scalarIT4_EEPKT2_PKS2_PKS4_PS4_lPiSA_PS2_21rocsparse_index_base_20rocsparse_fill_mode_20rocsparse_diag_type_b.kd
    .uniform_work_group_size: 1
    .uses_dynamic_stack: false
    .vgpr_count:     18
    .vgpr_spill_count: 0
    .wavefront_size: 32
    .workgroup_processor_mode: 1
  - .args:
      - .offset:         0
        .size:           4
        .value_kind:     by_value
      - .offset:         4
        .size:           4
        .value_kind:     by_value
      - .offset:         8
        .size:           4
        .value_kind:     by_value
      - .offset:         16
        .size:           8
        .value_kind:     by_value
      - .actual_access:  read_only
        .address_space:  global
        .offset:         24
        .size:           8
        .value_kind:     global_buffer
      - .actual_access:  read_only
        .address_space:  global
        .offset:         32
        .size:           8
        .value_kind:     global_buffer
      - .actual_access:  read_only
        .address_space:  global
        .offset:         40
        .size:           8
        .value_kind:     global_buffer
      - .address_space:  global
        .offset:         48
        .size:           8
        .value_kind:     global_buffer
      - .offset:         56
        .size:           8
        .value_kind:     by_value
      - .address_space:  global
        .offset:         64
        .size:           8
        .value_kind:     global_buffer
      - .actual_access:  read_only
        .address_space:  global
        .offset:         72
        .size:           8
        .value_kind:     global_buffer
      - .address_space:  global
        .offset:         80
        .size:           8
        .value_kind:     global_buffer
      - .offset:         88
        .size:           4
        .value_kind:     by_value
      - .offset:         92
        .size:           4
        .value_kind:     by_value
      - .offset:         96
        .size:           4
        .value_kind:     by_value
      - .offset:         100
        .size:           1
        .value_kind:     by_value
    .group_segment_fixed_size: 2048
    .kernarg_segment_align: 8
    .kernarg_segment_size: 104
    .language:       OpenCL C
    .language_version:
      - 2
      - 0
    .max_flat_workgroup_size: 256
    .name:           _ZN9rocsparseL5csrsmILj256ELj64ELb0ElifEEv20rocsparse_operation_T3_S2_NS_24const_host_device_scalarIT4_EEPKT2_PKS2_PKS4_PS4_lPiSA_PS2_21rocsparse_index_base_20rocsparse_fill_mode_20rocsparse_diag_type_b
    .private_segment_fixed_size: 0
    .sgpr_count:     34
    .sgpr_spill_count: 0
    .symbol:         _ZN9rocsparseL5csrsmILj256ELj64ELb0ElifEEv20rocsparse_operation_T3_S2_NS_24const_host_device_scalarIT4_EEPKT2_PKS2_PKS4_PS4_lPiSA_PS2_21rocsparse_index_base_20rocsparse_fill_mode_20rocsparse_diag_type_b.kd
    .uniform_work_group_size: 1
    .uses_dynamic_stack: false
    .vgpr_count:     18
    .vgpr_spill_count: 0
    .wavefront_size: 32
    .workgroup_processor_mode: 1
  - .args:
      - .offset:         0
        .size:           4
        .value_kind:     by_value
      - .offset:         4
        .size:           4
        .value_kind:     by_value
      - .offset:         8
        .size:           4
        .value_kind:     by_value
      - .offset:         16
        .size:           8
        .value_kind:     by_value
      - .actual_access:  read_only
        .address_space:  global
        .offset:         24
        .size:           8
        .value_kind:     global_buffer
      - .actual_access:  read_only
        .address_space:  global
        .offset:         32
        .size:           8
        .value_kind:     global_buffer
      - .actual_access:  read_only
        .address_space:  global
        .offset:         40
        .size:           8
        .value_kind:     global_buffer
      - .address_space:  global
        .offset:         48
        .size:           8
        .value_kind:     global_buffer
      - .offset:         56
        .size:           8
        .value_kind:     by_value
      - .address_space:  global
        .offset:         64
        .size:           8
        .value_kind:     global_buffer
      - .actual_access:  read_only
        .address_space:  global
        .offset:         72
        .size:           8
        .value_kind:     global_buffer
      - .address_space:  global
        .offset:         80
        .size:           8
        .value_kind:     global_buffer
      - .offset:         88
        .size:           4
        .value_kind:     by_value
      - .offset:         92
        .size:           4
        .value_kind:     by_value
      - .offset:         96
        .size:           4
        .value_kind:     by_value
      - .offset:         100
        .size:           1
        .value_kind:     by_value
    .group_segment_fixed_size: 4096
    .kernarg_segment_align: 8
    .kernarg_segment_size: 104
    .language:       OpenCL C
    .language_version:
      - 2
      - 0
    .max_flat_workgroup_size: 512
    .name:           _ZN9rocsparseL5csrsmILj512ELj64ELb1ElifEEv20rocsparse_operation_T3_S2_NS_24const_host_device_scalarIT4_EEPKT2_PKS2_PKS4_PS4_lPiSA_PS2_21rocsparse_index_base_20rocsparse_fill_mode_20rocsparse_diag_type_b
    .private_segment_fixed_size: 0
    .sgpr_count:     34
    .sgpr_spill_count: 0
    .symbol:         _ZN9rocsparseL5csrsmILj512ELj64ELb1ElifEEv20rocsparse_operation_T3_S2_NS_24const_host_device_scalarIT4_EEPKT2_PKS2_PKS4_PS4_lPiSA_PS2_21rocsparse_index_base_20rocsparse_fill_mode_20rocsparse_diag_type_b.kd
    .uniform_work_group_size: 1
    .uses_dynamic_stack: false
    .vgpr_count:     18
    .vgpr_spill_count: 0
    .wavefront_size: 32
    .workgroup_processor_mode: 1
  - .args:
      - .offset:         0
        .size:           4
        .value_kind:     by_value
      - .offset:         4
        .size:           4
        .value_kind:     by_value
      - .offset:         8
        .size:           4
        .value_kind:     by_value
      - .offset:         16
        .size:           8
        .value_kind:     by_value
      - .actual_access:  read_only
        .address_space:  global
        .offset:         24
        .size:           8
        .value_kind:     global_buffer
      - .actual_access:  read_only
        .address_space:  global
        .offset:         32
        .size:           8
        .value_kind:     global_buffer
      - .actual_access:  read_only
        .address_space:  global
        .offset:         40
        .size:           8
        .value_kind:     global_buffer
      - .address_space:  global
        .offset:         48
        .size:           8
        .value_kind:     global_buffer
      - .offset:         56
        .size:           8
        .value_kind:     by_value
      - .address_space:  global
        .offset:         64
        .size:           8
        .value_kind:     global_buffer
      - .actual_access:  read_only
        .address_space:  global
        .offset:         72
        .size:           8
        .value_kind:     global_buffer
      - .address_space:  global
        .offset:         80
        .size:           8
        .value_kind:     global_buffer
      - .offset:         88
        .size:           4
        .value_kind:     by_value
      - .offset:         92
        .size:           4
        .value_kind:     by_value
      - .offset:         96
        .size:           4
        .value_kind:     by_value
      - .offset:         100
        .size:           1
        .value_kind:     by_value
    .group_segment_fixed_size: 4096
    .kernarg_segment_align: 8
    .kernarg_segment_size: 104
    .language:       OpenCL C
    .language_version:
      - 2
      - 0
    .max_flat_workgroup_size: 512
    .name:           _ZN9rocsparseL5csrsmILj512ELj64ELb0ElifEEv20rocsparse_operation_T3_S2_NS_24const_host_device_scalarIT4_EEPKT2_PKS2_PKS4_PS4_lPiSA_PS2_21rocsparse_index_base_20rocsparse_fill_mode_20rocsparse_diag_type_b
    .private_segment_fixed_size: 0
    .sgpr_count:     34
    .sgpr_spill_count: 0
    .symbol:         _ZN9rocsparseL5csrsmILj512ELj64ELb0ElifEEv20rocsparse_operation_T3_S2_NS_24const_host_device_scalarIT4_EEPKT2_PKS2_PKS4_PS4_lPiSA_PS2_21rocsparse_index_base_20rocsparse_fill_mode_20rocsparse_diag_type_b.kd
    .uniform_work_group_size: 1
    .uses_dynamic_stack: false
    .vgpr_count:     18
    .vgpr_spill_count: 0
    .wavefront_size: 32
    .workgroup_processor_mode: 1
  - .args:
      - .offset:         0
        .size:           4
        .value_kind:     by_value
      - .offset:         4
        .size:           4
        .value_kind:     by_value
      - .offset:         8
        .size:           4
        .value_kind:     by_value
      - .offset:         16
        .size:           8
        .value_kind:     by_value
      - .actual_access:  read_only
        .address_space:  global
        .offset:         24
        .size:           8
        .value_kind:     global_buffer
      - .actual_access:  read_only
        .address_space:  global
        .offset:         32
        .size:           8
        .value_kind:     global_buffer
      - .actual_access:  read_only
        .address_space:  global
        .offset:         40
        .size:           8
        .value_kind:     global_buffer
      - .address_space:  global
        .offset:         48
        .size:           8
        .value_kind:     global_buffer
      - .offset:         56
        .size:           8
        .value_kind:     by_value
      - .address_space:  global
        .offset:         64
        .size:           8
        .value_kind:     global_buffer
      - .actual_access:  read_only
        .address_space:  global
        .offset:         72
        .size:           8
        .value_kind:     global_buffer
      - .address_space:  global
        .offset:         80
        .size:           8
        .value_kind:     global_buffer
      - .offset:         88
        .size:           4
        .value_kind:     by_value
      - .offset:         92
        .size:           4
        .value_kind:     by_value
      - .offset:         96
        .size:           4
        .value_kind:     by_value
      - .offset:         100
        .size:           1
        .value_kind:     by_value
    .group_segment_fixed_size: 8192
    .kernarg_segment_align: 8
    .kernarg_segment_size: 104
    .language:       OpenCL C
    .language_version:
      - 2
      - 0
    .max_flat_workgroup_size: 1024
    .name:           _ZN9rocsparseL5csrsmILj1024ELj64ELb1ElifEEv20rocsparse_operation_T3_S2_NS_24const_host_device_scalarIT4_EEPKT2_PKS2_PKS4_PS4_lPiSA_PS2_21rocsparse_index_base_20rocsparse_fill_mode_20rocsparse_diag_type_b
    .private_segment_fixed_size: 0
    .sgpr_count:     34
    .sgpr_spill_count: 0
    .symbol:         _ZN9rocsparseL5csrsmILj1024ELj64ELb1ElifEEv20rocsparse_operation_T3_S2_NS_24const_host_device_scalarIT4_EEPKT2_PKS2_PKS4_PS4_lPiSA_PS2_21rocsparse_index_base_20rocsparse_fill_mode_20rocsparse_diag_type_b.kd
    .uniform_work_group_size: 1
    .uses_dynamic_stack: false
    .vgpr_count:     18
    .vgpr_spill_count: 0
    .wavefront_size: 32
    .workgroup_processor_mode: 1
  - .args:
      - .offset:         0
        .size:           4
        .value_kind:     by_value
      - .offset:         4
        .size:           4
        .value_kind:     by_value
      - .offset:         8
        .size:           4
        .value_kind:     by_value
      - .offset:         16
        .size:           8
        .value_kind:     by_value
      - .actual_access:  read_only
        .address_space:  global
        .offset:         24
        .size:           8
        .value_kind:     global_buffer
      - .actual_access:  read_only
        .address_space:  global
        .offset:         32
        .size:           8
        .value_kind:     global_buffer
      - .actual_access:  read_only
        .address_space:  global
        .offset:         40
        .size:           8
        .value_kind:     global_buffer
      - .address_space:  global
        .offset:         48
        .size:           8
        .value_kind:     global_buffer
      - .offset:         56
        .size:           8
        .value_kind:     by_value
      - .address_space:  global
        .offset:         64
        .size:           8
        .value_kind:     global_buffer
      - .actual_access:  read_only
        .address_space:  global
        .offset:         72
        .size:           8
        .value_kind:     global_buffer
      - .address_space:  global
        .offset:         80
        .size:           8
        .value_kind:     global_buffer
      - .offset:         88
        .size:           4
        .value_kind:     by_value
      - .offset:         92
        .size:           4
        .value_kind:     by_value
      - .offset:         96
        .size:           4
        .value_kind:     by_value
      - .offset:         100
        .size:           1
        .value_kind:     by_value
    .group_segment_fixed_size: 8192
    .kernarg_segment_align: 8
    .kernarg_segment_size: 104
    .language:       OpenCL C
    .language_version:
      - 2
      - 0
    .max_flat_workgroup_size: 1024
    .name:           _ZN9rocsparseL5csrsmILj1024ELj64ELb0ElifEEv20rocsparse_operation_T3_S2_NS_24const_host_device_scalarIT4_EEPKT2_PKS2_PKS4_PS4_lPiSA_PS2_21rocsparse_index_base_20rocsparse_fill_mode_20rocsparse_diag_type_b
    .private_segment_fixed_size: 0
    .sgpr_count:     34
    .sgpr_spill_count: 0
    .symbol:         _ZN9rocsparseL5csrsmILj1024ELj64ELb0ElifEEv20rocsparse_operation_T3_S2_NS_24const_host_device_scalarIT4_EEPKT2_PKS2_PKS4_PS4_lPiSA_PS2_21rocsparse_index_base_20rocsparse_fill_mode_20rocsparse_diag_type_b.kd
    .uniform_work_group_size: 1
    .uses_dynamic_stack: false
    .vgpr_count:     18
    .vgpr_spill_count: 0
    .wavefront_size: 32
    .workgroup_processor_mode: 1
  - .args:
      - .offset:         0
        .size:           4
        .value_kind:     by_value
      - .offset:         4
        .size:           4
        .value_kind:     by_value
      - .offset:         8
        .size:           4
        .value_kind:     by_value
      - .offset:         16
        .size:           8
        .value_kind:     by_value
      - .actual_access:  read_only
        .address_space:  global
        .offset:         24
        .size:           8
        .value_kind:     global_buffer
      - .actual_access:  read_only
        .address_space:  global
        .offset:         32
        .size:           8
        .value_kind:     global_buffer
      - .actual_access:  read_only
        .address_space:  global
        .offset:         40
        .size:           8
        .value_kind:     global_buffer
      - .address_space:  global
        .offset:         48
        .size:           8
        .value_kind:     global_buffer
      - .offset:         56
        .size:           8
        .value_kind:     by_value
      - .address_space:  global
        .offset:         64
        .size:           8
        .value_kind:     global_buffer
      - .actual_access:  read_only
        .address_space:  global
        .offset:         72
        .size:           8
        .value_kind:     global_buffer
      - .address_space:  global
        .offset:         80
        .size:           8
        .value_kind:     global_buffer
      - .offset:         88
        .size:           4
        .value_kind:     by_value
      - .offset:         92
        .size:           4
        .value_kind:     by_value
      - .offset:         96
        .size:           4
        .value_kind:     by_value
      - .offset:         100
        .size:           1
        .value_kind:     by_value
    .group_segment_fixed_size: 768
    .kernarg_segment_align: 8
    .kernarg_segment_size: 104
    .language:       OpenCL C
    .language_version:
      - 2
      - 0
    .max_flat_workgroup_size: 64
    .name:           _ZN9rocsparseL5csrsmILj64ELj64ELb1ElidEEv20rocsparse_operation_T3_S2_NS_24const_host_device_scalarIT4_EEPKT2_PKS2_PKS4_PS4_lPiSA_PS2_21rocsparse_index_base_20rocsparse_fill_mode_20rocsparse_diag_type_b
    .private_segment_fixed_size: 0
    .sgpr_count:     32
    .sgpr_spill_count: 0
    .symbol:         _ZN9rocsparseL5csrsmILj64ELj64ELb1ElidEEv20rocsparse_operation_T3_S2_NS_24const_host_device_scalarIT4_EEPKT2_PKS2_PKS4_PS4_lPiSA_PS2_21rocsparse_index_base_20rocsparse_fill_mode_20rocsparse_diag_type_b.kd
    .uniform_work_group_size: 1
    .uses_dynamic_stack: false
    .vgpr_count:     24
    .vgpr_spill_count: 0
    .wavefront_size: 32
    .workgroup_processor_mode: 1
  - .args:
      - .offset:         0
        .size:           4
        .value_kind:     by_value
      - .offset:         4
        .size:           4
        .value_kind:     by_value
      - .offset:         8
        .size:           4
        .value_kind:     by_value
      - .offset:         16
        .size:           8
        .value_kind:     by_value
      - .actual_access:  read_only
        .address_space:  global
        .offset:         24
        .size:           8
        .value_kind:     global_buffer
      - .actual_access:  read_only
        .address_space:  global
        .offset:         32
        .size:           8
        .value_kind:     global_buffer
      - .actual_access:  read_only
        .address_space:  global
        .offset:         40
        .size:           8
        .value_kind:     global_buffer
      - .address_space:  global
        .offset:         48
        .size:           8
        .value_kind:     global_buffer
      - .offset:         56
        .size:           8
        .value_kind:     by_value
      - .address_space:  global
        .offset:         64
        .size:           8
        .value_kind:     global_buffer
      - .actual_access:  read_only
        .address_space:  global
        .offset:         72
        .size:           8
        .value_kind:     global_buffer
      - .address_space:  global
        .offset:         80
        .size:           8
        .value_kind:     global_buffer
      - .offset:         88
        .size:           4
        .value_kind:     by_value
      - .offset:         92
        .size:           4
        .value_kind:     by_value
      - .offset:         96
        .size:           4
        .value_kind:     by_value
      - .offset:         100
        .size:           1
        .value_kind:     by_value
    .group_segment_fixed_size: 768
    .kernarg_segment_align: 8
    .kernarg_segment_size: 104
    .language:       OpenCL C
    .language_version:
      - 2
      - 0
    .max_flat_workgroup_size: 64
    .name:           _ZN9rocsparseL5csrsmILj64ELj64ELb0ElidEEv20rocsparse_operation_T3_S2_NS_24const_host_device_scalarIT4_EEPKT2_PKS2_PKS4_PS4_lPiSA_PS2_21rocsparse_index_base_20rocsparse_fill_mode_20rocsparse_diag_type_b
    .private_segment_fixed_size: 0
    .sgpr_count:     32
    .sgpr_spill_count: 0
    .symbol:         _ZN9rocsparseL5csrsmILj64ELj64ELb0ElidEEv20rocsparse_operation_T3_S2_NS_24const_host_device_scalarIT4_EEPKT2_PKS2_PKS4_PS4_lPiSA_PS2_21rocsparse_index_base_20rocsparse_fill_mode_20rocsparse_diag_type_b.kd
    .uniform_work_group_size: 1
    .uses_dynamic_stack: false
    .vgpr_count:     24
    .vgpr_spill_count: 0
    .wavefront_size: 32
    .workgroup_processor_mode: 1
  - .args:
      - .offset:         0
        .size:           4
        .value_kind:     by_value
      - .offset:         4
        .size:           4
        .value_kind:     by_value
      - .offset:         8
        .size:           4
        .value_kind:     by_value
      - .offset:         16
        .size:           8
        .value_kind:     by_value
      - .actual_access:  read_only
        .address_space:  global
        .offset:         24
        .size:           8
        .value_kind:     global_buffer
      - .actual_access:  read_only
        .address_space:  global
        .offset:         32
        .size:           8
        .value_kind:     global_buffer
      - .actual_access:  read_only
        .address_space:  global
        .offset:         40
        .size:           8
        .value_kind:     global_buffer
      - .address_space:  global
        .offset:         48
        .size:           8
        .value_kind:     global_buffer
      - .offset:         56
        .size:           8
        .value_kind:     by_value
      - .address_space:  global
        .offset:         64
        .size:           8
        .value_kind:     global_buffer
      - .actual_access:  read_only
        .address_space:  global
        .offset:         72
        .size:           8
        .value_kind:     global_buffer
      - .address_space:  global
        .offset:         80
        .size:           8
        .value_kind:     global_buffer
      - .offset:         88
        .size:           4
        .value_kind:     by_value
      - .offset:         92
        .size:           4
        .value_kind:     by_value
      - .offset:         96
        .size:           4
        .value_kind:     by_value
      - .offset:         100
        .size:           1
        .value_kind:     by_value
    .group_segment_fixed_size: 1536
    .kernarg_segment_align: 8
    .kernarg_segment_size: 104
    .language:       OpenCL C
    .language_version:
      - 2
      - 0
    .max_flat_workgroup_size: 128
    .name:           _ZN9rocsparseL5csrsmILj128ELj64ELb1ElidEEv20rocsparse_operation_T3_S2_NS_24const_host_device_scalarIT4_EEPKT2_PKS2_PKS4_PS4_lPiSA_PS2_21rocsparse_index_base_20rocsparse_fill_mode_20rocsparse_diag_type_b
    .private_segment_fixed_size: 0
    .sgpr_count:     32
    .sgpr_spill_count: 0
    .symbol:         _ZN9rocsparseL5csrsmILj128ELj64ELb1ElidEEv20rocsparse_operation_T3_S2_NS_24const_host_device_scalarIT4_EEPKT2_PKS2_PKS4_PS4_lPiSA_PS2_21rocsparse_index_base_20rocsparse_fill_mode_20rocsparse_diag_type_b.kd
    .uniform_work_group_size: 1
    .uses_dynamic_stack: false
    .vgpr_count:     24
    .vgpr_spill_count: 0
    .wavefront_size: 32
    .workgroup_processor_mode: 1
  - .args:
      - .offset:         0
        .size:           4
        .value_kind:     by_value
      - .offset:         4
        .size:           4
        .value_kind:     by_value
      - .offset:         8
        .size:           4
        .value_kind:     by_value
      - .offset:         16
        .size:           8
        .value_kind:     by_value
      - .actual_access:  read_only
        .address_space:  global
        .offset:         24
        .size:           8
        .value_kind:     global_buffer
      - .actual_access:  read_only
        .address_space:  global
        .offset:         32
        .size:           8
        .value_kind:     global_buffer
      - .actual_access:  read_only
        .address_space:  global
        .offset:         40
        .size:           8
        .value_kind:     global_buffer
      - .address_space:  global
        .offset:         48
        .size:           8
        .value_kind:     global_buffer
      - .offset:         56
        .size:           8
        .value_kind:     by_value
      - .address_space:  global
        .offset:         64
        .size:           8
        .value_kind:     global_buffer
      - .actual_access:  read_only
        .address_space:  global
        .offset:         72
        .size:           8
        .value_kind:     global_buffer
      - .address_space:  global
        .offset:         80
        .size:           8
        .value_kind:     global_buffer
      - .offset:         88
        .size:           4
        .value_kind:     by_value
      - .offset:         92
        .size:           4
        .value_kind:     by_value
      - .offset:         96
        .size:           4
        .value_kind:     by_value
      - .offset:         100
        .size:           1
        .value_kind:     by_value
    .group_segment_fixed_size: 1536
    .kernarg_segment_align: 8
    .kernarg_segment_size: 104
    .language:       OpenCL C
    .language_version:
      - 2
      - 0
    .max_flat_workgroup_size: 128
    .name:           _ZN9rocsparseL5csrsmILj128ELj64ELb0ElidEEv20rocsparse_operation_T3_S2_NS_24const_host_device_scalarIT4_EEPKT2_PKS2_PKS4_PS4_lPiSA_PS2_21rocsparse_index_base_20rocsparse_fill_mode_20rocsparse_diag_type_b
    .private_segment_fixed_size: 0
    .sgpr_count:     32
    .sgpr_spill_count: 0
    .symbol:         _ZN9rocsparseL5csrsmILj128ELj64ELb0ElidEEv20rocsparse_operation_T3_S2_NS_24const_host_device_scalarIT4_EEPKT2_PKS2_PKS4_PS4_lPiSA_PS2_21rocsparse_index_base_20rocsparse_fill_mode_20rocsparse_diag_type_b.kd
    .uniform_work_group_size: 1
    .uses_dynamic_stack: false
    .vgpr_count:     24
    .vgpr_spill_count: 0
    .wavefront_size: 32
    .workgroup_processor_mode: 1
  - .args:
      - .offset:         0
        .size:           4
        .value_kind:     by_value
      - .offset:         4
        .size:           4
        .value_kind:     by_value
      - .offset:         8
        .size:           4
        .value_kind:     by_value
      - .offset:         16
        .size:           8
        .value_kind:     by_value
      - .actual_access:  read_only
        .address_space:  global
        .offset:         24
        .size:           8
        .value_kind:     global_buffer
      - .actual_access:  read_only
        .address_space:  global
        .offset:         32
        .size:           8
        .value_kind:     global_buffer
      - .actual_access:  read_only
        .address_space:  global
        .offset:         40
        .size:           8
        .value_kind:     global_buffer
      - .address_space:  global
        .offset:         48
        .size:           8
        .value_kind:     global_buffer
      - .offset:         56
        .size:           8
        .value_kind:     by_value
      - .address_space:  global
        .offset:         64
        .size:           8
        .value_kind:     global_buffer
      - .actual_access:  read_only
        .address_space:  global
        .offset:         72
        .size:           8
        .value_kind:     global_buffer
      - .address_space:  global
        .offset:         80
        .size:           8
        .value_kind:     global_buffer
      - .offset:         88
        .size:           4
        .value_kind:     by_value
      - .offset:         92
        .size:           4
        .value_kind:     by_value
      - .offset:         96
        .size:           4
        .value_kind:     by_value
      - .offset:         100
        .size:           1
        .value_kind:     by_value
    .group_segment_fixed_size: 3072
    .kernarg_segment_align: 8
    .kernarg_segment_size: 104
    .language:       OpenCL C
    .language_version:
      - 2
      - 0
    .max_flat_workgroup_size: 256
    .name:           _ZN9rocsparseL5csrsmILj256ELj64ELb1ElidEEv20rocsparse_operation_T3_S2_NS_24const_host_device_scalarIT4_EEPKT2_PKS2_PKS4_PS4_lPiSA_PS2_21rocsparse_index_base_20rocsparse_fill_mode_20rocsparse_diag_type_b
    .private_segment_fixed_size: 0
    .sgpr_count:     32
    .sgpr_spill_count: 0
    .symbol:         _ZN9rocsparseL5csrsmILj256ELj64ELb1ElidEEv20rocsparse_operation_T3_S2_NS_24const_host_device_scalarIT4_EEPKT2_PKS2_PKS4_PS4_lPiSA_PS2_21rocsparse_index_base_20rocsparse_fill_mode_20rocsparse_diag_type_b.kd
    .uniform_work_group_size: 1
    .uses_dynamic_stack: false
    .vgpr_count:     24
    .vgpr_spill_count: 0
    .wavefront_size: 32
    .workgroup_processor_mode: 1
  - .args:
      - .offset:         0
        .size:           4
        .value_kind:     by_value
      - .offset:         4
        .size:           4
        .value_kind:     by_value
      - .offset:         8
        .size:           4
        .value_kind:     by_value
      - .offset:         16
        .size:           8
        .value_kind:     by_value
      - .actual_access:  read_only
        .address_space:  global
        .offset:         24
        .size:           8
        .value_kind:     global_buffer
      - .actual_access:  read_only
        .address_space:  global
        .offset:         32
        .size:           8
        .value_kind:     global_buffer
      - .actual_access:  read_only
        .address_space:  global
        .offset:         40
        .size:           8
        .value_kind:     global_buffer
      - .address_space:  global
        .offset:         48
        .size:           8
        .value_kind:     global_buffer
      - .offset:         56
        .size:           8
        .value_kind:     by_value
      - .address_space:  global
        .offset:         64
        .size:           8
        .value_kind:     global_buffer
      - .actual_access:  read_only
        .address_space:  global
        .offset:         72
        .size:           8
        .value_kind:     global_buffer
      - .address_space:  global
        .offset:         80
        .size:           8
        .value_kind:     global_buffer
      - .offset:         88
        .size:           4
        .value_kind:     by_value
      - .offset:         92
        .size:           4
        .value_kind:     by_value
      - .offset:         96
        .size:           4
        .value_kind:     by_value
      - .offset:         100
        .size:           1
        .value_kind:     by_value
    .group_segment_fixed_size: 3072
    .kernarg_segment_align: 8
    .kernarg_segment_size: 104
    .language:       OpenCL C
    .language_version:
      - 2
      - 0
    .max_flat_workgroup_size: 256
    .name:           _ZN9rocsparseL5csrsmILj256ELj64ELb0ElidEEv20rocsparse_operation_T3_S2_NS_24const_host_device_scalarIT4_EEPKT2_PKS2_PKS4_PS4_lPiSA_PS2_21rocsparse_index_base_20rocsparse_fill_mode_20rocsparse_diag_type_b
    .private_segment_fixed_size: 0
    .sgpr_count:     32
    .sgpr_spill_count: 0
    .symbol:         _ZN9rocsparseL5csrsmILj256ELj64ELb0ElidEEv20rocsparse_operation_T3_S2_NS_24const_host_device_scalarIT4_EEPKT2_PKS2_PKS4_PS4_lPiSA_PS2_21rocsparse_index_base_20rocsparse_fill_mode_20rocsparse_diag_type_b.kd
    .uniform_work_group_size: 1
    .uses_dynamic_stack: false
    .vgpr_count:     24
    .vgpr_spill_count: 0
    .wavefront_size: 32
    .workgroup_processor_mode: 1
  - .args:
      - .offset:         0
        .size:           4
        .value_kind:     by_value
      - .offset:         4
        .size:           4
        .value_kind:     by_value
      - .offset:         8
        .size:           4
        .value_kind:     by_value
      - .offset:         16
        .size:           8
        .value_kind:     by_value
      - .actual_access:  read_only
        .address_space:  global
        .offset:         24
        .size:           8
        .value_kind:     global_buffer
      - .actual_access:  read_only
        .address_space:  global
        .offset:         32
        .size:           8
        .value_kind:     global_buffer
      - .actual_access:  read_only
        .address_space:  global
        .offset:         40
        .size:           8
        .value_kind:     global_buffer
      - .address_space:  global
        .offset:         48
        .size:           8
        .value_kind:     global_buffer
      - .offset:         56
        .size:           8
        .value_kind:     by_value
      - .address_space:  global
        .offset:         64
        .size:           8
        .value_kind:     global_buffer
      - .actual_access:  read_only
        .address_space:  global
        .offset:         72
        .size:           8
        .value_kind:     global_buffer
      - .address_space:  global
        .offset:         80
        .size:           8
        .value_kind:     global_buffer
      - .offset:         88
        .size:           4
        .value_kind:     by_value
      - .offset:         92
        .size:           4
        .value_kind:     by_value
      - .offset:         96
        .size:           4
        .value_kind:     by_value
      - .offset:         100
        .size:           1
        .value_kind:     by_value
    .group_segment_fixed_size: 6144
    .kernarg_segment_align: 8
    .kernarg_segment_size: 104
    .language:       OpenCL C
    .language_version:
      - 2
      - 0
    .max_flat_workgroup_size: 512
    .name:           _ZN9rocsparseL5csrsmILj512ELj64ELb1ElidEEv20rocsparse_operation_T3_S2_NS_24const_host_device_scalarIT4_EEPKT2_PKS2_PKS4_PS4_lPiSA_PS2_21rocsparse_index_base_20rocsparse_fill_mode_20rocsparse_diag_type_b
    .private_segment_fixed_size: 0
    .sgpr_count:     32
    .sgpr_spill_count: 0
    .symbol:         _ZN9rocsparseL5csrsmILj512ELj64ELb1ElidEEv20rocsparse_operation_T3_S2_NS_24const_host_device_scalarIT4_EEPKT2_PKS2_PKS4_PS4_lPiSA_PS2_21rocsparse_index_base_20rocsparse_fill_mode_20rocsparse_diag_type_b.kd
    .uniform_work_group_size: 1
    .uses_dynamic_stack: false
    .vgpr_count:     24
    .vgpr_spill_count: 0
    .wavefront_size: 32
    .workgroup_processor_mode: 1
  - .args:
      - .offset:         0
        .size:           4
        .value_kind:     by_value
      - .offset:         4
        .size:           4
        .value_kind:     by_value
      - .offset:         8
        .size:           4
        .value_kind:     by_value
      - .offset:         16
        .size:           8
        .value_kind:     by_value
      - .actual_access:  read_only
        .address_space:  global
        .offset:         24
        .size:           8
        .value_kind:     global_buffer
      - .actual_access:  read_only
        .address_space:  global
        .offset:         32
        .size:           8
        .value_kind:     global_buffer
      - .actual_access:  read_only
        .address_space:  global
        .offset:         40
        .size:           8
        .value_kind:     global_buffer
      - .address_space:  global
        .offset:         48
        .size:           8
        .value_kind:     global_buffer
      - .offset:         56
        .size:           8
        .value_kind:     by_value
      - .address_space:  global
        .offset:         64
        .size:           8
        .value_kind:     global_buffer
      - .actual_access:  read_only
        .address_space:  global
        .offset:         72
        .size:           8
        .value_kind:     global_buffer
      - .address_space:  global
        .offset:         80
        .size:           8
        .value_kind:     global_buffer
      - .offset:         88
        .size:           4
        .value_kind:     by_value
      - .offset:         92
        .size:           4
        .value_kind:     by_value
      - .offset:         96
        .size:           4
        .value_kind:     by_value
      - .offset:         100
        .size:           1
        .value_kind:     by_value
    .group_segment_fixed_size: 6144
    .kernarg_segment_align: 8
    .kernarg_segment_size: 104
    .language:       OpenCL C
    .language_version:
      - 2
      - 0
    .max_flat_workgroup_size: 512
    .name:           _ZN9rocsparseL5csrsmILj512ELj64ELb0ElidEEv20rocsparse_operation_T3_S2_NS_24const_host_device_scalarIT4_EEPKT2_PKS2_PKS4_PS4_lPiSA_PS2_21rocsparse_index_base_20rocsparse_fill_mode_20rocsparse_diag_type_b
    .private_segment_fixed_size: 0
    .sgpr_count:     32
    .sgpr_spill_count: 0
    .symbol:         _ZN9rocsparseL5csrsmILj512ELj64ELb0ElidEEv20rocsparse_operation_T3_S2_NS_24const_host_device_scalarIT4_EEPKT2_PKS2_PKS4_PS4_lPiSA_PS2_21rocsparse_index_base_20rocsparse_fill_mode_20rocsparse_diag_type_b.kd
    .uniform_work_group_size: 1
    .uses_dynamic_stack: false
    .vgpr_count:     24
    .vgpr_spill_count: 0
    .wavefront_size: 32
    .workgroup_processor_mode: 1
  - .args:
      - .offset:         0
        .size:           4
        .value_kind:     by_value
      - .offset:         4
        .size:           4
        .value_kind:     by_value
      - .offset:         8
        .size:           4
        .value_kind:     by_value
      - .offset:         16
        .size:           8
        .value_kind:     by_value
      - .actual_access:  read_only
        .address_space:  global
        .offset:         24
        .size:           8
        .value_kind:     global_buffer
      - .actual_access:  read_only
        .address_space:  global
        .offset:         32
        .size:           8
        .value_kind:     global_buffer
      - .actual_access:  read_only
        .address_space:  global
        .offset:         40
        .size:           8
        .value_kind:     global_buffer
      - .address_space:  global
        .offset:         48
        .size:           8
        .value_kind:     global_buffer
      - .offset:         56
        .size:           8
        .value_kind:     by_value
      - .address_space:  global
        .offset:         64
        .size:           8
        .value_kind:     global_buffer
      - .actual_access:  read_only
        .address_space:  global
        .offset:         72
        .size:           8
        .value_kind:     global_buffer
      - .address_space:  global
        .offset:         80
        .size:           8
        .value_kind:     global_buffer
      - .offset:         88
        .size:           4
        .value_kind:     by_value
      - .offset:         92
        .size:           4
        .value_kind:     by_value
      - .offset:         96
        .size:           4
        .value_kind:     by_value
      - .offset:         100
        .size:           1
        .value_kind:     by_value
    .group_segment_fixed_size: 12288
    .kernarg_segment_align: 8
    .kernarg_segment_size: 104
    .language:       OpenCL C
    .language_version:
      - 2
      - 0
    .max_flat_workgroup_size: 1024
    .name:           _ZN9rocsparseL5csrsmILj1024ELj64ELb1ElidEEv20rocsparse_operation_T3_S2_NS_24const_host_device_scalarIT4_EEPKT2_PKS2_PKS4_PS4_lPiSA_PS2_21rocsparse_index_base_20rocsparse_fill_mode_20rocsparse_diag_type_b
    .private_segment_fixed_size: 0
    .sgpr_count:     32
    .sgpr_spill_count: 0
    .symbol:         _ZN9rocsparseL5csrsmILj1024ELj64ELb1ElidEEv20rocsparse_operation_T3_S2_NS_24const_host_device_scalarIT4_EEPKT2_PKS2_PKS4_PS4_lPiSA_PS2_21rocsparse_index_base_20rocsparse_fill_mode_20rocsparse_diag_type_b.kd
    .uniform_work_group_size: 1
    .uses_dynamic_stack: false
    .vgpr_count:     24
    .vgpr_spill_count: 0
    .wavefront_size: 32
    .workgroup_processor_mode: 1
  - .args:
      - .offset:         0
        .size:           4
        .value_kind:     by_value
      - .offset:         4
        .size:           4
        .value_kind:     by_value
      - .offset:         8
        .size:           4
        .value_kind:     by_value
      - .offset:         16
        .size:           8
        .value_kind:     by_value
      - .actual_access:  read_only
        .address_space:  global
        .offset:         24
        .size:           8
        .value_kind:     global_buffer
      - .actual_access:  read_only
        .address_space:  global
        .offset:         32
        .size:           8
        .value_kind:     global_buffer
      - .actual_access:  read_only
        .address_space:  global
        .offset:         40
        .size:           8
        .value_kind:     global_buffer
      - .address_space:  global
        .offset:         48
        .size:           8
        .value_kind:     global_buffer
      - .offset:         56
        .size:           8
        .value_kind:     by_value
      - .address_space:  global
        .offset:         64
        .size:           8
        .value_kind:     global_buffer
      - .actual_access:  read_only
        .address_space:  global
        .offset:         72
        .size:           8
        .value_kind:     global_buffer
      - .address_space:  global
        .offset:         80
        .size:           8
        .value_kind:     global_buffer
      - .offset:         88
        .size:           4
        .value_kind:     by_value
      - .offset:         92
        .size:           4
        .value_kind:     by_value
      - .offset:         96
        .size:           4
        .value_kind:     by_value
      - .offset:         100
        .size:           1
        .value_kind:     by_value
    .group_segment_fixed_size: 12288
    .kernarg_segment_align: 8
    .kernarg_segment_size: 104
    .language:       OpenCL C
    .language_version:
      - 2
      - 0
    .max_flat_workgroup_size: 1024
    .name:           _ZN9rocsparseL5csrsmILj1024ELj64ELb0ElidEEv20rocsparse_operation_T3_S2_NS_24const_host_device_scalarIT4_EEPKT2_PKS2_PKS4_PS4_lPiSA_PS2_21rocsparse_index_base_20rocsparse_fill_mode_20rocsparse_diag_type_b
    .private_segment_fixed_size: 0
    .sgpr_count:     32
    .sgpr_spill_count: 0
    .symbol:         _ZN9rocsparseL5csrsmILj1024ELj64ELb0ElidEEv20rocsparse_operation_T3_S2_NS_24const_host_device_scalarIT4_EEPKT2_PKS2_PKS4_PS4_lPiSA_PS2_21rocsparse_index_base_20rocsparse_fill_mode_20rocsparse_diag_type_b.kd
    .uniform_work_group_size: 1
    .uses_dynamic_stack: false
    .vgpr_count:     24
    .vgpr_spill_count: 0
    .wavefront_size: 32
    .workgroup_processor_mode: 1
  - .args:
      - .offset:         0
        .size:           4
        .value_kind:     by_value
      - .offset:         4
        .size:           4
        .value_kind:     by_value
      - .offset:         8
        .size:           4
        .value_kind:     by_value
      - .offset:         16
        .size:           8
        .value_kind:     by_value
      - .actual_access:  read_only
        .address_space:  global
        .offset:         24
        .size:           8
        .value_kind:     global_buffer
      - .actual_access:  read_only
        .address_space:  global
        .offset:         32
        .size:           8
        .value_kind:     global_buffer
      - .actual_access:  read_only
        .address_space:  global
        .offset:         40
        .size:           8
        .value_kind:     global_buffer
      - .address_space:  global
        .offset:         48
        .size:           8
        .value_kind:     global_buffer
      - .offset:         56
        .size:           8
        .value_kind:     by_value
      - .address_space:  global
        .offset:         64
        .size:           8
        .value_kind:     global_buffer
      - .actual_access:  read_only
        .address_space:  global
        .offset:         72
        .size:           8
        .value_kind:     global_buffer
      - .address_space:  global
        .offset:         80
        .size:           8
        .value_kind:     global_buffer
      - .offset:         88
        .size:           4
        .value_kind:     by_value
      - .offset:         92
        .size:           4
        .value_kind:     by_value
      - .offset:         96
        .size:           4
        .value_kind:     by_value
      - .offset:         100
        .size:           1
        .value_kind:     by_value
    .group_segment_fixed_size: 768
    .kernarg_segment_align: 8
    .kernarg_segment_size: 104
    .language:       OpenCL C
    .language_version:
      - 2
      - 0
    .max_flat_workgroup_size: 64
    .name:           _ZN9rocsparseL5csrsmILj64ELj64ELb1Eli21rocsparse_complex_numIfEEEv20rocsparse_operation_T3_S4_NS_24const_host_device_scalarIT4_EEPKT2_PKS4_PKS6_PS6_lPiSC_PS4_21rocsparse_index_base_20rocsparse_fill_mode_20rocsparse_diag_type_b
    .private_segment_fixed_size: 0
    .sgpr_count:     30
    .sgpr_spill_count: 0
    .symbol:         _ZN9rocsparseL5csrsmILj64ELj64ELb1Eli21rocsparse_complex_numIfEEEv20rocsparse_operation_T3_S4_NS_24const_host_device_scalarIT4_EEPKT2_PKS4_PKS6_PS6_lPiSC_PS4_21rocsparse_index_base_20rocsparse_fill_mode_20rocsparse_diag_type_b.kd
    .uniform_work_group_size: 1
    .uses_dynamic_stack: false
    .vgpr_count:     22
    .vgpr_spill_count: 0
    .wavefront_size: 32
    .workgroup_processor_mode: 1
  - .args:
      - .offset:         0
        .size:           4
        .value_kind:     by_value
      - .offset:         4
        .size:           4
        .value_kind:     by_value
      - .offset:         8
        .size:           4
        .value_kind:     by_value
      - .offset:         16
        .size:           8
        .value_kind:     by_value
      - .actual_access:  read_only
        .address_space:  global
        .offset:         24
        .size:           8
        .value_kind:     global_buffer
      - .actual_access:  read_only
        .address_space:  global
        .offset:         32
        .size:           8
        .value_kind:     global_buffer
      - .actual_access:  read_only
        .address_space:  global
        .offset:         40
        .size:           8
        .value_kind:     global_buffer
      - .address_space:  global
        .offset:         48
        .size:           8
        .value_kind:     global_buffer
      - .offset:         56
        .size:           8
        .value_kind:     by_value
      - .address_space:  global
        .offset:         64
        .size:           8
        .value_kind:     global_buffer
      - .actual_access:  read_only
        .address_space:  global
        .offset:         72
        .size:           8
        .value_kind:     global_buffer
      - .address_space:  global
        .offset:         80
        .size:           8
        .value_kind:     global_buffer
      - .offset:         88
        .size:           4
        .value_kind:     by_value
      - .offset:         92
        .size:           4
        .value_kind:     by_value
      - .offset:         96
        .size:           4
        .value_kind:     by_value
      - .offset:         100
        .size:           1
        .value_kind:     by_value
    .group_segment_fixed_size: 768
    .kernarg_segment_align: 8
    .kernarg_segment_size: 104
    .language:       OpenCL C
    .language_version:
      - 2
      - 0
    .max_flat_workgroup_size: 64
    .name:           _ZN9rocsparseL5csrsmILj64ELj64ELb0Eli21rocsparse_complex_numIfEEEv20rocsparse_operation_T3_S4_NS_24const_host_device_scalarIT4_EEPKT2_PKS4_PKS6_PS6_lPiSC_PS4_21rocsparse_index_base_20rocsparse_fill_mode_20rocsparse_diag_type_b
    .private_segment_fixed_size: 0
    .sgpr_count:     30
    .sgpr_spill_count: 0
    .symbol:         _ZN9rocsparseL5csrsmILj64ELj64ELb0Eli21rocsparse_complex_numIfEEEv20rocsparse_operation_T3_S4_NS_24const_host_device_scalarIT4_EEPKT2_PKS4_PKS6_PS6_lPiSC_PS4_21rocsparse_index_base_20rocsparse_fill_mode_20rocsparse_diag_type_b.kd
    .uniform_work_group_size: 1
    .uses_dynamic_stack: false
    .vgpr_count:     22
    .vgpr_spill_count: 0
    .wavefront_size: 32
    .workgroup_processor_mode: 1
  - .args:
      - .offset:         0
        .size:           4
        .value_kind:     by_value
      - .offset:         4
        .size:           4
        .value_kind:     by_value
      - .offset:         8
        .size:           4
        .value_kind:     by_value
      - .offset:         16
        .size:           8
        .value_kind:     by_value
      - .actual_access:  read_only
        .address_space:  global
        .offset:         24
        .size:           8
        .value_kind:     global_buffer
      - .actual_access:  read_only
        .address_space:  global
        .offset:         32
        .size:           8
        .value_kind:     global_buffer
      - .actual_access:  read_only
        .address_space:  global
        .offset:         40
        .size:           8
        .value_kind:     global_buffer
      - .address_space:  global
        .offset:         48
        .size:           8
        .value_kind:     global_buffer
      - .offset:         56
        .size:           8
        .value_kind:     by_value
      - .address_space:  global
        .offset:         64
        .size:           8
        .value_kind:     global_buffer
      - .actual_access:  read_only
        .address_space:  global
        .offset:         72
        .size:           8
        .value_kind:     global_buffer
      - .address_space:  global
        .offset:         80
        .size:           8
        .value_kind:     global_buffer
      - .offset:         88
        .size:           4
        .value_kind:     by_value
      - .offset:         92
        .size:           4
        .value_kind:     by_value
      - .offset:         96
        .size:           4
        .value_kind:     by_value
      - .offset:         100
        .size:           1
        .value_kind:     by_value
    .group_segment_fixed_size: 1536
    .kernarg_segment_align: 8
    .kernarg_segment_size: 104
    .language:       OpenCL C
    .language_version:
      - 2
      - 0
    .max_flat_workgroup_size: 128
    .name:           _ZN9rocsparseL5csrsmILj128ELj64ELb1Eli21rocsparse_complex_numIfEEEv20rocsparse_operation_T3_S4_NS_24const_host_device_scalarIT4_EEPKT2_PKS4_PKS6_PS6_lPiSC_PS4_21rocsparse_index_base_20rocsparse_fill_mode_20rocsparse_diag_type_b
    .private_segment_fixed_size: 0
    .sgpr_count:     30
    .sgpr_spill_count: 0
    .symbol:         _ZN9rocsparseL5csrsmILj128ELj64ELb1Eli21rocsparse_complex_numIfEEEv20rocsparse_operation_T3_S4_NS_24const_host_device_scalarIT4_EEPKT2_PKS4_PKS6_PS6_lPiSC_PS4_21rocsparse_index_base_20rocsparse_fill_mode_20rocsparse_diag_type_b.kd
    .uniform_work_group_size: 1
    .uses_dynamic_stack: false
    .vgpr_count:     22
    .vgpr_spill_count: 0
    .wavefront_size: 32
    .workgroup_processor_mode: 1
  - .args:
      - .offset:         0
        .size:           4
        .value_kind:     by_value
      - .offset:         4
        .size:           4
        .value_kind:     by_value
      - .offset:         8
        .size:           4
        .value_kind:     by_value
      - .offset:         16
        .size:           8
        .value_kind:     by_value
      - .actual_access:  read_only
        .address_space:  global
        .offset:         24
        .size:           8
        .value_kind:     global_buffer
      - .actual_access:  read_only
        .address_space:  global
        .offset:         32
        .size:           8
        .value_kind:     global_buffer
      - .actual_access:  read_only
        .address_space:  global
        .offset:         40
        .size:           8
        .value_kind:     global_buffer
      - .address_space:  global
        .offset:         48
        .size:           8
        .value_kind:     global_buffer
      - .offset:         56
        .size:           8
        .value_kind:     by_value
      - .address_space:  global
        .offset:         64
        .size:           8
        .value_kind:     global_buffer
      - .actual_access:  read_only
        .address_space:  global
        .offset:         72
        .size:           8
        .value_kind:     global_buffer
      - .address_space:  global
        .offset:         80
        .size:           8
        .value_kind:     global_buffer
      - .offset:         88
        .size:           4
        .value_kind:     by_value
      - .offset:         92
        .size:           4
        .value_kind:     by_value
      - .offset:         96
        .size:           4
        .value_kind:     by_value
      - .offset:         100
        .size:           1
        .value_kind:     by_value
    .group_segment_fixed_size: 1536
    .kernarg_segment_align: 8
    .kernarg_segment_size: 104
    .language:       OpenCL C
    .language_version:
      - 2
      - 0
    .max_flat_workgroup_size: 128
    .name:           _ZN9rocsparseL5csrsmILj128ELj64ELb0Eli21rocsparse_complex_numIfEEEv20rocsparse_operation_T3_S4_NS_24const_host_device_scalarIT4_EEPKT2_PKS4_PKS6_PS6_lPiSC_PS4_21rocsparse_index_base_20rocsparse_fill_mode_20rocsparse_diag_type_b
    .private_segment_fixed_size: 0
    .sgpr_count:     30
    .sgpr_spill_count: 0
    .symbol:         _ZN9rocsparseL5csrsmILj128ELj64ELb0Eli21rocsparse_complex_numIfEEEv20rocsparse_operation_T3_S4_NS_24const_host_device_scalarIT4_EEPKT2_PKS4_PKS6_PS6_lPiSC_PS4_21rocsparse_index_base_20rocsparse_fill_mode_20rocsparse_diag_type_b.kd
    .uniform_work_group_size: 1
    .uses_dynamic_stack: false
    .vgpr_count:     22
    .vgpr_spill_count: 0
    .wavefront_size: 32
    .workgroup_processor_mode: 1
  - .args:
      - .offset:         0
        .size:           4
        .value_kind:     by_value
      - .offset:         4
        .size:           4
        .value_kind:     by_value
      - .offset:         8
        .size:           4
        .value_kind:     by_value
      - .offset:         16
        .size:           8
        .value_kind:     by_value
      - .actual_access:  read_only
        .address_space:  global
        .offset:         24
        .size:           8
        .value_kind:     global_buffer
      - .actual_access:  read_only
        .address_space:  global
        .offset:         32
        .size:           8
        .value_kind:     global_buffer
      - .actual_access:  read_only
        .address_space:  global
        .offset:         40
        .size:           8
        .value_kind:     global_buffer
      - .address_space:  global
        .offset:         48
        .size:           8
        .value_kind:     global_buffer
      - .offset:         56
        .size:           8
        .value_kind:     by_value
      - .address_space:  global
        .offset:         64
        .size:           8
        .value_kind:     global_buffer
      - .actual_access:  read_only
        .address_space:  global
        .offset:         72
        .size:           8
        .value_kind:     global_buffer
      - .address_space:  global
        .offset:         80
        .size:           8
        .value_kind:     global_buffer
      - .offset:         88
        .size:           4
        .value_kind:     by_value
      - .offset:         92
        .size:           4
        .value_kind:     by_value
      - .offset:         96
        .size:           4
        .value_kind:     by_value
      - .offset:         100
        .size:           1
        .value_kind:     by_value
    .group_segment_fixed_size: 3072
    .kernarg_segment_align: 8
    .kernarg_segment_size: 104
    .language:       OpenCL C
    .language_version:
      - 2
      - 0
    .max_flat_workgroup_size: 256
    .name:           _ZN9rocsparseL5csrsmILj256ELj64ELb1Eli21rocsparse_complex_numIfEEEv20rocsparse_operation_T3_S4_NS_24const_host_device_scalarIT4_EEPKT2_PKS4_PKS6_PS6_lPiSC_PS4_21rocsparse_index_base_20rocsparse_fill_mode_20rocsparse_diag_type_b
    .private_segment_fixed_size: 0
    .sgpr_count:     30
    .sgpr_spill_count: 0
    .symbol:         _ZN9rocsparseL5csrsmILj256ELj64ELb1Eli21rocsparse_complex_numIfEEEv20rocsparse_operation_T3_S4_NS_24const_host_device_scalarIT4_EEPKT2_PKS4_PKS6_PS6_lPiSC_PS4_21rocsparse_index_base_20rocsparse_fill_mode_20rocsparse_diag_type_b.kd
    .uniform_work_group_size: 1
    .uses_dynamic_stack: false
    .vgpr_count:     22
    .vgpr_spill_count: 0
    .wavefront_size: 32
    .workgroup_processor_mode: 1
  - .args:
      - .offset:         0
        .size:           4
        .value_kind:     by_value
      - .offset:         4
        .size:           4
        .value_kind:     by_value
      - .offset:         8
        .size:           4
        .value_kind:     by_value
      - .offset:         16
        .size:           8
        .value_kind:     by_value
      - .actual_access:  read_only
        .address_space:  global
        .offset:         24
        .size:           8
        .value_kind:     global_buffer
      - .actual_access:  read_only
        .address_space:  global
        .offset:         32
        .size:           8
        .value_kind:     global_buffer
      - .actual_access:  read_only
        .address_space:  global
        .offset:         40
        .size:           8
        .value_kind:     global_buffer
      - .address_space:  global
        .offset:         48
        .size:           8
        .value_kind:     global_buffer
      - .offset:         56
        .size:           8
        .value_kind:     by_value
      - .address_space:  global
        .offset:         64
        .size:           8
        .value_kind:     global_buffer
      - .actual_access:  read_only
        .address_space:  global
        .offset:         72
        .size:           8
        .value_kind:     global_buffer
      - .address_space:  global
        .offset:         80
        .size:           8
        .value_kind:     global_buffer
      - .offset:         88
        .size:           4
        .value_kind:     by_value
      - .offset:         92
        .size:           4
        .value_kind:     by_value
      - .offset:         96
        .size:           4
        .value_kind:     by_value
      - .offset:         100
        .size:           1
        .value_kind:     by_value
    .group_segment_fixed_size: 3072
    .kernarg_segment_align: 8
    .kernarg_segment_size: 104
    .language:       OpenCL C
    .language_version:
      - 2
      - 0
    .max_flat_workgroup_size: 256
    .name:           _ZN9rocsparseL5csrsmILj256ELj64ELb0Eli21rocsparse_complex_numIfEEEv20rocsparse_operation_T3_S4_NS_24const_host_device_scalarIT4_EEPKT2_PKS4_PKS6_PS6_lPiSC_PS4_21rocsparse_index_base_20rocsparse_fill_mode_20rocsparse_diag_type_b
    .private_segment_fixed_size: 0
    .sgpr_count:     30
    .sgpr_spill_count: 0
    .symbol:         _ZN9rocsparseL5csrsmILj256ELj64ELb0Eli21rocsparse_complex_numIfEEEv20rocsparse_operation_T3_S4_NS_24const_host_device_scalarIT4_EEPKT2_PKS4_PKS6_PS6_lPiSC_PS4_21rocsparse_index_base_20rocsparse_fill_mode_20rocsparse_diag_type_b.kd
    .uniform_work_group_size: 1
    .uses_dynamic_stack: false
    .vgpr_count:     22
    .vgpr_spill_count: 0
    .wavefront_size: 32
    .workgroup_processor_mode: 1
  - .args:
      - .offset:         0
        .size:           4
        .value_kind:     by_value
      - .offset:         4
        .size:           4
        .value_kind:     by_value
      - .offset:         8
        .size:           4
        .value_kind:     by_value
      - .offset:         16
        .size:           8
        .value_kind:     by_value
      - .actual_access:  read_only
        .address_space:  global
        .offset:         24
        .size:           8
        .value_kind:     global_buffer
      - .actual_access:  read_only
        .address_space:  global
        .offset:         32
        .size:           8
        .value_kind:     global_buffer
      - .actual_access:  read_only
        .address_space:  global
        .offset:         40
        .size:           8
        .value_kind:     global_buffer
      - .address_space:  global
        .offset:         48
        .size:           8
        .value_kind:     global_buffer
      - .offset:         56
        .size:           8
        .value_kind:     by_value
      - .address_space:  global
        .offset:         64
        .size:           8
        .value_kind:     global_buffer
      - .actual_access:  read_only
        .address_space:  global
        .offset:         72
        .size:           8
        .value_kind:     global_buffer
      - .address_space:  global
        .offset:         80
        .size:           8
        .value_kind:     global_buffer
      - .offset:         88
        .size:           4
        .value_kind:     by_value
      - .offset:         92
        .size:           4
        .value_kind:     by_value
      - .offset:         96
        .size:           4
        .value_kind:     by_value
      - .offset:         100
        .size:           1
        .value_kind:     by_value
    .group_segment_fixed_size: 6144
    .kernarg_segment_align: 8
    .kernarg_segment_size: 104
    .language:       OpenCL C
    .language_version:
      - 2
      - 0
    .max_flat_workgroup_size: 512
    .name:           _ZN9rocsparseL5csrsmILj512ELj64ELb1Eli21rocsparse_complex_numIfEEEv20rocsparse_operation_T3_S4_NS_24const_host_device_scalarIT4_EEPKT2_PKS4_PKS6_PS6_lPiSC_PS4_21rocsparse_index_base_20rocsparse_fill_mode_20rocsparse_diag_type_b
    .private_segment_fixed_size: 0
    .sgpr_count:     30
    .sgpr_spill_count: 0
    .symbol:         _ZN9rocsparseL5csrsmILj512ELj64ELb1Eli21rocsparse_complex_numIfEEEv20rocsparse_operation_T3_S4_NS_24const_host_device_scalarIT4_EEPKT2_PKS4_PKS6_PS6_lPiSC_PS4_21rocsparse_index_base_20rocsparse_fill_mode_20rocsparse_diag_type_b.kd
    .uniform_work_group_size: 1
    .uses_dynamic_stack: false
    .vgpr_count:     22
    .vgpr_spill_count: 0
    .wavefront_size: 32
    .workgroup_processor_mode: 1
  - .args:
      - .offset:         0
        .size:           4
        .value_kind:     by_value
      - .offset:         4
        .size:           4
        .value_kind:     by_value
      - .offset:         8
        .size:           4
        .value_kind:     by_value
      - .offset:         16
        .size:           8
        .value_kind:     by_value
      - .actual_access:  read_only
        .address_space:  global
        .offset:         24
        .size:           8
        .value_kind:     global_buffer
      - .actual_access:  read_only
        .address_space:  global
        .offset:         32
        .size:           8
        .value_kind:     global_buffer
      - .actual_access:  read_only
        .address_space:  global
        .offset:         40
        .size:           8
        .value_kind:     global_buffer
      - .address_space:  global
        .offset:         48
        .size:           8
        .value_kind:     global_buffer
      - .offset:         56
        .size:           8
        .value_kind:     by_value
      - .address_space:  global
        .offset:         64
        .size:           8
        .value_kind:     global_buffer
      - .actual_access:  read_only
        .address_space:  global
        .offset:         72
        .size:           8
        .value_kind:     global_buffer
      - .address_space:  global
        .offset:         80
        .size:           8
        .value_kind:     global_buffer
      - .offset:         88
        .size:           4
        .value_kind:     by_value
      - .offset:         92
        .size:           4
        .value_kind:     by_value
      - .offset:         96
        .size:           4
        .value_kind:     by_value
      - .offset:         100
        .size:           1
        .value_kind:     by_value
    .group_segment_fixed_size: 6144
    .kernarg_segment_align: 8
    .kernarg_segment_size: 104
    .language:       OpenCL C
    .language_version:
      - 2
      - 0
    .max_flat_workgroup_size: 512
    .name:           _ZN9rocsparseL5csrsmILj512ELj64ELb0Eli21rocsparse_complex_numIfEEEv20rocsparse_operation_T3_S4_NS_24const_host_device_scalarIT4_EEPKT2_PKS4_PKS6_PS6_lPiSC_PS4_21rocsparse_index_base_20rocsparse_fill_mode_20rocsparse_diag_type_b
    .private_segment_fixed_size: 0
    .sgpr_count:     30
    .sgpr_spill_count: 0
    .symbol:         _ZN9rocsparseL5csrsmILj512ELj64ELb0Eli21rocsparse_complex_numIfEEEv20rocsparse_operation_T3_S4_NS_24const_host_device_scalarIT4_EEPKT2_PKS4_PKS6_PS6_lPiSC_PS4_21rocsparse_index_base_20rocsparse_fill_mode_20rocsparse_diag_type_b.kd
    .uniform_work_group_size: 1
    .uses_dynamic_stack: false
    .vgpr_count:     22
    .vgpr_spill_count: 0
    .wavefront_size: 32
    .workgroup_processor_mode: 1
  - .args:
      - .offset:         0
        .size:           4
        .value_kind:     by_value
      - .offset:         4
        .size:           4
        .value_kind:     by_value
      - .offset:         8
        .size:           4
        .value_kind:     by_value
      - .offset:         16
        .size:           8
        .value_kind:     by_value
      - .actual_access:  read_only
        .address_space:  global
        .offset:         24
        .size:           8
        .value_kind:     global_buffer
      - .actual_access:  read_only
        .address_space:  global
        .offset:         32
        .size:           8
        .value_kind:     global_buffer
      - .actual_access:  read_only
        .address_space:  global
        .offset:         40
        .size:           8
        .value_kind:     global_buffer
      - .address_space:  global
        .offset:         48
        .size:           8
        .value_kind:     global_buffer
      - .offset:         56
        .size:           8
        .value_kind:     by_value
      - .address_space:  global
        .offset:         64
        .size:           8
        .value_kind:     global_buffer
      - .actual_access:  read_only
        .address_space:  global
        .offset:         72
        .size:           8
        .value_kind:     global_buffer
      - .address_space:  global
        .offset:         80
        .size:           8
        .value_kind:     global_buffer
      - .offset:         88
        .size:           4
        .value_kind:     by_value
      - .offset:         92
        .size:           4
        .value_kind:     by_value
      - .offset:         96
        .size:           4
        .value_kind:     by_value
      - .offset:         100
        .size:           1
        .value_kind:     by_value
    .group_segment_fixed_size: 12288
    .kernarg_segment_align: 8
    .kernarg_segment_size: 104
    .language:       OpenCL C
    .language_version:
      - 2
      - 0
    .max_flat_workgroup_size: 1024
    .name:           _ZN9rocsparseL5csrsmILj1024ELj64ELb1Eli21rocsparse_complex_numIfEEEv20rocsparse_operation_T3_S4_NS_24const_host_device_scalarIT4_EEPKT2_PKS4_PKS6_PS6_lPiSC_PS4_21rocsparse_index_base_20rocsparse_fill_mode_20rocsparse_diag_type_b
    .private_segment_fixed_size: 0
    .sgpr_count:     30
    .sgpr_spill_count: 0
    .symbol:         _ZN9rocsparseL5csrsmILj1024ELj64ELb1Eli21rocsparse_complex_numIfEEEv20rocsparse_operation_T3_S4_NS_24const_host_device_scalarIT4_EEPKT2_PKS4_PKS6_PS6_lPiSC_PS4_21rocsparse_index_base_20rocsparse_fill_mode_20rocsparse_diag_type_b.kd
    .uniform_work_group_size: 1
    .uses_dynamic_stack: false
    .vgpr_count:     24
    .vgpr_spill_count: 0
    .wavefront_size: 32
    .workgroup_processor_mode: 1
  - .args:
      - .offset:         0
        .size:           4
        .value_kind:     by_value
      - .offset:         4
        .size:           4
        .value_kind:     by_value
      - .offset:         8
        .size:           4
        .value_kind:     by_value
      - .offset:         16
        .size:           8
        .value_kind:     by_value
      - .actual_access:  read_only
        .address_space:  global
        .offset:         24
        .size:           8
        .value_kind:     global_buffer
      - .actual_access:  read_only
        .address_space:  global
        .offset:         32
        .size:           8
        .value_kind:     global_buffer
      - .actual_access:  read_only
        .address_space:  global
        .offset:         40
        .size:           8
        .value_kind:     global_buffer
      - .address_space:  global
        .offset:         48
        .size:           8
        .value_kind:     global_buffer
      - .offset:         56
        .size:           8
        .value_kind:     by_value
      - .address_space:  global
        .offset:         64
        .size:           8
        .value_kind:     global_buffer
      - .actual_access:  read_only
        .address_space:  global
        .offset:         72
        .size:           8
        .value_kind:     global_buffer
      - .address_space:  global
        .offset:         80
        .size:           8
        .value_kind:     global_buffer
      - .offset:         88
        .size:           4
        .value_kind:     by_value
      - .offset:         92
        .size:           4
        .value_kind:     by_value
      - .offset:         96
        .size:           4
        .value_kind:     by_value
      - .offset:         100
        .size:           1
        .value_kind:     by_value
    .group_segment_fixed_size: 12288
    .kernarg_segment_align: 8
    .kernarg_segment_size: 104
    .language:       OpenCL C
    .language_version:
      - 2
      - 0
    .max_flat_workgroup_size: 1024
    .name:           _ZN9rocsparseL5csrsmILj1024ELj64ELb0Eli21rocsparse_complex_numIfEEEv20rocsparse_operation_T3_S4_NS_24const_host_device_scalarIT4_EEPKT2_PKS4_PKS6_PS6_lPiSC_PS4_21rocsparse_index_base_20rocsparse_fill_mode_20rocsparse_diag_type_b
    .private_segment_fixed_size: 0
    .sgpr_count:     30
    .sgpr_spill_count: 0
    .symbol:         _ZN9rocsparseL5csrsmILj1024ELj64ELb0Eli21rocsparse_complex_numIfEEEv20rocsparse_operation_T3_S4_NS_24const_host_device_scalarIT4_EEPKT2_PKS4_PKS6_PS6_lPiSC_PS4_21rocsparse_index_base_20rocsparse_fill_mode_20rocsparse_diag_type_b.kd
    .uniform_work_group_size: 1
    .uses_dynamic_stack: false
    .vgpr_count:     24
    .vgpr_spill_count: 0
    .wavefront_size: 32
    .workgroup_processor_mode: 1
  - .args:
      - .offset:         0
        .size:           4
        .value_kind:     by_value
      - .offset:         4
        .size:           4
        .value_kind:     by_value
      - .offset:         8
        .size:           4
        .value_kind:     by_value
      - .offset:         16
        .size:           16
        .value_kind:     by_value
      - .actual_access:  read_only
        .address_space:  global
        .offset:         32
        .size:           8
        .value_kind:     global_buffer
      - .actual_access:  read_only
        .address_space:  global
        .offset:         40
        .size:           8
        .value_kind:     global_buffer
      - .actual_access:  read_only
        .address_space:  global
        .offset:         48
        .size:           8
        .value_kind:     global_buffer
      - .address_space:  global
        .offset:         56
        .size:           8
        .value_kind:     global_buffer
      - .offset:         64
        .size:           8
        .value_kind:     by_value
      - .address_space:  global
        .offset:         72
        .size:           8
        .value_kind:     global_buffer
      - .actual_access:  read_only
        .address_space:  global
        .offset:         80
        .size:           8
        .value_kind:     global_buffer
      - .address_space:  global
        .offset:         88
        .size:           8
        .value_kind:     global_buffer
      - .offset:         96
        .size:           4
        .value_kind:     by_value
      - .offset:         100
        .size:           4
        .value_kind:     by_value
      - .offset:         104
        .size:           4
        .value_kind:     by_value
      - .offset:         108
        .size:           1
        .value_kind:     by_value
    .group_segment_fixed_size: 1792
    .kernarg_segment_align: 8
    .kernarg_segment_size: 112
    .language:       OpenCL C
    .language_version:
      - 2
      - 0
    .max_flat_workgroup_size: 64
    .name:           _ZN9rocsparseL5csrsmILj64ELj64ELb1Eli21rocsparse_complex_numIdEEEv20rocsparse_operation_T3_S4_NS_24const_host_device_scalarIT4_EEPKT2_PKS4_PKS6_PS6_lPiSC_PS4_21rocsparse_index_base_20rocsparse_fill_mode_20rocsparse_diag_type_b
    .private_segment_fixed_size: 0
    .sgpr_count:     30
    .sgpr_spill_count: 0
    .symbol:         _ZN9rocsparseL5csrsmILj64ELj64ELb1Eli21rocsparse_complex_numIdEEEv20rocsparse_operation_T3_S4_NS_24const_host_device_scalarIT4_EEPKT2_PKS4_PKS6_PS6_lPiSC_PS4_21rocsparse_index_base_20rocsparse_fill_mode_20rocsparse_diag_type_b.kd
    .uniform_work_group_size: 1
    .uses_dynamic_stack: false
    .vgpr_count:     32
    .vgpr_spill_count: 0
    .wavefront_size: 32
    .workgroup_processor_mode: 1
  - .args:
      - .offset:         0
        .size:           4
        .value_kind:     by_value
      - .offset:         4
        .size:           4
        .value_kind:     by_value
      - .offset:         8
        .size:           4
        .value_kind:     by_value
      - .offset:         16
        .size:           16
        .value_kind:     by_value
      - .actual_access:  read_only
        .address_space:  global
        .offset:         32
        .size:           8
        .value_kind:     global_buffer
      - .actual_access:  read_only
        .address_space:  global
        .offset:         40
        .size:           8
        .value_kind:     global_buffer
      - .actual_access:  read_only
        .address_space:  global
        .offset:         48
        .size:           8
        .value_kind:     global_buffer
      - .address_space:  global
        .offset:         56
        .size:           8
        .value_kind:     global_buffer
      - .offset:         64
        .size:           8
        .value_kind:     by_value
      - .address_space:  global
        .offset:         72
        .size:           8
        .value_kind:     global_buffer
      - .actual_access:  read_only
        .address_space:  global
        .offset:         80
        .size:           8
        .value_kind:     global_buffer
      - .address_space:  global
        .offset:         88
        .size:           8
        .value_kind:     global_buffer
      - .offset:         96
        .size:           4
        .value_kind:     by_value
      - .offset:         100
        .size:           4
        .value_kind:     by_value
      - .offset:         104
        .size:           4
        .value_kind:     by_value
      - .offset:         108
        .size:           1
        .value_kind:     by_value
    .group_segment_fixed_size: 1792
    .kernarg_segment_align: 8
    .kernarg_segment_size: 112
    .language:       OpenCL C
    .language_version:
      - 2
      - 0
    .max_flat_workgroup_size: 64
    .name:           _ZN9rocsparseL5csrsmILj64ELj64ELb0Eli21rocsparse_complex_numIdEEEv20rocsparse_operation_T3_S4_NS_24const_host_device_scalarIT4_EEPKT2_PKS4_PKS6_PS6_lPiSC_PS4_21rocsparse_index_base_20rocsparse_fill_mode_20rocsparse_diag_type_b
    .private_segment_fixed_size: 0
    .sgpr_count:     30
    .sgpr_spill_count: 0
    .symbol:         _ZN9rocsparseL5csrsmILj64ELj64ELb0Eli21rocsparse_complex_numIdEEEv20rocsparse_operation_T3_S4_NS_24const_host_device_scalarIT4_EEPKT2_PKS4_PKS6_PS6_lPiSC_PS4_21rocsparse_index_base_20rocsparse_fill_mode_20rocsparse_diag_type_b.kd
    .uniform_work_group_size: 1
    .uses_dynamic_stack: false
    .vgpr_count:     32
    .vgpr_spill_count: 0
    .wavefront_size: 32
    .workgroup_processor_mode: 1
  - .args:
      - .offset:         0
        .size:           4
        .value_kind:     by_value
      - .offset:         4
        .size:           4
        .value_kind:     by_value
      - .offset:         8
        .size:           4
        .value_kind:     by_value
      - .offset:         16
        .size:           16
        .value_kind:     by_value
      - .actual_access:  read_only
        .address_space:  global
        .offset:         32
        .size:           8
        .value_kind:     global_buffer
      - .actual_access:  read_only
        .address_space:  global
        .offset:         40
        .size:           8
        .value_kind:     global_buffer
      - .actual_access:  read_only
        .address_space:  global
        .offset:         48
        .size:           8
        .value_kind:     global_buffer
      - .address_space:  global
        .offset:         56
        .size:           8
        .value_kind:     global_buffer
      - .offset:         64
        .size:           8
        .value_kind:     by_value
      - .address_space:  global
        .offset:         72
        .size:           8
        .value_kind:     global_buffer
      - .actual_access:  read_only
        .address_space:  global
        .offset:         80
        .size:           8
        .value_kind:     global_buffer
      - .address_space:  global
        .offset:         88
        .size:           8
        .value_kind:     global_buffer
      - .offset:         96
        .size:           4
        .value_kind:     by_value
      - .offset:         100
        .size:           4
        .value_kind:     by_value
      - .offset:         104
        .size:           4
        .value_kind:     by_value
      - .offset:         108
        .size:           1
        .value_kind:     by_value
    .group_segment_fixed_size: 3584
    .kernarg_segment_align: 8
    .kernarg_segment_size: 112
    .language:       OpenCL C
    .language_version:
      - 2
      - 0
    .max_flat_workgroup_size: 128
    .name:           _ZN9rocsparseL5csrsmILj128ELj64ELb1Eli21rocsparse_complex_numIdEEEv20rocsparse_operation_T3_S4_NS_24const_host_device_scalarIT4_EEPKT2_PKS4_PKS6_PS6_lPiSC_PS4_21rocsparse_index_base_20rocsparse_fill_mode_20rocsparse_diag_type_b
    .private_segment_fixed_size: 0
    .sgpr_count:     30
    .sgpr_spill_count: 0
    .symbol:         _ZN9rocsparseL5csrsmILj128ELj64ELb1Eli21rocsparse_complex_numIdEEEv20rocsparse_operation_T3_S4_NS_24const_host_device_scalarIT4_EEPKT2_PKS4_PKS6_PS6_lPiSC_PS4_21rocsparse_index_base_20rocsparse_fill_mode_20rocsparse_diag_type_b.kd
    .uniform_work_group_size: 1
    .uses_dynamic_stack: false
    .vgpr_count:     32
    .vgpr_spill_count: 0
    .wavefront_size: 32
    .workgroup_processor_mode: 1
  - .args:
      - .offset:         0
        .size:           4
        .value_kind:     by_value
      - .offset:         4
        .size:           4
        .value_kind:     by_value
      - .offset:         8
        .size:           4
        .value_kind:     by_value
      - .offset:         16
        .size:           16
        .value_kind:     by_value
      - .actual_access:  read_only
        .address_space:  global
        .offset:         32
        .size:           8
        .value_kind:     global_buffer
      - .actual_access:  read_only
        .address_space:  global
        .offset:         40
        .size:           8
        .value_kind:     global_buffer
      - .actual_access:  read_only
        .address_space:  global
        .offset:         48
        .size:           8
        .value_kind:     global_buffer
      - .address_space:  global
        .offset:         56
        .size:           8
        .value_kind:     global_buffer
      - .offset:         64
        .size:           8
        .value_kind:     by_value
      - .address_space:  global
        .offset:         72
        .size:           8
        .value_kind:     global_buffer
      - .actual_access:  read_only
        .address_space:  global
        .offset:         80
        .size:           8
        .value_kind:     global_buffer
      - .address_space:  global
        .offset:         88
        .size:           8
        .value_kind:     global_buffer
      - .offset:         96
        .size:           4
        .value_kind:     by_value
      - .offset:         100
        .size:           4
        .value_kind:     by_value
      - .offset:         104
        .size:           4
        .value_kind:     by_value
      - .offset:         108
        .size:           1
        .value_kind:     by_value
    .group_segment_fixed_size: 3584
    .kernarg_segment_align: 8
    .kernarg_segment_size: 112
    .language:       OpenCL C
    .language_version:
      - 2
      - 0
    .max_flat_workgroup_size: 128
    .name:           _ZN9rocsparseL5csrsmILj128ELj64ELb0Eli21rocsparse_complex_numIdEEEv20rocsparse_operation_T3_S4_NS_24const_host_device_scalarIT4_EEPKT2_PKS4_PKS6_PS6_lPiSC_PS4_21rocsparse_index_base_20rocsparse_fill_mode_20rocsparse_diag_type_b
    .private_segment_fixed_size: 0
    .sgpr_count:     30
    .sgpr_spill_count: 0
    .symbol:         _ZN9rocsparseL5csrsmILj128ELj64ELb0Eli21rocsparse_complex_numIdEEEv20rocsparse_operation_T3_S4_NS_24const_host_device_scalarIT4_EEPKT2_PKS4_PKS6_PS6_lPiSC_PS4_21rocsparse_index_base_20rocsparse_fill_mode_20rocsparse_diag_type_b.kd
    .uniform_work_group_size: 1
    .uses_dynamic_stack: false
    .vgpr_count:     32
    .vgpr_spill_count: 0
    .wavefront_size: 32
    .workgroup_processor_mode: 1
  - .args:
      - .offset:         0
        .size:           4
        .value_kind:     by_value
      - .offset:         4
        .size:           4
        .value_kind:     by_value
      - .offset:         8
        .size:           4
        .value_kind:     by_value
      - .offset:         16
        .size:           16
        .value_kind:     by_value
      - .actual_access:  read_only
        .address_space:  global
        .offset:         32
        .size:           8
        .value_kind:     global_buffer
      - .actual_access:  read_only
        .address_space:  global
        .offset:         40
        .size:           8
        .value_kind:     global_buffer
      - .actual_access:  read_only
        .address_space:  global
        .offset:         48
        .size:           8
        .value_kind:     global_buffer
      - .address_space:  global
        .offset:         56
        .size:           8
        .value_kind:     global_buffer
      - .offset:         64
        .size:           8
        .value_kind:     by_value
      - .address_space:  global
        .offset:         72
        .size:           8
        .value_kind:     global_buffer
      - .actual_access:  read_only
        .address_space:  global
        .offset:         80
        .size:           8
        .value_kind:     global_buffer
      - .address_space:  global
        .offset:         88
        .size:           8
        .value_kind:     global_buffer
      - .offset:         96
        .size:           4
        .value_kind:     by_value
      - .offset:         100
        .size:           4
        .value_kind:     by_value
      - .offset:         104
        .size:           4
        .value_kind:     by_value
      - .offset:         108
        .size:           1
        .value_kind:     by_value
    .group_segment_fixed_size: 7168
    .kernarg_segment_align: 8
    .kernarg_segment_size: 112
    .language:       OpenCL C
    .language_version:
      - 2
      - 0
    .max_flat_workgroup_size: 256
    .name:           _ZN9rocsparseL5csrsmILj256ELj64ELb1Eli21rocsparse_complex_numIdEEEv20rocsparse_operation_T3_S4_NS_24const_host_device_scalarIT4_EEPKT2_PKS4_PKS6_PS6_lPiSC_PS4_21rocsparse_index_base_20rocsparse_fill_mode_20rocsparse_diag_type_b
    .private_segment_fixed_size: 0
    .sgpr_count:     30
    .sgpr_spill_count: 0
    .symbol:         _ZN9rocsparseL5csrsmILj256ELj64ELb1Eli21rocsparse_complex_numIdEEEv20rocsparse_operation_T3_S4_NS_24const_host_device_scalarIT4_EEPKT2_PKS4_PKS6_PS6_lPiSC_PS4_21rocsparse_index_base_20rocsparse_fill_mode_20rocsparse_diag_type_b.kd
    .uniform_work_group_size: 1
    .uses_dynamic_stack: false
    .vgpr_count:     32
    .vgpr_spill_count: 0
    .wavefront_size: 32
    .workgroup_processor_mode: 1
  - .args:
      - .offset:         0
        .size:           4
        .value_kind:     by_value
      - .offset:         4
        .size:           4
        .value_kind:     by_value
      - .offset:         8
        .size:           4
        .value_kind:     by_value
      - .offset:         16
        .size:           16
        .value_kind:     by_value
      - .actual_access:  read_only
        .address_space:  global
        .offset:         32
        .size:           8
        .value_kind:     global_buffer
      - .actual_access:  read_only
        .address_space:  global
        .offset:         40
        .size:           8
        .value_kind:     global_buffer
      - .actual_access:  read_only
        .address_space:  global
        .offset:         48
        .size:           8
        .value_kind:     global_buffer
      - .address_space:  global
        .offset:         56
        .size:           8
        .value_kind:     global_buffer
      - .offset:         64
        .size:           8
        .value_kind:     by_value
      - .address_space:  global
        .offset:         72
        .size:           8
        .value_kind:     global_buffer
      - .actual_access:  read_only
        .address_space:  global
        .offset:         80
        .size:           8
        .value_kind:     global_buffer
      - .address_space:  global
        .offset:         88
        .size:           8
        .value_kind:     global_buffer
      - .offset:         96
        .size:           4
        .value_kind:     by_value
      - .offset:         100
        .size:           4
        .value_kind:     by_value
      - .offset:         104
        .size:           4
        .value_kind:     by_value
      - .offset:         108
        .size:           1
        .value_kind:     by_value
    .group_segment_fixed_size: 7168
    .kernarg_segment_align: 8
    .kernarg_segment_size: 112
    .language:       OpenCL C
    .language_version:
      - 2
      - 0
    .max_flat_workgroup_size: 256
    .name:           _ZN9rocsparseL5csrsmILj256ELj64ELb0Eli21rocsparse_complex_numIdEEEv20rocsparse_operation_T3_S4_NS_24const_host_device_scalarIT4_EEPKT2_PKS4_PKS6_PS6_lPiSC_PS4_21rocsparse_index_base_20rocsparse_fill_mode_20rocsparse_diag_type_b
    .private_segment_fixed_size: 0
    .sgpr_count:     30
    .sgpr_spill_count: 0
    .symbol:         _ZN9rocsparseL5csrsmILj256ELj64ELb0Eli21rocsparse_complex_numIdEEEv20rocsparse_operation_T3_S4_NS_24const_host_device_scalarIT4_EEPKT2_PKS4_PKS6_PS6_lPiSC_PS4_21rocsparse_index_base_20rocsparse_fill_mode_20rocsparse_diag_type_b.kd
    .uniform_work_group_size: 1
    .uses_dynamic_stack: false
    .vgpr_count:     32
    .vgpr_spill_count: 0
    .wavefront_size: 32
    .workgroup_processor_mode: 1
  - .args:
      - .offset:         0
        .size:           4
        .value_kind:     by_value
      - .offset:         4
        .size:           4
        .value_kind:     by_value
      - .offset:         8
        .size:           4
        .value_kind:     by_value
      - .offset:         16
        .size:           16
        .value_kind:     by_value
      - .actual_access:  read_only
        .address_space:  global
        .offset:         32
        .size:           8
        .value_kind:     global_buffer
      - .actual_access:  read_only
        .address_space:  global
        .offset:         40
        .size:           8
        .value_kind:     global_buffer
      - .actual_access:  read_only
        .address_space:  global
        .offset:         48
        .size:           8
        .value_kind:     global_buffer
      - .address_space:  global
        .offset:         56
        .size:           8
        .value_kind:     global_buffer
      - .offset:         64
        .size:           8
        .value_kind:     by_value
      - .address_space:  global
        .offset:         72
        .size:           8
        .value_kind:     global_buffer
      - .actual_access:  read_only
        .address_space:  global
        .offset:         80
        .size:           8
        .value_kind:     global_buffer
      - .address_space:  global
        .offset:         88
        .size:           8
        .value_kind:     global_buffer
      - .offset:         96
        .size:           4
        .value_kind:     by_value
      - .offset:         100
        .size:           4
        .value_kind:     by_value
      - .offset:         104
        .size:           4
        .value_kind:     by_value
      - .offset:         108
        .size:           1
        .value_kind:     by_value
    .group_segment_fixed_size: 14336
    .kernarg_segment_align: 8
    .kernarg_segment_size: 112
    .language:       OpenCL C
    .language_version:
      - 2
      - 0
    .max_flat_workgroup_size: 512
    .name:           _ZN9rocsparseL5csrsmILj512ELj64ELb1Eli21rocsparse_complex_numIdEEEv20rocsparse_operation_T3_S4_NS_24const_host_device_scalarIT4_EEPKT2_PKS4_PKS6_PS6_lPiSC_PS4_21rocsparse_index_base_20rocsparse_fill_mode_20rocsparse_diag_type_b
    .private_segment_fixed_size: 0
    .sgpr_count:     30
    .sgpr_spill_count: 0
    .symbol:         _ZN9rocsparseL5csrsmILj512ELj64ELb1Eli21rocsparse_complex_numIdEEEv20rocsparse_operation_T3_S4_NS_24const_host_device_scalarIT4_EEPKT2_PKS4_PKS6_PS6_lPiSC_PS4_21rocsparse_index_base_20rocsparse_fill_mode_20rocsparse_diag_type_b.kd
    .uniform_work_group_size: 1
    .uses_dynamic_stack: false
    .vgpr_count:     32
    .vgpr_spill_count: 0
    .wavefront_size: 32
    .workgroup_processor_mode: 1
  - .args:
      - .offset:         0
        .size:           4
        .value_kind:     by_value
      - .offset:         4
        .size:           4
        .value_kind:     by_value
      - .offset:         8
        .size:           4
        .value_kind:     by_value
      - .offset:         16
        .size:           16
        .value_kind:     by_value
      - .actual_access:  read_only
        .address_space:  global
        .offset:         32
        .size:           8
        .value_kind:     global_buffer
      - .actual_access:  read_only
        .address_space:  global
        .offset:         40
        .size:           8
        .value_kind:     global_buffer
      - .actual_access:  read_only
        .address_space:  global
        .offset:         48
        .size:           8
        .value_kind:     global_buffer
      - .address_space:  global
        .offset:         56
        .size:           8
        .value_kind:     global_buffer
      - .offset:         64
        .size:           8
        .value_kind:     by_value
      - .address_space:  global
        .offset:         72
        .size:           8
        .value_kind:     global_buffer
      - .actual_access:  read_only
        .address_space:  global
        .offset:         80
        .size:           8
        .value_kind:     global_buffer
      - .address_space:  global
        .offset:         88
        .size:           8
        .value_kind:     global_buffer
      - .offset:         96
        .size:           4
        .value_kind:     by_value
      - .offset:         100
        .size:           4
        .value_kind:     by_value
      - .offset:         104
        .size:           4
        .value_kind:     by_value
      - .offset:         108
        .size:           1
        .value_kind:     by_value
    .group_segment_fixed_size: 14336
    .kernarg_segment_align: 8
    .kernarg_segment_size: 112
    .language:       OpenCL C
    .language_version:
      - 2
      - 0
    .max_flat_workgroup_size: 512
    .name:           _ZN9rocsparseL5csrsmILj512ELj64ELb0Eli21rocsparse_complex_numIdEEEv20rocsparse_operation_T3_S4_NS_24const_host_device_scalarIT4_EEPKT2_PKS4_PKS6_PS6_lPiSC_PS4_21rocsparse_index_base_20rocsparse_fill_mode_20rocsparse_diag_type_b
    .private_segment_fixed_size: 0
    .sgpr_count:     30
    .sgpr_spill_count: 0
    .symbol:         _ZN9rocsparseL5csrsmILj512ELj64ELb0Eli21rocsparse_complex_numIdEEEv20rocsparse_operation_T3_S4_NS_24const_host_device_scalarIT4_EEPKT2_PKS4_PKS6_PS6_lPiSC_PS4_21rocsparse_index_base_20rocsparse_fill_mode_20rocsparse_diag_type_b.kd
    .uniform_work_group_size: 1
    .uses_dynamic_stack: false
    .vgpr_count:     32
    .vgpr_spill_count: 0
    .wavefront_size: 32
    .workgroup_processor_mode: 1
  - .args:
      - .offset:         0
        .size:           4
        .value_kind:     by_value
      - .offset:         4
        .size:           4
        .value_kind:     by_value
      - .offset:         8
        .size:           4
        .value_kind:     by_value
      - .offset:         16
        .size:           16
        .value_kind:     by_value
      - .actual_access:  read_only
        .address_space:  global
        .offset:         32
        .size:           8
        .value_kind:     global_buffer
      - .actual_access:  read_only
        .address_space:  global
        .offset:         40
        .size:           8
        .value_kind:     global_buffer
      - .actual_access:  read_only
        .address_space:  global
        .offset:         48
        .size:           8
        .value_kind:     global_buffer
      - .address_space:  global
        .offset:         56
        .size:           8
        .value_kind:     global_buffer
      - .offset:         64
        .size:           8
        .value_kind:     by_value
      - .address_space:  global
        .offset:         72
        .size:           8
        .value_kind:     global_buffer
      - .actual_access:  read_only
        .address_space:  global
        .offset:         80
        .size:           8
        .value_kind:     global_buffer
      - .address_space:  global
        .offset:         88
        .size:           8
        .value_kind:     global_buffer
      - .offset:         96
        .size:           4
        .value_kind:     by_value
      - .offset:         100
        .size:           4
        .value_kind:     by_value
      - .offset:         104
        .size:           4
        .value_kind:     by_value
      - .offset:         108
        .size:           1
        .value_kind:     by_value
    .group_segment_fixed_size: 28672
    .kernarg_segment_align: 8
    .kernarg_segment_size: 112
    .language:       OpenCL C
    .language_version:
      - 2
      - 0
    .max_flat_workgroup_size: 1024
    .name:           _ZN9rocsparseL5csrsmILj1024ELj64ELb1Eli21rocsparse_complex_numIdEEEv20rocsparse_operation_T3_S4_NS_24const_host_device_scalarIT4_EEPKT2_PKS4_PKS6_PS6_lPiSC_PS4_21rocsparse_index_base_20rocsparse_fill_mode_20rocsparse_diag_type_b
    .private_segment_fixed_size: 0
    .sgpr_count:     30
    .sgpr_spill_count: 0
    .symbol:         _ZN9rocsparseL5csrsmILj1024ELj64ELb1Eli21rocsparse_complex_numIdEEEv20rocsparse_operation_T3_S4_NS_24const_host_device_scalarIT4_EEPKT2_PKS4_PKS6_PS6_lPiSC_PS4_21rocsparse_index_base_20rocsparse_fill_mode_20rocsparse_diag_type_b.kd
    .uniform_work_group_size: 1
    .uses_dynamic_stack: false
    .vgpr_count:     34
    .vgpr_spill_count: 0
    .wavefront_size: 32
    .workgroup_processor_mode: 1
  - .args:
      - .offset:         0
        .size:           4
        .value_kind:     by_value
      - .offset:         4
        .size:           4
        .value_kind:     by_value
      - .offset:         8
        .size:           4
        .value_kind:     by_value
      - .offset:         16
        .size:           16
        .value_kind:     by_value
      - .actual_access:  read_only
        .address_space:  global
        .offset:         32
        .size:           8
        .value_kind:     global_buffer
      - .actual_access:  read_only
        .address_space:  global
        .offset:         40
        .size:           8
        .value_kind:     global_buffer
      - .actual_access:  read_only
        .address_space:  global
        .offset:         48
        .size:           8
        .value_kind:     global_buffer
      - .address_space:  global
        .offset:         56
        .size:           8
        .value_kind:     global_buffer
      - .offset:         64
        .size:           8
        .value_kind:     by_value
      - .address_space:  global
        .offset:         72
        .size:           8
        .value_kind:     global_buffer
      - .actual_access:  read_only
        .address_space:  global
        .offset:         80
        .size:           8
        .value_kind:     global_buffer
      - .address_space:  global
        .offset:         88
        .size:           8
        .value_kind:     global_buffer
      - .offset:         96
        .size:           4
        .value_kind:     by_value
      - .offset:         100
        .size:           4
        .value_kind:     by_value
      - .offset:         104
        .size:           4
        .value_kind:     by_value
      - .offset:         108
        .size:           1
        .value_kind:     by_value
    .group_segment_fixed_size: 28672
    .kernarg_segment_align: 8
    .kernarg_segment_size: 112
    .language:       OpenCL C
    .language_version:
      - 2
      - 0
    .max_flat_workgroup_size: 1024
    .name:           _ZN9rocsparseL5csrsmILj1024ELj64ELb0Eli21rocsparse_complex_numIdEEEv20rocsparse_operation_T3_S4_NS_24const_host_device_scalarIT4_EEPKT2_PKS4_PKS6_PS6_lPiSC_PS4_21rocsparse_index_base_20rocsparse_fill_mode_20rocsparse_diag_type_b
    .private_segment_fixed_size: 0
    .sgpr_count:     30
    .sgpr_spill_count: 0
    .symbol:         _ZN9rocsparseL5csrsmILj1024ELj64ELb0Eli21rocsparse_complex_numIdEEEv20rocsparse_operation_T3_S4_NS_24const_host_device_scalarIT4_EEPKT2_PKS4_PKS6_PS6_lPiSC_PS4_21rocsparse_index_base_20rocsparse_fill_mode_20rocsparse_diag_type_b.kd
    .uniform_work_group_size: 1
    .uses_dynamic_stack: false
    .vgpr_count:     34
    .vgpr_spill_count: 0
    .wavefront_size: 32
    .workgroup_processor_mode: 1
  - .args:
      - .offset:         0
        .size:           4
        .value_kind:     by_value
      - .offset:         8
        .size:           8
        .value_kind:     by_value
      - .offset:         16
        .size:           8
        .value_kind:     by_value
      - .offset:         24
        .size:           8
        .value_kind:     by_value
      - .actual_access:  read_only
        .address_space:  global
        .offset:         32
        .size:           8
        .value_kind:     global_buffer
      - .actual_access:  read_only
        .address_space:  global
        .offset:         40
        .size:           8
        .value_kind:     global_buffer
      - .actual_access:  read_only
        .address_space:  global
        .offset:         48
        .size:           8
        .value_kind:     global_buffer
      - .address_space:  global
        .offset:         56
        .size:           8
        .value_kind:     global_buffer
      - .offset:         64
        .size:           8
        .value_kind:     by_value
      - .address_space:  global
        .offset:         72
        .size:           8
        .value_kind:     global_buffer
      - .actual_access:  read_only
        .address_space:  global
        .offset:         80
        .size:           8
        .value_kind:     global_buffer
      - .address_space:  global
        .offset:         88
        .size:           8
        .value_kind:     global_buffer
      - .offset:         96
        .size:           4
        .value_kind:     by_value
      - .offset:         100
        .size:           4
        .value_kind:     by_value
      - .offset:         104
        .size:           4
        .value_kind:     by_value
      - .offset:         108
        .size:           1
        .value_kind:     by_value
    .group_segment_fixed_size: 768
    .kernarg_segment_align: 8
    .kernarg_segment_size: 112
    .language:       OpenCL C
    .language_version:
      - 2
      - 0
    .max_flat_workgroup_size: 64
    .name:           _ZN9rocsparseL5csrsmILj64ELj64ELb1EllfEEv20rocsparse_operation_T3_S2_NS_24const_host_device_scalarIT4_EEPKT2_PKS2_PKS4_PS4_lPiSA_PS2_21rocsparse_index_base_20rocsparse_fill_mode_20rocsparse_diag_type_b
    .private_segment_fixed_size: 0
    .sgpr_count:     39
    .sgpr_spill_count: 0
    .symbol:         _ZN9rocsparseL5csrsmILj64ELj64ELb1EllfEEv20rocsparse_operation_T3_S2_NS_24const_host_device_scalarIT4_EEPKT2_PKS2_PKS4_PS4_lPiSA_PS2_21rocsparse_index_base_20rocsparse_fill_mode_20rocsparse_diag_type_b.kd
    .uniform_work_group_size: 1
    .uses_dynamic_stack: false
    .vgpr_count:     19
    .vgpr_spill_count: 0
    .wavefront_size: 32
    .workgroup_processor_mode: 1
  - .args:
      - .offset:         0
        .size:           4
        .value_kind:     by_value
      - .offset:         8
        .size:           8
        .value_kind:     by_value
      - .offset:         16
        .size:           8
        .value_kind:     by_value
      - .offset:         24
        .size:           8
        .value_kind:     by_value
      - .actual_access:  read_only
        .address_space:  global
        .offset:         32
        .size:           8
        .value_kind:     global_buffer
      - .actual_access:  read_only
        .address_space:  global
        .offset:         40
        .size:           8
        .value_kind:     global_buffer
      - .actual_access:  read_only
        .address_space:  global
        .offset:         48
        .size:           8
        .value_kind:     global_buffer
      - .address_space:  global
        .offset:         56
        .size:           8
        .value_kind:     global_buffer
      - .offset:         64
        .size:           8
        .value_kind:     by_value
      - .address_space:  global
        .offset:         72
        .size:           8
        .value_kind:     global_buffer
      - .actual_access:  read_only
        .address_space:  global
        .offset:         80
        .size:           8
        .value_kind:     global_buffer
      - .address_space:  global
        .offset:         88
        .size:           8
        .value_kind:     global_buffer
      - .offset:         96
        .size:           4
        .value_kind:     by_value
      - .offset:         100
        .size:           4
        .value_kind:     by_value
      - .offset:         104
        .size:           4
        .value_kind:     by_value
      - .offset:         108
        .size:           1
        .value_kind:     by_value
    .group_segment_fixed_size: 768
    .kernarg_segment_align: 8
    .kernarg_segment_size: 112
    .language:       OpenCL C
    .language_version:
      - 2
      - 0
    .max_flat_workgroup_size: 64
    .name:           _ZN9rocsparseL5csrsmILj64ELj64ELb0EllfEEv20rocsparse_operation_T3_S2_NS_24const_host_device_scalarIT4_EEPKT2_PKS2_PKS4_PS4_lPiSA_PS2_21rocsparse_index_base_20rocsparse_fill_mode_20rocsparse_diag_type_b
    .private_segment_fixed_size: 0
    .sgpr_count:     37
    .sgpr_spill_count: 0
    .symbol:         _ZN9rocsparseL5csrsmILj64ELj64ELb0EllfEEv20rocsparse_operation_T3_S2_NS_24const_host_device_scalarIT4_EEPKT2_PKS2_PKS4_PS4_lPiSA_PS2_21rocsparse_index_base_20rocsparse_fill_mode_20rocsparse_diag_type_b.kd
    .uniform_work_group_size: 1
    .uses_dynamic_stack: false
    .vgpr_count:     19
    .vgpr_spill_count: 0
    .wavefront_size: 32
    .workgroup_processor_mode: 1
  - .args:
      - .offset:         0
        .size:           4
        .value_kind:     by_value
      - .offset:         8
        .size:           8
        .value_kind:     by_value
      - .offset:         16
        .size:           8
        .value_kind:     by_value
      - .offset:         24
        .size:           8
        .value_kind:     by_value
      - .actual_access:  read_only
        .address_space:  global
        .offset:         32
        .size:           8
        .value_kind:     global_buffer
      - .actual_access:  read_only
        .address_space:  global
        .offset:         40
        .size:           8
        .value_kind:     global_buffer
      - .actual_access:  read_only
        .address_space:  global
        .offset:         48
        .size:           8
        .value_kind:     global_buffer
      - .address_space:  global
        .offset:         56
        .size:           8
        .value_kind:     global_buffer
      - .offset:         64
        .size:           8
        .value_kind:     by_value
      - .address_space:  global
        .offset:         72
        .size:           8
        .value_kind:     global_buffer
      - .actual_access:  read_only
        .address_space:  global
        .offset:         80
        .size:           8
        .value_kind:     global_buffer
      - .address_space:  global
        .offset:         88
        .size:           8
        .value_kind:     global_buffer
      - .offset:         96
        .size:           4
        .value_kind:     by_value
      - .offset:         100
        .size:           4
        .value_kind:     by_value
      - .offset:         104
        .size:           4
        .value_kind:     by_value
      - .offset:         108
        .size:           1
        .value_kind:     by_value
    .group_segment_fixed_size: 1536
    .kernarg_segment_align: 8
    .kernarg_segment_size: 112
    .language:       OpenCL C
    .language_version:
      - 2
      - 0
    .max_flat_workgroup_size: 128
    .name:           _ZN9rocsparseL5csrsmILj128ELj64ELb1EllfEEv20rocsparse_operation_T3_S2_NS_24const_host_device_scalarIT4_EEPKT2_PKS2_PKS4_PS4_lPiSA_PS2_21rocsparse_index_base_20rocsparse_fill_mode_20rocsparse_diag_type_b
    .private_segment_fixed_size: 0
    .sgpr_count:     39
    .sgpr_spill_count: 0
    .symbol:         _ZN9rocsparseL5csrsmILj128ELj64ELb1EllfEEv20rocsparse_operation_T3_S2_NS_24const_host_device_scalarIT4_EEPKT2_PKS2_PKS4_PS4_lPiSA_PS2_21rocsparse_index_base_20rocsparse_fill_mode_20rocsparse_diag_type_b.kd
    .uniform_work_group_size: 1
    .uses_dynamic_stack: false
    .vgpr_count:     19
    .vgpr_spill_count: 0
    .wavefront_size: 32
    .workgroup_processor_mode: 1
  - .args:
      - .offset:         0
        .size:           4
        .value_kind:     by_value
      - .offset:         8
        .size:           8
        .value_kind:     by_value
      - .offset:         16
        .size:           8
        .value_kind:     by_value
      - .offset:         24
        .size:           8
        .value_kind:     by_value
      - .actual_access:  read_only
        .address_space:  global
        .offset:         32
        .size:           8
        .value_kind:     global_buffer
      - .actual_access:  read_only
        .address_space:  global
        .offset:         40
        .size:           8
        .value_kind:     global_buffer
      - .actual_access:  read_only
        .address_space:  global
        .offset:         48
        .size:           8
        .value_kind:     global_buffer
      - .address_space:  global
        .offset:         56
        .size:           8
        .value_kind:     global_buffer
      - .offset:         64
        .size:           8
        .value_kind:     by_value
      - .address_space:  global
        .offset:         72
        .size:           8
        .value_kind:     global_buffer
      - .actual_access:  read_only
        .address_space:  global
        .offset:         80
        .size:           8
        .value_kind:     global_buffer
      - .address_space:  global
        .offset:         88
        .size:           8
        .value_kind:     global_buffer
      - .offset:         96
        .size:           4
        .value_kind:     by_value
      - .offset:         100
        .size:           4
        .value_kind:     by_value
      - .offset:         104
        .size:           4
        .value_kind:     by_value
      - .offset:         108
        .size:           1
        .value_kind:     by_value
    .group_segment_fixed_size: 1536
    .kernarg_segment_align: 8
    .kernarg_segment_size: 112
    .language:       OpenCL C
    .language_version:
      - 2
      - 0
    .max_flat_workgroup_size: 128
    .name:           _ZN9rocsparseL5csrsmILj128ELj64ELb0EllfEEv20rocsparse_operation_T3_S2_NS_24const_host_device_scalarIT4_EEPKT2_PKS2_PKS4_PS4_lPiSA_PS2_21rocsparse_index_base_20rocsparse_fill_mode_20rocsparse_diag_type_b
    .private_segment_fixed_size: 0
    .sgpr_count:     37
    .sgpr_spill_count: 0
    .symbol:         _ZN9rocsparseL5csrsmILj128ELj64ELb0EllfEEv20rocsparse_operation_T3_S2_NS_24const_host_device_scalarIT4_EEPKT2_PKS2_PKS4_PS4_lPiSA_PS2_21rocsparse_index_base_20rocsparse_fill_mode_20rocsparse_diag_type_b.kd
    .uniform_work_group_size: 1
    .uses_dynamic_stack: false
    .vgpr_count:     19
    .vgpr_spill_count: 0
    .wavefront_size: 32
    .workgroup_processor_mode: 1
  - .args:
      - .offset:         0
        .size:           4
        .value_kind:     by_value
      - .offset:         8
        .size:           8
        .value_kind:     by_value
      - .offset:         16
        .size:           8
        .value_kind:     by_value
      - .offset:         24
        .size:           8
        .value_kind:     by_value
      - .actual_access:  read_only
        .address_space:  global
        .offset:         32
        .size:           8
        .value_kind:     global_buffer
      - .actual_access:  read_only
        .address_space:  global
        .offset:         40
        .size:           8
        .value_kind:     global_buffer
      - .actual_access:  read_only
        .address_space:  global
        .offset:         48
        .size:           8
        .value_kind:     global_buffer
      - .address_space:  global
        .offset:         56
        .size:           8
        .value_kind:     global_buffer
      - .offset:         64
        .size:           8
        .value_kind:     by_value
      - .address_space:  global
        .offset:         72
        .size:           8
        .value_kind:     global_buffer
      - .actual_access:  read_only
        .address_space:  global
        .offset:         80
        .size:           8
        .value_kind:     global_buffer
      - .address_space:  global
        .offset:         88
        .size:           8
        .value_kind:     global_buffer
      - .offset:         96
        .size:           4
        .value_kind:     by_value
      - .offset:         100
        .size:           4
        .value_kind:     by_value
      - .offset:         104
        .size:           4
        .value_kind:     by_value
      - .offset:         108
        .size:           1
        .value_kind:     by_value
    .group_segment_fixed_size: 3072
    .kernarg_segment_align: 8
    .kernarg_segment_size: 112
    .language:       OpenCL C
    .language_version:
      - 2
      - 0
    .max_flat_workgroup_size: 256
    .name:           _ZN9rocsparseL5csrsmILj256ELj64ELb1EllfEEv20rocsparse_operation_T3_S2_NS_24const_host_device_scalarIT4_EEPKT2_PKS2_PKS4_PS4_lPiSA_PS2_21rocsparse_index_base_20rocsparse_fill_mode_20rocsparse_diag_type_b
    .private_segment_fixed_size: 0
    .sgpr_count:     39
    .sgpr_spill_count: 0
    .symbol:         _ZN9rocsparseL5csrsmILj256ELj64ELb1EllfEEv20rocsparse_operation_T3_S2_NS_24const_host_device_scalarIT4_EEPKT2_PKS2_PKS4_PS4_lPiSA_PS2_21rocsparse_index_base_20rocsparse_fill_mode_20rocsparse_diag_type_b.kd
    .uniform_work_group_size: 1
    .uses_dynamic_stack: false
    .vgpr_count:     19
    .vgpr_spill_count: 0
    .wavefront_size: 32
    .workgroup_processor_mode: 1
  - .args:
      - .offset:         0
        .size:           4
        .value_kind:     by_value
      - .offset:         8
        .size:           8
        .value_kind:     by_value
      - .offset:         16
        .size:           8
        .value_kind:     by_value
      - .offset:         24
        .size:           8
        .value_kind:     by_value
      - .actual_access:  read_only
        .address_space:  global
        .offset:         32
        .size:           8
        .value_kind:     global_buffer
      - .actual_access:  read_only
        .address_space:  global
        .offset:         40
        .size:           8
        .value_kind:     global_buffer
      - .actual_access:  read_only
        .address_space:  global
        .offset:         48
        .size:           8
        .value_kind:     global_buffer
      - .address_space:  global
        .offset:         56
        .size:           8
        .value_kind:     global_buffer
      - .offset:         64
        .size:           8
        .value_kind:     by_value
      - .address_space:  global
        .offset:         72
        .size:           8
        .value_kind:     global_buffer
      - .actual_access:  read_only
        .address_space:  global
        .offset:         80
        .size:           8
        .value_kind:     global_buffer
      - .address_space:  global
        .offset:         88
        .size:           8
        .value_kind:     global_buffer
      - .offset:         96
        .size:           4
        .value_kind:     by_value
      - .offset:         100
        .size:           4
        .value_kind:     by_value
      - .offset:         104
        .size:           4
        .value_kind:     by_value
      - .offset:         108
        .size:           1
        .value_kind:     by_value
    .group_segment_fixed_size: 3072
    .kernarg_segment_align: 8
    .kernarg_segment_size: 112
    .language:       OpenCL C
    .language_version:
      - 2
      - 0
    .max_flat_workgroup_size: 256
    .name:           _ZN9rocsparseL5csrsmILj256ELj64ELb0EllfEEv20rocsparse_operation_T3_S2_NS_24const_host_device_scalarIT4_EEPKT2_PKS2_PKS4_PS4_lPiSA_PS2_21rocsparse_index_base_20rocsparse_fill_mode_20rocsparse_diag_type_b
    .private_segment_fixed_size: 0
    .sgpr_count:     37
    .sgpr_spill_count: 0
    .symbol:         _ZN9rocsparseL5csrsmILj256ELj64ELb0EllfEEv20rocsparse_operation_T3_S2_NS_24const_host_device_scalarIT4_EEPKT2_PKS2_PKS4_PS4_lPiSA_PS2_21rocsparse_index_base_20rocsparse_fill_mode_20rocsparse_diag_type_b.kd
    .uniform_work_group_size: 1
    .uses_dynamic_stack: false
    .vgpr_count:     19
    .vgpr_spill_count: 0
    .wavefront_size: 32
    .workgroup_processor_mode: 1
  - .args:
      - .offset:         0
        .size:           4
        .value_kind:     by_value
      - .offset:         8
        .size:           8
        .value_kind:     by_value
      - .offset:         16
        .size:           8
        .value_kind:     by_value
      - .offset:         24
        .size:           8
        .value_kind:     by_value
      - .actual_access:  read_only
        .address_space:  global
        .offset:         32
        .size:           8
        .value_kind:     global_buffer
      - .actual_access:  read_only
        .address_space:  global
        .offset:         40
        .size:           8
        .value_kind:     global_buffer
      - .actual_access:  read_only
        .address_space:  global
        .offset:         48
        .size:           8
        .value_kind:     global_buffer
      - .address_space:  global
        .offset:         56
        .size:           8
        .value_kind:     global_buffer
      - .offset:         64
        .size:           8
        .value_kind:     by_value
      - .address_space:  global
        .offset:         72
        .size:           8
        .value_kind:     global_buffer
      - .actual_access:  read_only
        .address_space:  global
        .offset:         80
        .size:           8
        .value_kind:     global_buffer
      - .address_space:  global
        .offset:         88
        .size:           8
        .value_kind:     global_buffer
      - .offset:         96
        .size:           4
        .value_kind:     by_value
      - .offset:         100
        .size:           4
        .value_kind:     by_value
      - .offset:         104
        .size:           4
        .value_kind:     by_value
      - .offset:         108
        .size:           1
        .value_kind:     by_value
    .group_segment_fixed_size: 6144
    .kernarg_segment_align: 8
    .kernarg_segment_size: 112
    .language:       OpenCL C
    .language_version:
      - 2
      - 0
    .max_flat_workgroup_size: 512
    .name:           _ZN9rocsparseL5csrsmILj512ELj64ELb1EllfEEv20rocsparse_operation_T3_S2_NS_24const_host_device_scalarIT4_EEPKT2_PKS2_PKS4_PS4_lPiSA_PS2_21rocsparse_index_base_20rocsparse_fill_mode_20rocsparse_diag_type_b
    .private_segment_fixed_size: 0
    .sgpr_count:     39
    .sgpr_spill_count: 0
    .symbol:         _ZN9rocsparseL5csrsmILj512ELj64ELb1EllfEEv20rocsparse_operation_T3_S2_NS_24const_host_device_scalarIT4_EEPKT2_PKS2_PKS4_PS4_lPiSA_PS2_21rocsparse_index_base_20rocsparse_fill_mode_20rocsparse_diag_type_b.kd
    .uniform_work_group_size: 1
    .uses_dynamic_stack: false
    .vgpr_count:     19
    .vgpr_spill_count: 0
    .wavefront_size: 32
    .workgroup_processor_mode: 1
  - .args:
      - .offset:         0
        .size:           4
        .value_kind:     by_value
      - .offset:         8
        .size:           8
        .value_kind:     by_value
      - .offset:         16
        .size:           8
        .value_kind:     by_value
      - .offset:         24
        .size:           8
        .value_kind:     by_value
      - .actual_access:  read_only
        .address_space:  global
        .offset:         32
        .size:           8
        .value_kind:     global_buffer
      - .actual_access:  read_only
        .address_space:  global
        .offset:         40
        .size:           8
        .value_kind:     global_buffer
      - .actual_access:  read_only
        .address_space:  global
        .offset:         48
        .size:           8
        .value_kind:     global_buffer
      - .address_space:  global
        .offset:         56
        .size:           8
        .value_kind:     global_buffer
      - .offset:         64
        .size:           8
        .value_kind:     by_value
      - .address_space:  global
        .offset:         72
        .size:           8
        .value_kind:     global_buffer
      - .actual_access:  read_only
        .address_space:  global
        .offset:         80
        .size:           8
        .value_kind:     global_buffer
      - .address_space:  global
        .offset:         88
        .size:           8
        .value_kind:     global_buffer
      - .offset:         96
        .size:           4
        .value_kind:     by_value
      - .offset:         100
        .size:           4
        .value_kind:     by_value
      - .offset:         104
        .size:           4
        .value_kind:     by_value
      - .offset:         108
        .size:           1
        .value_kind:     by_value
    .group_segment_fixed_size: 6144
    .kernarg_segment_align: 8
    .kernarg_segment_size: 112
    .language:       OpenCL C
    .language_version:
      - 2
      - 0
    .max_flat_workgroup_size: 512
    .name:           _ZN9rocsparseL5csrsmILj512ELj64ELb0EllfEEv20rocsparse_operation_T3_S2_NS_24const_host_device_scalarIT4_EEPKT2_PKS2_PKS4_PS4_lPiSA_PS2_21rocsparse_index_base_20rocsparse_fill_mode_20rocsparse_diag_type_b
    .private_segment_fixed_size: 0
    .sgpr_count:     37
    .sgpr_spill_count: 0
    .symbol:         _ZN9rocsparseL5csrsmILj512ELj64ELb0EllfEEv20rocsparse_operation_T3_S2_NS_24const_host_device_scalarIT4_EEPKT2_PKS2_PKS4_PS4_lPiSA_PS2_21rocsparse_index_base_20rocsparse_fill_mode_20rocsparse_diag_type_b.kd
    .uniform_work_group_size: 1
    .uses_dynamic_stack: false
    .vgpr_count:     19
    .vgpr_spill_count: 0
    .wavefront_size: 32
    .workgroup_processor_mode: 1
  - .args:
      - .offset:         0
        .size:           4
        .value_kind:     by_value
      - .offset:         8
        .size:           8
        .value_kind:     by_value
      - .offset:         16
        .size:           8
        .value_kind:     by_value
      - .offset:         24
        .size:           8
        .value_kind:     by_value
      - .actual_access:  read_only
        .address_space:  global
        .offset:         32
        .size:           8
        .value_kind:     global_buffer
      - .actual_access:  read_only
        .address_space:  global
        .offset:         40
        .size:           8
        .value_kind:     global_buffer
      - .actual_access:  read_only
        .address_space:  global
        .offset:         48
        .size:           8
        .value_kind:     global_buffer
      - .address_space:  global
        .offset:         56
        .size:           8
        .value_kind:     global_buffer
      - .offset:         64
        .size:           8
        .value_kind:     by_value
      - .address_space:  global
        .offset:         72
        .size:           8
        .value_kind:     global_buffer
      - .actual_access:  read_only
        .address_space:  global
        .offset:         80
        .size:           8
        .value_kind:     global_buffer
      - .address_space:  global
        .offset:         88
        .size:           8
        .value_kind:     global_buffer
      - .offset:         96
        .size:           4
        .value_kind:     by_value
      - .offset:         100
        .size:           4
        .value_kind:     by_value
      - .offset:         104
        .size:           4
        .value_kind:     by_value
      - .offset:         108
        .size:           1
        .value_kind:     by_value
    .group_segment_fixed_size: 12288
    .kernarg_segment_align: 8
    .kernarg_segment_size: 112
    .language:       OpenCL C
    .language_version:
      - 2
      - 0
    .max_flat_workgroup_size: 1024
    .name:           _ZN9rocsparseL5csrsmILj1024ELj64ELb1EllfEEv20rocsparse_operation_T3_S2_NS_24const_host_device_scalarIT4_EEPKT2_PKS2_PKS4_PS4_lPiSA_PS2_21rocsparse_index_base_20rocsparse_fill_mode_20rocsparse_diag_type_b
    .private_segment_fixed_size: 0
    .sgpr_count:     39
    .sgpr_spill_count: 0
    .symbol:         _ZN9rocsparseL5csrsmILj1024ELj64ELb1EllfEEv20rocsparse_operation_T3_S2_NS_24const_host_device_scalarIT4_EEPKT2_PKS2_PKS4_PS4_lPiSA_PS2_21rocsparse_index_base_20rocsparse_fill_mode_20rocsparse_diag_type_b.kd
    .uniform_work_group_size: 1
    .uses_dynamic_stack: false
    .vgpr_count:     19
    .vgpr_spill_count: 0
    .wavefront_size: 32
    .workgroup_processor_mode: 1
  - .args:
      - .offset:         0
        .size:           4
        .value_kind:     by_value
      - .offset:         8
        .size:           8
        .value_kind:     by_value
      - .offset:         16
        .size:           8
        .value_kind:     by_value
      - .offset:         24
        .size:           8
        .value_kind:     by_value
      - .actual_access:  read_only
        .address_space:  global
        .offset:         32
        .size:           8
        .value_kind:     global_buffer
      - .actual_access:  read_only
        .address_space:  global
        .offset:         40
        .size:           8
        .value_kind:     global_buffer
      - .actual_access:  read_only
        .address_space:  global
        .offset:         48
        .size:           8
        .value_kind:     global_buffer
      - .address_space:  global
        .offset:         56
        .size:           8
        .value_kind:     global_buffer
      - .offset:         64
        .size:           8
        .value_kind:     by_value
      - .address_space:  global
        .offset:         72
        .size:           8
        .value_kind:     global_buffer
      - .actual_access:  read_only
        .address_space:  global
        .offset:         80
        .size:           8
        .value_kind:     global_buffer
      - .address_space:  global
        .offset:         88
        .size:           8
        .value_kind:     global_buffer
      - .offset:         96
        .size:           4
        .value_kind:     by_value
      - .offset:         100
        .size:           4
        .value_kind:     by_value
      - .offset:         104
        .size:           4
        .value_kind:     by_value
      - .offset:         108
        .size:           1
        .value_kind:     by_value
    .group_segment_fixed_size: 12288
    .kernarg_segment_align: 8
    .kernarg_segment_size: 112
    .language:       OpenCL C
    .language_version:
      - 2
      - 0
    .max_flat_workgroup_size: 1024
    .name:           _ZN9rocsparseL5csrsmILj1024ELj64ELb0EllfEEv20rocsparse_operation_T3_S2_NS_24const_host_device_scalarIT4_EEPKT2_PKS2_PKS4_PS4_lPiSA_PS2_21rocsparse_index_base_20rocsparse_fill_mode_20rocsparse_diag_type_b
    .private_segment_fixed_size: 0
    .sgpr_count:     37
    .sgpr_spill_count: 0
    .symbol:         _ZN9rocsparseL5csrsmILj1024ELj64ELb0EllfEEv20rocsparse_operation_T3_S2_NS_24const_host_device_scalarIT4_EEPKT2_PKS2_PKS4_PS4_lPiSA_PS2_21rocsparse_index_base_20rocsparse_fill_mode_20rocsparse_diag_type_b.kd
    .uniform_work_group_size: 1
    .uses_dynamic_stack: false
    .vgpr_count:     19
    .vgpr_spill_count: 0
    .wavefront_size: 32
    .workgroup_processor_mode: 1
  - .args:
      - .offset:         0
        .size:           4
        .value_kind:     by_value
      - .offset:         8
        .size:           8
        .value_kind:     by_value
      - .offset:         16
        .size:           8
        .value_kind:     by_value
      - .offset:         24
        .size:           8
        .value_kind:     by_value
      - .actual_access:  read_only
        .address_space:  global
        .offset:         32
        .size:           8
        .value_kind:     global_buffer
      - .actual_access:  read_only
        .address_space:  global
        .offset:         40
        .size:           8
        .value_kind:     global_buffer
      - .actual_access:  read_only
        .address_space:  global
        .offset:         48
        .size:           8
        .value_kind:     global_buffer
      - .address_space:  global
        .offset:         56
        .size:           8
        .value_kind:     global_buffer
      - .offset:         64
        .size:           8
        .value_kind:     by_value
      - .address_space:  global
        .offset:         72
        .size:           8
        .value_kind:     global_buffer
      - .actual_access:  read_only
        .address_space:  global
        .offset:         80
        .size:           8
        .value_kind:     global_buffer
      - .address_space:  global
        .offset:         88
        .size:           8
        .value_kind:     global_buffer
      - .offset:         96
        .size:           4
        .value_kind:     by_value
      - .offset:         100
        .size:           4
        .value_kind:     by_value
      - .offset:         104
        .size:           4
        .value_kind:     by_value
      - .offset:         108
        .size:           1
        .value_kind:     by_value
    .group_segment_fixed_size: 1024
    .kernarg_segment_align: 8
    .kernarg_segment_size: 112
    .language:       OpenCL C
    .language_version:
      - 2
      - 0
    .max_flat_workgroup_size: 64
    .name:           _ZN9rocsparseL5csrsmILj64ELj64ELb1ElldEEv20rocsparse_operation_T3_S2_NS_24const_host_device_scalarIT4_EEPKT2_PKS2_PKS4_PS4_lPiSA_PS2_21rocsparse_index_base_20rocsparse_fill_mode_20rocsparse_diag_type_b
    .private_segment_fixed_size: 0
    .sgpr_count:     39
    .sgpr_spill_count: 0
    .symbol:         _ZN9rocsparseL5csrsmILj64ELj64ELb1ElldEEv20rocsparse_operation_T3_S2_NS_24const_host_device_scalarIT4_EEPKT2_PKS2_PKS4_PS4_lPiSA_PS2_21rocsparse_index_base_20rocsparse_fill_mode_20rocsparse_diag_type_b.kd
    .uniform_work_group_size: 1
    .uses_dynamic_stack: false
    .vgpr_count:     25
    .vgpr_spill_count: 0
    .wavefront_size: 32
    .workgroup_processor_mode: 1
  - .args:
      - .offset:         0
        .size:           4
        .value_kind:     by_value
      - .offset:         8
        .size:           8
        .value_kind:     by_value
      - .offset:         16
        .size:           8
        .value_kind:     by_value
      - .offset:         24
        .size:           8
        .value_kind:     by_value
      - .actual_access:  read_only
        .address_space:  global
        .offset:         32
        .size:           8
        .value_kind:     global_buffer
      - .actual_access:  read_only
        .address_space:  global
        .offset:         40
        .size:           8
        .value_kind:     global_buffer
      - .actual_access:  read_only
        .address_space:  global
        .offset:         48
        .size:           8
        .value_kind:     global_buffer
      - .address_space:  global
        .offset:         56
        .size:           8
        .value_kind:     global_buffer
      - .offset:         64
        .size:           8
        .value_kind:     by_value
      - .address_space:  global
        .offset:         72
        .size:           8
        .value_kind:     global_buffer
      - .actual_access:  read_only
        .address_space:  global
        .offset:         80
        .size:           8
        .value_kind:     global_buffer
      - .address_space:  global
        .offset:         88
        .size:           8
        .value_kind:     global_buffer
      - .offset:         96
        .size:           4
        .value_kind:     by_value
      - .offset:         100
        .size:           4
        .value_kind:     by_value
      - .offset:         104
        .size:           4
        .value_kind:     by_value
      - .offset:         108
        .size:           1
        .value_kind:     by_value
    .group_segment_fixed_size: 1024
    .kernarg_segment_align: 8
    .kernarg_segment_size: 112
    .language:       OpenCL C
    .language_version:
      - 2
      - 0
    .max_flat_workgroup_size: 64
    .name:           _ZN9rocsparseL5csrsmILj64ELj64ELb0ElldEEv20rocsparse_operation_T3_S2_NS_24const_host_device_scalarIT4_EEPKT2_PKS2_PKS4_PS4_lPiSA_PS2_21rocsparse_index_base_20rocsparse_fill_mode_20rocsparse_diag_type_b
    .private_segment_fixed_size: 0
    .sgpr_count:     37
    .sgpr_spill_count: 0
    .symbol:         _ZN9rocsparseL5csrsmILj64ELj64ELb0ElldEEv20rocsparse_operation_T3_S2_NS_24const_host_device_scalarIT4_EEPKT2_PKS2_PKS4_PS4_lPiSA_PS2_21rocsparse_index_base_20rocsparse_fill_mode_20rocsparse_diag_type_b.kd
    .uniform_work_group_size: 1
    .uses_dynamic_stack: false
    .vgpr_count:     25
    .vgpr_spill_count: 0
    .wavefront_size: 32
    .workgroup_processor_mode: 1
  - .args:
      - .offset:         0
        .size:           4
        .value_kind:     by_value
      - .offset:         8
        .size:           8
        .value_kind:     by_value
      - .offset:         16
        .size:           8
        .value_kind:     by_value
      - .offset:         24
        .size:           8
        .value_kind:     by_value
      - .actual_access:  read_only
        .address_space:  global
        .offset:         32
        .size:           8
        .value_kind:     global_buffer
      - .actual_access:  read_only
        .address_space:  global
        .offset:         40
        .size:           8
        .value_kind:     global_buffer
      - .actual_access:  read_only
        .address_space:  global
        .offset:         48
        .size:           8
        .value_kind:     global_buffer
      - .address_space:  global
        .offset:         56
        .size:           8
        .value_kind:     global_buffer
      - .offset:         64
        .size:           8
        .value_kind:     by_value
      - .address_space:  global
        .offset:         72
        .size:           8
        .value_kind:     global_buffer
      - .actual_access:  read_only
        .address_space:  global
        .offset:         80
        .size:           8
        .value_kind:     global_buffer
      - .address_space:  global
        .offset:         88
        .size:           8
        .value_kind:     global_buffer
      - .offset:         96
        .size:           4
        .value_kind:     by_value
      - .offset:         100
        .size:           4
        .value_kind:     by_value
      - .offset:         104
        .size:           4
        .value_kind:     by_value
      - .offset:         108
        .size:           1
        .value_kind:     by_value
    .group_segment_fixed_size: 2048
    .kernarg_segment_align: 8
    .kernarg_segment_size: 112
    .language:       OpenCL C
    .language_version:
      - 2
      - 0
    .max_flat_workgroup_size: 128
    .name:           _ZN9rocsparseL5csrsmILj128ELj64ELb1ElldEEv20rocsparse_operation_T3_S2_NS_24const_host_device_scalarIT4_EEPKT2_PKS2_PKS4_PS4_lPiSA_PS2_21rocsparse_index_base_20rocsparse_fill_mode_20rocsparse_diag_type_b
    .private_segment_fixed_size: 0
    .sgpr_count:     39
    .sgpr_spill_count: 0
    .symbol:         _ZN9rocsparseL5csrsmILj128ELj64ELb1ElldEEv20rocsparse_operation_T3_S2_NS_24const_host_device_scalarIT4_EEPKT2_PKS2_PKS4_PS4_lPiSA_PS2_21rocsparse_index_base_20rocsparse_fill_mode_20rocsparse_diag_type_b.kd
    .uniform_work_group_size: 1
    .uses_dynamic_stack: false
    .vgpr_count:     25
    .vgpr_spill_count: 0
    .wavefront_size: 32
    .workgroup_processor_mode: 1
  - .args:
      - .offset:         0
        .size:           4
        .value_kind:     by_value
      - .offset:         8
        .size:           8
        .value_kind:     by_value
      - .offset:         16
        .size:           8
        .value_kind:     by_value
      - .offset:         24
        .size:           8
        .value_kind:     by_value
      - .actual_access:  read_only
        .address_space:  global
        .offset:         32
        .size:           8
        .value_kind:     global_buffer
      - .actual_access:  read_only
        .address_space:  global
        .offset:         40
        .size:           8
        .value_kind:     global_buffer
      - .actual_access:  read_only
        .address_space:  global
        .offset:         48
        .size:           8
        .value_kind:     global_buffer
      - .address_space:  global
        .offset:         56
        .size:           8
        .value_kind:     global_buffer
      - .offset:         64
        .size:           8
        .value_kind:     by_value
      - .address_space:  global
        .offset:         72
        .size:           8
        .value_kind:     global_buffer
      - .actual_access:  read_only
        .address_space:  global
        .offset:         80
        .size:           8
        .value_kind:     global_buffer
      - .address_space:  global
        .offset:         88
        .size:           8
        .value_kind:     global_buffer
      - .offset:         96
        .size:           4
        .value_kind:     by_value
      - .offset:         100
        .size:           4
        .value_kind:     by_value
      - .offset:         104
        .size:           4
        .value_kind:     by_value
      - .offset:         108
        .size:           1
        .value_kind:     by_value
    .group_segment_fixed_size: 2048
    .kernarg_segment_align: 8
    .kernarg_segment_size: 112
    .language:       OpenCL C
    .language_version:
      - 2
      - 0
    .max_flat_workgroup_size: 128
    .name:           _ZN9rocsparseL5csrsmILj128ELj64ELb0ElldEEv20rocsparse_operation_T3_S2_NS_24const_host_device_scalarIT4_EEPKT2_PKS2_PKS4_PS4_lPiSA_PS2_21rocsparse_index_base_20rocsparse_fill_mode_20rocsparse_diag_type_b
    .private_segment_fixed_size: 0
    .sgpr_count:     37
    .sgpr_spill_count: 0
    .symbol:         _ZN9rocsparseL5csrsmILj128ELj64ELb0ElldEEv20rocsparse_operation_T3_S2_NS_24const_host_device_scalarIT4_EEPKT2_PKS2_PKS4_PS4_lPiSA_PS2_21rocsparse_index_base_20rocsparse_fill_mode_20rocsparse_diag_type_b.kd
    .uniform_work_group_size: 1
    .uses_dynamic_stack: false
    .vgpr_count:     25
    .vgpr_spill_count: 0
    .wavefront_size: 32
    .workgroup_processor_mode: 1
  - .args:
      - .offset:         0
        .size:           4
        .value_kind:     by_value
      - .offset:         8
        .size:           8
        .value_kind:     by_value
      - .offset:         16
        .size:           8
        .value_kind:     by_value
      - .offset:         24
        .size:           8
        .value_kind:     by_value
      - .actual_access:  read_only
        .address_space:  global
        .offset:         32
        .size:           8
        .value_kind:     global_buffer
      - .actual_access:  read_only
        .address_space:  global
        .offset:         40
        .size:           8
        .value_kind:     global_buffer
      - .actual_access:  read_only
        .address_space:  global
        .offset:         48
        .size:           8
        .value_kind:     global_buffer
      - .address_space:  global
        .offset:         56
        .size:           8
        .value_kind:     global_buffer
      - .offset:         64
        .size:           8
        .value_kind:     by_value
      - .address_space:  global
        .offset:         72
        .size:           8
        .value_kind:     global_buffer
      - .actual_access:  read_only
        .address_space:  global
        .offset:         80
        .size:           8
        .value_kind:     global_buffer
      - .address_space:  global
        .offset:         88
        .size:           8
        .value_kind:     global_buffer
      - .offset:         96
        .size:           4
        .value_kind:     by_value
      - .offset:         100
        .size:           4
        .value_kind:     by_value
      - .offset:         104
        .size:           4
        .value_kind:     by_value
      - .offset:         108
        .size:           1
        .value_kind:     by_value
    .group_segment_fixed_size: 4096
    .kernarg_segment_align: 8
    .kernarg_segment_size: 112
    .language:       OpenCL C
    .language_version:
      - 2
      - 0
    .max_flat_workgroup_size: 256
    .name:           _ZN9rocsparseL5csrsmILj256ELj64ELb1ElldEEv20rocsparse_operation_T3_S2_NS_24const_host_device_scalarIT4_EEPKT2_PKS2_PKS4_PS4_lPiSA_PS2_21rocsparse_index_base_20rocsparse_fill_mode_20rocsparse_diag_type_b
    .private_segment_fixed_size: 0
    .sgpr_count:     39
    .sgpr_spill_count: 0
    .symbol:         _ZN9rocsparseL5csrsmILj256ELj64ELb1ElldEEv20rocsparse_operation_T3_S2_NS_24const_host_device_scalarIT4_EEPKT2_PKS2_PKS4_PS4_lPiSA_PS2_21rocsparse_index_base_20rocsparse_fill_mode_20rocsparse_diag_type_b.kd
    .uniform_work_group_size: 1
    .uses_dynamic_stack: false
    .vgpr_count:     25
    .vgpr_spill_count: 0
    .wavefront_size: 32
    .workgroup_processor_mode: 1
  - .args:
      - .offset:         0
        .size:           4
        .value_kind:     by_value
      - .offset:         8
        .size:           8
        .value_kind:     by_value
      - .offset:         16
        .size:           8
        .value_kind:     by_value
      - .offset:         24
        .size:           8
        .value_kind:     by_value
      - .actual_access:  read_only
        .address_space:  global
        .offset:         32
        .size:           8
        .value_kind:     global_buffer
      - .actual_access:  read_only
        .address_space:  global
        .offset:         40
        .size:           8
        .value_kind:     global_buffer
      - .actual_access:  read_only
        .address_space:  global
        .offset:         48
        .size:           8
        .value_kind:     global_buffer
      - .address_space:  global
        .offset:         56
        .size:           8
        .value_kind:     global_buffer
      - .offset:         64
        .size:           8
        .value_kind:     by_value
      - .address_space:  global
        .offset:         72
        .size:           8
        .value_kind:     global_buffer
      - .actual_access:  read_only
        .address_space:  global
        .offset:         80
        .size:           8
        .value_kind:     global_buffer
      - .address_space:  global
        .offset:         88
        .size:           8
        .value_kind:     global_buffer
      - .offset:         96
        .size:           4
        .value_kind:     by_value
      - .offset:         100
        .size:           4
        .value_kind:     by_value
      - .offset:         104
        .size:           4
        .value_kind:     by_value
      - .offset:         108
        .size:           1
        .value_kind:     by_value
    .group_segment_fixed_size: 4096
    .kernarg_segment_align: 8
    .kernarg_segment_size: 112
    .language:       OpenCL C
    .language_version:
      - 2
      - 0
    .max_flat_workgroup_size: 256
    .name:           _ZN9rocsparseL5csrsmILj256ELj64ELb0ElldEEv20rocsparse_operation_T3_S2_NS_24const_host_device_scalarIT4_EEPKT2_PKS2_PKS4_PS4_lPiSA_PS2_21rocsparse_index_base_20rocsparse_fill_mode_20rocsparse_diag_type_b
    .private_segment_fixed_size: 0
    .sgpr_count:     37
    .sgpr_spill_count: 0
    .symbol:         _ZN9rocsparseL5csrsmILj256ELj64ELb0ElldEEv20rocsparse_operation_T3_S2_NS_24const_host_device_scalarIT4_EEPKT2_PKS2_PKS4_PS4_lPiSA_PS2_21rocsparse_index_base_20rocsparse_fill_mode_20rocsparse_diag_type_b.kd
    .uniform_work_group_size: 1
    .uses_dynamic_stack: false
    .vgpr_count:     25
    .vgpr_spill_count: 0
    .wavefront_size: 32
    .workgroup_processor_mode: 1
  - .args:
      - .offset:         0
        .size:           4
        .value_kind:     by_value
      - .offset:         8
        .size:           8
        .value_kind:     by_value
      - .offset:         16
        .size:           8
        .value_kind:     by_value
      - .offset:         24
        .size:           8
        .value_kind:     by_value
      - .actual_access:  read_only
        .address_space:  global
        .offset:         32
        .size:           8
        .value_kind:     global_buffer
      - .actual_access:  read_only
        .address_space:  global
        .offset:         40
        .size:           8
        .value_kind:     global_buffer
      - .actual_access:  read_only
        .address_space:  global
        .offset:         48
        .size:           8
        .value_kind:     global_buffer
      - .address_space:  global
        .offset:         56
        .size:           8
        .value_kind:     global_buffer
      - .offset:         64
        .size:           8
        .value_kind:     by_value
      - .address_space:  global
        .offset:         72
        .size:           8
        .value_kind:     global_buffer
      - .actual_access:  read_only
        .address_space:  global
        .offset:         80
        .size:           8
        .value_kind:     global_buffer
      - .address_space:  global
        .offset:         88
        .size:           8
        .value_kind:     global_buffer
      - .offset:         96
        .size:           4
        .value_kind:     by_value
      - .offset:         100
        .size:           4
        .value_kind:     by_value
      - .offset:         104
        .size:           4
        .value_kind:     by_value
      - .offset:         108
        .size:           1
        .value_kind:     by_value
    .group_segment_fixed_size: 8192
    .kernarg_segment_align: 8
    .kernarg_segment_size: 112
    .language:       OpenCL C
    .language_version:
      - 2
      - 0
    .max_flat_workgroup_size: 512
    .name:           _ZN9rocsparseL5csrsmILj512ELj64ELb1ElldEEv20rocsparse_operation_T3_S2_NS_24const_host_device_scalarIT4_EEPKT2_PKS2_PKS4_PS4_lPiSA_PS2_21rocsparse_index_base_20rocsparse_fill_mode_20rocsparse_diag_type_b
    .private_segment_fixed_size: 0
    .sgpr_count:     39
    .sgpr_spill_count: 0
    .symbol:         _ZN9rocsparseL5csrsmILj512ELj64ELb1ElldEEv20rocsparse_operation_T3_S2_NS_24const_host_device_scalarIT4_EEPKT2_PKS2_PKS4_PS4_lPiSA_PS2_21rocsparse_index_base_20rocsparse_fill_mode_20rocsparse_diag_type_b.kd
    .uniform_work_group_size: 1
    .uses_dynamic_stack: false
    .vgpr_count:     25
    .vgpr_spill_count: 0
    .wavefront_size: 32
    .workgroup_processor_mode: 1
  - .args:
      - .offset:         0
        .size:           4
        .value_kind:     by_value
      - .offset:         8
        .size:           8
        .value_kind:     by_value
      - .offset:         16
        .size:           8
        .value_kind:     by_value
      - .offset:         24
        .size:           8
        .value_kind:     by_value
      - .actual_access:  read_only
        .address_space:  global
        .offset:         32
        .size:           8
        .value_kind:     global_buffer
      - .actual_access:  read_only
        .address_space:  global
        .offset:         40
        .size:           8
        .value_kind:     global_buffer
      - .actual_access:  read_only
        .address_space:  global
        .offset:         48
        .size:           8
        .value_kind:     global_buffer
      - .address_space:  global
        .offset:         56
        .size:           8
        .value_kind:     global_buffer
      - .offset:         64
        .size:           8
        .value_kind:     by_value
      - .address_space:  global
        .offset:         72
        .size:           8
        .value_kind:     global_buffer
      - .actual_access:  read_only
        .address_space:  global
        .offset:         80
        .size:           8
        .value_kind:     global_buffer
      - .address_space:  global
        .offset:         88
        .size:           8
        .value_kind:     global_buffer
      - .offset:         96
        .size:           4
        .value_kind:     by_value
      - .offset:         100
        .size:           4
        .value_kind:     by_value
      - .offset:         104
        .size:           4
        .value_kind:     by_value
      - .offset:         108
        .size:           1
        .value_kind:     by_value
    .group_segment_fixed_size: 8192
    .kernarg_segment_align: 8
    .kernarg_segment_size: 112
    .language:       OpenCL C
    .language_version:
      - 2
      - 0
    .max_flat_workgroup_size: 512
    .name:           _ZN9rocsparseL5csrsmILj512ELj64ELb0ElldEEv20rocsparse_operation_T3_S2_NS_24const_host_device_scalarIT4_EEPKT2_PKS2_PKS4_PS4_lPiSA_PS2_21rocsparse_index_base_20rocsparse_fill_mode_20rocsparse_diag_type_b
    .private_segment_fixed_size: 0
    .sgpr_count:     37
    .sgpr_spill_count: 0
    .symbol:         _ZN9rocsparseL5csrsmILj512ELj64ELb0ElldEEv20rocsparse_operation_T3_S2_NS_24const_host_device_scalarIT4_EEPKT2_PKS2_PKS4_PS4_lPiSA_PS2_21rocsparse_index_base_20rocsparse_fill_mode_20rocsparse_diag_type_b.kd
    .uniform_work_group_size: 1
    .uses_dynamic_stack: false
    .vgpr_count:     25
    .vgpr_spill_count: 0
    .wavefront_size: 32
    .workgroup_processor_mode: 1
  - .args:
      - .offset:         0
        .size:           4
        .value_kind:     by_value
      - .offset:         8
        .size:           8
        .value_kind:     by_value
      - .offset:         16
        .size:           8
        .value_kind:     by_value
      - .offset:         24
        .size:           8
        .value_kind:     by_value
      - .actual_access:  read_only
        .address_space:  global
        .offset:         32
        .size:           8
        .value_kind:     global_buffer
      - .actual_access:  read_only
        .address_space:  global
        .offset:         40
        .size:           8
        .value_kind:     global_buffer
      - .actual_access:  read_only
        .address_space:  global
        .offset:         48
        .size:           8
        .value_kind:     global_buffer
      - .address_space:  global
        .offset:         56
        .size:           8
        .value_kind:     global_buffer
      - .offset:         64
        .size:           8
        .value_kind:     by_value
      - .address_space:  global
        .offset:         72
        .size:           8
        .value_kind:     global_buffer
      - .actual_access:  read_only
        .address_space:  global
        .offset:         80
        .size:           8
        .value_kind:     global_buffer
      - .address_space:  global
        .offset:         88
        .size:           8
        .value_kind:     global_buffer
      - .offset:         96
        .size:           4
        .value_kind:     by_value
      - .offset:         100
        .size:           4
        .value_kind:     by_value
      - .offset:         104
        .size:           4
        .value_kind:     by_value
      - .offset:         108
        .size:           1
        .value_kind:     by_value
    .group_segment_fixed_size: 16384
    .kernarg_segment_align: 8
    .kernarg_segment_size: 112
    .language:       OpenCL C
    .language_version:
      - 2
      - 0
    .max_flat_workgroup_size: 1024
    .name:           _ZN9rocsparseL5csrsmILj1024ELj64ELb1ElldEEv20rocsparse_operation_T3_S2_NS_24const_host_device_scalarIT4_EEPKT2_PKS2_PKS4_PS4_lPiSA_PS2_21rocsparse_index_base_20rocsparse_fill_mode_20rocsparse_diag_type_b
    .private_segment_fixed_size: 0
    .sgpr_count:     39
    .sgpr_spill_count: 0
    .symbol:         _ZN9rocsparseL5csrsmILj1024ELj64ELb1ElldEEv20rocsparse_operation_T3_S2_NS_24const_host_device_scalarIT4_EEPKT2_PKS2_PKS4_PS4_lPiSA_PS2_21rocsparse_index_base_20rocsparse_fill_mode_20rocsparse_diag_type_b.kd
    .uniform_work_group_size: 1
    .uses_dynamic_stack: false
    .vgpr_count:     25
    .vgpr_spill_count: 0
    .wavefront_size: 32
    .workgroup_processor_mode: 1
  - .args:
      - .offset:         0
        .size:           4
        .value_kind:     by_value
      - .offset:         8
        .size:           8
        .value_kind:     by_value
      - .offset:         16
        .size:           8
        .value_kind:     by_value
      - .offset:         24
        .size:           8
        .value_kind:     by_value
      - .actual_access:  read_only
        .address_space:  global
        .offset:         32
        .size:           8
        .value_kind:     global_buffer
      - .actual_access:  read_only
        .address_space:  global
        .offset:         40
        .size:           8
        .value_kind:     global_buffer
      - .actual_access:  read_only
        .address_space:  global
        .offset:         48
        .size:           8
        .value_kind:     global_buffer
      - .address_space:  global
        .offset:         56
        .size:           8
        .value_kind:     global_buffer
      - .offset:         64
        .size:           8
        .value_kind:     by_value
      - .address_space:  global
        .offset:         72
        .size:           8
        .value_kind:     global_buffer
      - .actual_access:  read_only
        .address_space:  global
        .offset:         80
        .size:           8
        .value_kind:     global_buffer
      - .address_space:  global
        .offset:         88
        .size:           8
        .value_kind:     global_buffer
      - .offset:         96
        .size:           4
        .value_kind:     by_value
      - .offset:         100
        .size:           4
        .value_kind:     by_value
      - .offset:         104
        .size:           4
        .value_kind:     by_value
      - .offset:         108
        .size:           1
        .value_kind:     by_value
    .group_segment_fixed_size: 16384
    .kernarg_segment_align: 8
    .kernarg_segment_size: 112
    .language:       OpenCL C
    .language_version:
      - 2
      - 0
    .max_flat_workgroup_size: 1024
    .name:           _ZN9rocsparseL5csrsmILj1024ELj64ELb0ElldEEv20rocsparse_operation_T3_S2_NS_24const_host_device_scalarIT4_EEPKT2_PKS2_PKS4_PS4_lPiSA_PS2_21rocsparse_index_base_20rocsparse_fill_mode_20rocsparse_diag_type_b
    .private_segment_fixed_size: 0
    .sgpr_count:     37
    .sgpr_spill_count: 0
    .symbol:         _ZN9rocsparseL5csrsmILj1024ELj64ELb0ElldEEv20rocsparse_operation_T3_S2_NS_24const_host_device_scalarIT4_EEPKT2_PKS2_PKS4_PS4_lPiSA_PS2_21rocsparse_index_base_20rocsparse_fill_mode_20rocsparse_diag_type_b.kd
    .uniform_work_group_size: 1
    .uses_dynamic_stack: false
    .vgpr_count:     25
    .vgpr_spill_count: 0
    .wavefront_size: 32
    .workgroup_processor_mode: 1
  - .args:
      - .offset:         0
        .size:           4
        .value_kind:     by_value
      - .offset:         8
        .size:           8
        .value_kind:     by_value
      - .offset:         16
        .size:           8
        .value_kind:     by_value
      - .offset:         24
        .size:           8
        .value_kind:     by_value
      - .actual_access:  read_only
        .address_space:  global
        .offset:         32
        .size:           8
        .value_kind:     global_buffer
      - .actual_access:  read_only
        .address_space:  global
        .offset:         40
        .size:           8
        .value_kind:     global_buffer
      - .actual_access:  read_only
        .address_space:  global
        .offset:         48
        .size:           8
        .value_kind:     global_buffer
      - .address_space:  global
        .offset:         56
        .size:           8
        .value_kind:     global_buffer
      - .offset:         64
        .size:           8
        .value_kind:     by_value
      - .address_space:  global
        .offset:         72
        .size:           8
        .value_kind:     global_buffer
      - .actual_access:  read_only
        .address_space:  global
        .offset:         80
        .size:           8
        .value_kind:     global_buffer
      - .address_space:  global
        .offset:         88
        .size:           8
        .value_kind:     global_buffer
      - .offset:         96
        .size:           4
        .value_kind:     by_value
      - .offset:         100
        .size:           4
        .value_kind:     by_value
      - .offset:         104
        .size:           4
        .value_kind:     by_value
      - .offset:         108
        .size:           1
        .value_kind:     by_value
    .group_segment_fixed_size: 1024
    .kernarg_segment_align: 8
    .kernarg_segment_size: 112
    .language:       OpenCL C
    .language_version:
      - 2
      - 0
    .max_flat_workgroup_size: 64
    .name:           _ZN9rocsparseL5csrsmILj64ELj64ELb1Ell21rocsparse_complex_numIfEEEv20rocsparse_operation_T3_S4_NS_24const_host_device_scalarIT4_EEPKT2_PKS4_PKS6_PS6_lPiSC_PS4_21rocsparse_index_base_20rocsparse_fill_mode_20rocsparse_diag_type_b
    .private_segment_fixed_size: 0
    .sgpr_count:     34
    .sgpr_spill_count: 0
    .symbol:         _ZN9rocsparseL5csrsmILj64ELj64ELb1Ell21rocsparse_complex_numIfEEEv20rocsparse_operation_T3_S4_NS_24const_host_device_scalarIT4_EEPKT2_PKS4_PKS6_PS6_lPiSC_PS4_21rocsparse_index_base_20rocsparse_fill_mode_20rocsparse_diag_type_b.kd
    .uniform_work_group_size: 1
    .uses_dynamic_stack: false
    .vgpr_count:     25
    .vgpr_spill_count: 0
    .wavefront_size: 32
    .workgroup_processor_mode: 1
  - .args:
      - .offset:         0
        .size:           4
        .value_kind:     by_value
      - .offset:         8
        .size:           8
        .value_kind:     by_value
      - .offset:         16
        .size:           8
        .value_kind:     by_value
      - .offset:         24
        .size:           8
        .value_kind:     by_value
      - .actual_access:  read_only
        .address_space:  global
        .offset:         32
        .size:           8
        .value_kind:     global_buffer
      - .actual_access:  read_only
        .address_space:  global
        .offset:         40
        .size:           8
        .value_kind:     global_buffer
      - .actual_access:  read_only
        .address_space:  global
        .offset:         48
        .size:           8
        .value_kind:     global_buffer
      - .address_space:  global
        .offset:         56
        .size:           8
        .value_kind:     global_buffer
      - .offset:         64
        .size:           8
        .value_kind:     by_value
      - .address_space:  global
        .offset:         72
        .size:           8
        .value_kind:     global_buffer
      - .actual_access:  read_only
        .address_space:  global
        .offset:         80
        .size:           8
        .value_kind:     global_buffer
      - .address_space:  global
        .offset:         88
        .size:           8
        .value_kind:     global_buffer
      - .offset:         96
        .size:           4
        .value_kind:     by_value
      - .offset:         100
        .size:           4
        .value_kind:     by_value
      - .offset:         104
        .size:           4
        .value_kind:     by_value
      - .offset:         108
        .size:           1
        .value_kind:     by_value
    .group_segment_fixed_size: 1024
    .kernarg_segment_align: 8
    .kernarg_segment_size: 112
    .language:       OpenCL C
    .language_version:
      - 2
      - 0
    .max_flat_workgroup_size: 64
    .name:           _ZN9rocsparseL5csrsmILj64ELj64ELb0Ell21rocsparse_complex_numIfEEEv20rocsparse_operation_T3_S4_NS_24const_host_device_scalarIT4_EEPKT2_PKS4_PKS6_PS6_lPiSC_PS4_21rocsparse_index_base_20rocsparse_fill_mode_20rocsparse_diag_type_b
    .private_segment_fixed_size: 0
    .sgpr_count:     34
    .sgpr_spill_count: 0
    .symbol:         _ZN9rocsparseL5csrsmILj64ELj64ELb0Ell21rocsparse_complex_numIfEEEv20rocsparse_operation_T3_S4_NS_24const_host_device_scalarIT4_EEPKT2_PKS4_PKS6_PS6_lPiSC_PS4_21rocsparse_index_base_20rocsparse_fill_mode_20rocsparse_diag_type_b.kd
    .uniform_work_group_size: 1
    .uses_dynamic_stack: false
    .vgpr_count:     25
    .vgpr_spill_count: 0
    .wavefront_size: 32
    .workgroup_processor_mode: 1
  - .args:
      - .offset:         0
        .size:           4
        .value_kind:     by_value
      - .offset:         8
        .size:           8
        .value_kind:     by_value
      - .offset:         16
        .size:           8
        .value_kind:     by_value
      - .offset:         24
        .size:           8
        .value_kind:     by_value
      - .actual_access:  read_only
        .address_space:  global
        .offset:         32
        .size:           8
        .value_kind:     global_buffer
      - .actual_access:  read_only
        .address_space:  global
        .offset:         40
        .size:           8
        .value_kind:     global_buffer
      - .actual_access:  read_only
        .address_space:  global
        .offset:         48
        .size:           8
        .value_kind:     global_buffer
      - .address_space:  global
        .offset:         56
        .size:           8
        .value_kind:     global_buffer
      - .offset:         64
        .size:           8
        .value_kind:     by_value
      - .address_space:  global
        .offset:         72
        .size:           8
        .value_kind:     global_buffer
      - .actual_access:  read_only
        .address_space:  global
        .offset:         80
        .size:           8
        .value_kind:     global_buffer
      - .address_space:  global
        .offset:         88
        .size:           8
        .value_kind:     global_buffer
      - .offset:         96
        .size:           4
        .value_kind:     by_value
      - .offset:         100
        .size:           4
        .value_kind:     by_value
      - .offset:         104
        .size:           4
        .value_kind:     by_value
      - .offset:         108
        .size:           1
        .value_kind:     by_value
    .group_segment_fixed_size: 2048
    .kernarg_segment_align: 8
    .kernarg_segment_size: 112
    .language:       OpenCL C
    .language_version:
      - 2
      - 0
    .max_flat_workgroup_size: 128
    .name:           _ZN9rocsparseL5csrsmILj128ELj64ELb1Ell21rocsparse_complex_numIfEEEv20rocsparse_operation_T3_S4_NS_24const_host_device_scalarIT4_EEPKT2_PKS4_PKS6_PS6_lPiSC_PS4_21rocsparse_index_base_20rocsparse_fill_mode_20rocsparse_diag_type_b
    .private_segment_fixed_size: 0
    .sgpr_count:     34
    .sgpr_spill_count: 0
    .symbol:         _ZN9rocsparseL5csrsmILj128ELj64ELb1Ell21rocsparse_complex_numIfEEEv20rocsparse_operation_T3_S4_NS_24const_host_device_scalarIT4_EEPKT2_PKS4_PKS6_PS6_lPiSC_PS4_21rocsparse_index_base_20rocsparse_fill_mode_20rocsparse_diag_type_b.kd
    .uniform_work_group_size: 1
    .uses_dynamic_stack: false
    .vgpr_count:     25
    .vgpr_spill_count: 0
    .wavefront_size: 32
    .workgroup_processor_mode: 1
  - .args:
      - .offset:         0
        .size:           4
        .value_kind:     by_value
      - .offset:         8
        .size:           8
        .value_kind:     by_value
      - .offset:         16
        .size:           8
        .value_kind:     by_value
      - .offset:         24
        .size:           8
        .value_kind:     by_value
      - .actual_access:  read_only
        .address_space:  global
        .offset:         32
        .size:           8
        .value_kind:     global_buffer
      - .actual_access:  read_only
        .address_space:  global
        .offset:         40
        .size:           8
        .value_kind:     global_buffer
      - .actual_access:  read_only
        .address_space:  global
        .offset:         48
        .size:           8
        .value_kind:     global_buffer
      - .address_space:  global
        .offset:         56
        .size:           8
        .value_kind:     global_buffer
      - .offset:         64
        .size:           8
        .value_kind:     by_value
      - .address_space:  global
        .offset:         72
        .size:           8
        .value_kind:     global_buffer
      - .actual_access:  read_only
        .address_space:  global
        .offset:         80
        .size:           8
        .value_kind:     global_buffer
      - .address_space:  global
        .offset:         88
        .size:           8
        .value_kind:     global_buffer
      - .offset:         96
        .size:           4
        .value_kind:     by_value
      - .offset:         100
        .size:           4
        .value_kind:     by_value
      - .offset:         104
        .size:           4
        .value_kind:     by_value
      - .offset:         108
        .size:           1
        .value_kind:     by_value
    .group_segment_fixed_size: 2048
    .kernarg_segment_align: 8
    .kernarg_segment_size: 112
    .language:       OpenCL C
    .language_version:
      - 2
      - 0
    .max_flat_workgroup_size: 128
    .name:           _ZN9rocsparseL5csrsmILj128ELj64ELb0Ell21rocsparse_complex_numIfEEEv20rocsparse_operation_T3_S4_NS_24const_host_device_scalarIT4_EEPKT2_PKS4_PKS6_PS6_lPiSC_PS4_21rocsparse_index_base_20rocsparse_fill_mode_20rocsparse_diag_type_b
    .private_segment_fixed_size: 0
    .sgpr_count:     34
    .sgpr_spill_count: 0
    .symbol:         _ZN9rocsparseL5csrsmILj128ELj64ELb0Ell21rocsparse_complex_numIfEEEv20rocsparse_operation_T3_S4_NS_24const_host_device_scalarIT4_EEPKT2_PKS4_PKS6_PS6_lPiSC_PS4_21rocsparse_index_base_20rocsparse_fill_mode_20rocsparse_diag_type_b.kd
    .uniform_work_group_size: 1
    .uses_dynamic_stack: false
    .vgpr_count:     25
    .vgpr_spill_count: 0
    .wavefront_size: 32
    .workgroup_processor_mode: 1
  - .args:
      - .offset:         0
        .size:           4
        .value_kind:     by_value
      - .offset:         8
        .size:           8
        .value_kind:     by_value
      - .offset:         16
        .size:           8
        .value_kind:     by_value
      - .offset:         24
        .size:           8
        .value_kind:     by_value
      - .actual_access:  read_only
        .address_space:  global
        .offset:         32
        .size:           8
        .value_kind:     global_buffer
      - .actual_access:  read_only
        .address_space:  global
        .offset:         40
        .size:           8
        .value_kind:     global_buffer
      - .actual_access:  read_only
        .address_space:  global
        .offset:         48
        .size:           8
        .value_kind:     global_buffer
      - .address_space:  global
        .offset:         56
        .size:           8
        .value_kind:     global_buffer
      - .offset:         64
        .size:           8
        .value_kind:     by_value
      - .address_space:  global
        .offset:         72
        .size:           8
        .value_kind:     global_buffer
      - .actual_access:  read_only
        .address_space:  global
        .offset:         80
        .size:           8
        .value_kind:     global_buffer
      - .address_space:  global
        .offset:         88
        .size:           8
        .value_kind:     global_buffer
      - .offset:         96
        .size:           4
        .value_kind:     by_value
      - .offset:         100
        .size:           4
        .value_kind:     by_value
      - .offset:         104
        .size:           4
        .value_kind:     by_value
      - .offset:         108
        .size:           1
        .value_kind:     by_value
    .group_segment_fixed_size: 4096
    .kernarg_segment_align: 8
    .kernarg_segment_size: 112
    .language:       OpenCL C
    .language_version:
      - 2
      - 0
    .max_flat_workgroup_size: 256
    .name:           _ZN9rocsparseL5csrsmILj256ELj64ELb1Ell21rocsparse_complex_numIfEEEv20rocsparse_operation_T3_S4_NS_24const_host_device_scalarIT4_EEPKT2_PKS4_PKS6_PS6_lPiSC_PS4_21rocsparse_index_base_20rocsparse_fill_mode_20rocsparse_diag_type_b
    .private_segment_fixed_size: 0
    .sgpr_count:     34
    .sgpr_spill_count: 0
    .symbol:         _ZN9rocsparseL5csrsmILj256ELj64ELb1Ell21rocsparse_complex_numIfEEEv20rocsparse_operation_T3_S4_NS_24const_host_device_scalarIT4_EEPKT2_PKS4_PKS6_PS6_lPiSC_PS4_21rocsparse_index_base_20rocsparse_fill_mode_20rocsparse_diag_type_b.kd
    .uniform_work_group_size: 1
    .uses_dynamic_stack: false
    .vgpr_count:     25
    .vgpr_spill_count: 0
    .wavefront_size: 32
    .workgroup_processor_mode: 1
  - .args:
      - .offset:         0
        .size:           4
        .value_kind:     by_value
      - .offset:         8
        .size:           8
        .value_kind:     by_value
      - .offset:         16
        .size:           8
        .value_kind:     by_value
      - .offset:         24
        .size:           8
        .value_kind:     by_value
      - .actual_access:  read_only
        .address_space:  global
        .offset:         32
        .size:           8
        .value_kind:     global_buffer
      - .actual_access:  read_only
        .address_space:  global
        .offset:         40
        .size:           8
        .value_kind:     global_buffer
      - .actual_access:  read_only
        .address_space:  global
        .offset:         48
        .size:           8
        .value_kind:     global_buffer
      - .address_space:  global
        .offset:         56
        .size:           8
        .value_kind:     global_buffer
      - .offset:         64
        .size:           8
        .value_kind:     by_value
      - .address_space:  global
        .offset:         72
        .size:           8
        .value_kind:     global_buffer
      - .actual_access:  read_only
        .address_space:  global
        .offset:         80
        .size:           8
        .value_kind:     global_buffer
      - .address_space:  global
        .offset:         88
        .size:           8
        .value_kind:     global_buffer
      - .offset:         96
        .size:           4
        .value_kind:     by_value
      - .offset:         100
        .size:           4
        .value_kind:     by_value
      - .offset:         104
        .size:           4
        .value_kind:     by_value
      - .offset:         108
        .size:           1
        .value_kind:     by_value
    .group_segment_fixed_size: 4096
    .kernarg_segment_align: 8
    .kernarg_segment_size: 112
    .language:       OpenCL C
    .language_version:
      - 2
      - 0
    .max_flat_workgroup_size: 256
    .name:           _ZN9rocsparseL5csrsmILj256ELj64ELb0Ell21rocsparse_complex_numIfEEEv20rocsparse_operation_T3_S4_NS_24const_host_device_scalarIT4_EEPKT2_PKS4_PKS6_PS6_lPiSC_PS4_21rocsparse_index_base_20rocsparse_fill_mode_20rocsparse_diag_type_b
    .private_segment_fixed_size: 0
    .sgpr_count:     34
    .sgpr_spill_count: 0
    .symbol:         _ZN9rocsparseL5csrsmILj256ELj64ELb0Ell21rocsparse_complex_numIfEEEv20rocsparse_operation_T3_S4_NS_24const_host_device_scalarIT4_EEPKT2_PKS4_PKS6_PS6_lPiSC_PS4_21rocsparse_index_base_20rocsparse_fill_mode_20rocsparse_diag_type_b.kd
    .uniform_work_group_size: 1
    .uses_dynamic_stack: false
    .vgpr_count:     25
    .vgpr_spill_count: 0
    .wavefront_size: 32
    .workgroup_processor_mode: 1
  - .args:
      - .offset:         0
        .size:           4
        .value_kind:     by_value
      - .offset:         8
        .size:           8
        .value_kind:     by_value
      - .offset:         16
        .size:           8
        .value_kind:     by_value
      - .offset:         24
        .size:           8
        .value_kind:     by_value
      - .actual_access:  read_only
        .address_space:  global
        .offset:         32
        .size:           8
        .value_kind:     global_buffer
      - .actual_access:  read_only
        .address_space:  global
        .offset:         40
        .size:           8
        .value_kind:     global_buffer
      - .actual_access:  read_only
        .address_space:  global
        .offset:         48
        .size:           8
        .value_kind:     global_buffer
      - .address_space:  global
        .offset:         56
        .size:           8
        .value_kind:     global_buffer
      - .offset:         64
        .size:           8
        .value_kind:     by_value
      - .address_space:  global
        .offset:         72
        .size:           8
        .value_kind:     global_buffer
      - .actual_access:  read_only
        .address_space:  global
        .offset:         80
        .size:           8
        .value_kind:     global_buffer
      - .address_space:  global
        .offset:         88
        .size:           8
        .value_kind:     global_buffer
      - .offset:         96
        .size:           4
        .value_kind:     by_value
      - .offset:         100
        .size:           4
        .value_kind:     by_value
      - .offset:         104
        .size:           4
        .value_kind:     by_value
      - .offset:         108
        .size:           1
        .value_kind:     by_value
    .group_segment_fixed_size: 8192
    .kernarg_segment_align: 8
    .kernarg_segment_size: 112
    .language:       OpenCL C
    .language_version:
      - 2
      - 0
    .max_flat_workgroup_size: 512
    .name:           _ZN9rocsparseL5csrsmILj512ELj64ELb1Ell21rocsparse_complex_numIfEEEv20rocsparse_operation_T3_S4_NS_24const_host_device_scalarIT4_EEPKT2_PKS4_PKS6_PS6_lPiSC_PS4_21rocsparse_index_base_20rocsparse_fill_mode_20rocsparse_diag_type_b
    .private_segment_fixed_size: 0
    .sgpr_count:     34
    .sgpr_spill_count: 0
    .symbol:         _ZN9rocsparseL5csrsmILj512ELj64ELb1Ell21rocsparse_complex_numIfEEEv20rocsparse_operation_T3_S4_NS_24const_host_device_scalarIT4_EEPKT2_PKS4_PKS6_PS6_lPiSC_PS4_21rocsparse_index_base_20rocsparse_fill_mode_20rocsparse_diag_type_b.kd
    .uniform_work_group_size: 1
    .uses_dynamic_stack: false
    .vgpr_count:     25
    .vgpr_spill_count: 0
    .wavefront_size: 32
    .workgroup_processor_mode: 1
  - .args:
      - .offset:         0
        .size:           4
        .value_kind:     by_value
      - .offset:         8
        .size:           8
        .value_kind:     by_value
      - .offset:         16
        .size:           8
        .value_kind:     by_value
      - .offset:         24
        .size:           8
        .value_kind:     by_value
      - .actual_access:  read_only
        .address_space:  global
        .offset:         32
        .size:           8
        .value_kind:     global_buffer
      - .actual_access:  read_only
        .address_space:  global
        .offset:         40
        .size:           8
        .value_kind:     global_buffer
      - .actual_access:  read_only
        .address_space:  global
        .offset:         48
        .size:           8
        .value_kind:     global_buffer
      - .address_space:  global
        .offset:         56
        .size:           8
        .value_kind:     global_buffer
      - .offset:         64
        .size:           8
        .value_kind:     by_value
      - .address_space:  global
        .offset:         72
        .size:           8
        .value_kind:     global_buffer
      - .actual_access:  read_only
        .address_space:  global
        .offset:         80
        .size:           8
        .value_kind:     global_buffer
      - .address_space:  global
        .offset:         88
        .size:           8
        .value_kind:     global_buffer
      - .offset:         96
        .size:           4
        .value_kind:     by_value
      - .offset:         100
        .size:           4
        .value_kind:     by_value
      - .offset:         104
        .size:           4
        .value_kind:     by_value
      - .offset:         108
        .size:           1
        .value_kind:     by_value
    .group_segment_fixed_size: 8192
    .kernarg_segment_align: 8
    .kernarg_segment_size: 112
    .language:       OpenCL C
    .language_version:
      - 2
      - 0
    .max_flat_workgroup_size: 512
    .name:           _ZN9rocsparseL5csrsmILj512ELj64ELb0Ell21rocsparse_complex_numIfEEEv20rocsparse_operation_T3_S4_NS_24const_host_device_scalarIT4_EEPKT2_PKS4_PKS6_PS6_lPiSC_PS4_21rocsparse_index_base_20rocsparse_fill_mode_20rocsparse_diag_type_b
    .private_segment_fixed_size: 0
    .sgpr_count:     34
    .sgpr_spill_count: 0
    .symbol:         _ZN9rocsparseL5csrsmILj512ELj64ELb0Ell21rocsparse_complex_numIfEEEv20rocsparse_operation_T3_S4_NS_24const_host_device_scalarIT4_EEPKT2_PKS4_PKS6_PS6_lPiSC_PS4_21rocsparse_index_base_20rocsparse_fill_mode_20rocsparse_diag_type_b.kd
    .uniform_work_group_size: 1
    .uses_dynamic_stack: false
    .vgpr_count:     25
    .vgpr_spill_count: 0
    .wavefront_size: 32
    .workgroup_processor_mode: 1
  - .args:
      - .offset:         0
        .size:           4
        .value_kind:     by_value
      - .offset:         8
        .size:           8
        .value_kind:     by_value
      - .offset:         16
        .size:           8
        .value_kind:     by_value
      - .offset:         24
        .size:           8
        .value_kind:     by_value
      - .actual_access:  read_only
        .address_space:  global
        .offset:         32
        .size:           8
        .value_kind:     global_buffer
      - .actual_access:  read_only
        .address_space:  global
        .offset:         40
        .size:           8
        .value_kind:     global_buffer
      - .actual_access:  read_only
        .address_space:  global
        .offset:         48
        .size:           8
        .value_kind:     global_buffer
      - .address_space:  global
        .offset:         56
        .size:           8
        .value_kind:     global_buffer
      - .offset:         64
        .size:           8
        .value_kind:     by_value
      - .address_space:  global
        .offset:         72
        .size:           8
        .value_kind:     global_buffer
      - .actual_access:  read_only
        .address_space:  global
        .offset:         80
        .size:           8
        .value_kind:     global_buffer
      - .address_space:  global
        .offset:         88
        .size:           8
        .value_kind:     global_buffer
      - .offset:         96
        .size:           4
        .value_kind:     by_value
      - .offset:         100
        .size:           4
        .value_kind:     by_value
      - .offset:         104
        .size:           4
        .value_kind:     by_value
      - .offset:         108
        .size:           1
        .value_kind:     by_value
    .group_segment_fixed_size: 16384
    .kernarg_segment_align: 8
    .kernarg_segment_size: 112
    .language:       OpenCL C
    .language_version:
      - 2
      - 0
    .max_flat_workgroup_size: 1024
    .name:           _ZN9rocsparseL5csrsmILj1024ELj64ELb1Ell21rocsparse_complex_numIfEEEv20rocsparse_operation_T3_S4_NS_24const_host_device_scalarIT4_EEPKT2_PKS4_PKS6_PS6_lPiSC_PS4_21rocsparse_index_base_20rocsparse_fill_mode_20rocsparse_diag_type_b
    .private_segment_fixed_size: 0
    .sgpr_count:     34
    .sgpr_spill_count: 0
    .symbol:         _ZN9rocsparseL5csrsmILj1024ELj64ELb1Ell21rocsparse_complex_numIfEEEv20rocsparse_operation_T3_S4_NS_24const_host_device_scalarIT4_EEPKT2_PKS4_PKS6_PS6_lPiSC_PS4_21rocsparse_index_base_20rocsparse_fill_mode_20rocsparse_diag_type_b.kd
    .uniform_work_group_size: 1
    .uses_dynamic_stack: false
    .vgpr_count:     27
    .vgpr_spill_count: 0
    .wavefront_size: 32
    .workgroup_processor_mode: 1
  - .args:
      - .offset:         0
        .size:           4
        .value_kind:     by_value
      - .offset:         8
        .size:           8
        .value_kind:     by_value
      - .offset:         16
        .size:           8
        .value_kind:     by_value
      - .offset:         24
        .size:           8
        .value_kind:     by_value
      - .actual_access:  read_only
        .address_space:  global
        .offset:         32
        .size:           8
        .value_kind:     global_buffer
      - .actual_access:  read_only
        .address_space:  global
        .offset:         40
        .size:           8
        .value_kind:     global_buffer
      - .actual_access:  read_only
        .address_space:  global
        .offset:         48
        .size:           8
        .value_kind:     global_buffer
      - .address_space:  global
        .offset:         56
        .size:           8
        .value_kind:     global_buffer
      - .offset:         64
        .size:           8
        .value_kind:     by_value
      - .address_space:  global
        .offset:         72
        .size:           8
        .value_kind:     global_buffer
      - .actual_access:  read_only
        .address_space:  global
        .offset:         80
        .size:           8
        .value_kind:     global_buffer
      - .address_space:  global
        .offset:         88
        .size:           8
        .value_kind:     global_buffer
      - .offset:         96
        .size:           4
        .value_kind:     by_value
      - .offset:         100
        .size:           4
        .value_kind:     by_value
      - .offset:         104
        .size:           4
        .value_kind:     by_value
      - .offset:         108
        .size:           1
        .value_kind:     by_value
    .group_segment_fixed_size: 16384
    .kernarg_segment_align: 8
    .kernarg_segment_size: 112
    .language:       OpenCL C
    .language_version:
      - 2
      - 0
    .max_flat_workgroup_size: 1024
    .name:           _ZN9rocsparseL5csrsmILj1024ELj64ELb0Ell21rocsparse_complex_numIfEEEv20rocsparse_operation_T3_S4_NS_24const_host_device_scalarIT4_EEPKT2_PKS4_PKS6_PS6_lPiSC_PS4_21rocsparse_index_base_20rocsparse_fill_mode_20rocsparse_diag_type_b
    .private_segment_fixed_size: 0
    .sgpr_count:     34
    .sgpr_spill_count: 0
    .symbol:         _ZN9rocsparseL5csrsmILj1024ELj64ELb0Ell21rocsparse_complex_numIfEEEv20rocsparse_operation_T3_S4_NS_24const_host_device_scalarIT4_EEPKT2_PKS4_PKS6_PS6_lPiSC_PS4_21rocsparse_index_base_20rocsparse_fill_mode_20rocsparse_diag_type_b.kd
    .uniform_work_group_size: 1
    .uses_dynamic_stack: false
    .vgpr_count:     27
    .vgpr_spill_count: 0
    .wavefront_size: 32
    .workgroup_processor_mode: 1
  - .args:
      - .offset:         0
        .size:           4
        .value_kind:     by_value
      - .offset:         8
        .size:           8
        .value_kind:     by_value
      - .offset:         16
        .size:           8
        .value_kind:     by_value
      - .offset:         24
        .size:           16
        .value_kind:     by_value
      - .actual_access:  read_only
        .address_space:  global
        .offset:         40
        .size:           8
        .value_kind:     global_buffer
      - .actual_access:  read_only
        .address_space:  global
        .offset:         48
        .size:           8
        .value_kind:     global_buffer
      - .actual_access:  read_only
        .address_space:  global
        .offset:         56
        .size:           8
        .value_kind:     global_buffer
      - .address_space:  global
        .offset:         64
        .size:           8
        .value_kind:     global_buffer
      - .offset:         72
        .size:           8
        .value_kind:     by_value
      - .address_space:  global
        .offset:         80
        .size:           8
        .value_kind:     global_buffer
      - .actual_access:  read_only
        .address_space:  global
        .offset:         88
        .size:           8
        .value_kind:     global_buffer
      - .address_space:  global
        .offset:         96
        .size:           8
        .value_kind:     global_buffer
      - .offset:         104
        .size:           4
        .value_kind:     by_value
      - .offset:         108
        .size:           4
        .value_kind:     by_value
      - .offset:         112
        .size:           4
        .value_kind:     by_value
      - .offset:         116
        .size:           1
        .value_kind:     by_value
    .group_segment_fixed_size: 2048
    .kernarg_segment_align: 8
    .kernarg_segment_size: 120
    .language:       OpenCL C
    .language_version:
      - 2
      - 0
    .max_flat_workgroup_size: 64
    .name:           _ZN9rocsparseL5csrsmILj64ELj64ELb1Ell21rocsparse_complex_numIdEEEv20rocsparse_operation_T3_S4_NS_24const_host_device_scalarIT4_EEPKT2_PKS4_PKS6_PS6_lPiSC_PS4_21rocsparse_index_base_20rocsparse_fill_mode_20rocsparse_diag_type_b
    .private_segment_fixed_size: 0
    .sgpr_count:     34
    .sgpr_spill_count: 0
    .symbol:         _ZN9rocsparseL5csrsmILj64ELj64ELb1Ell21rocsparse_complex_numIdEEEv20rocsparse_operation_T3_S4_NS_24const_host_device_scalarIT4_EEPKT2_PKS4_PKS6_PS6_lPiSC_PS4_21rocsparse_index_base_20rocsparse_fill_mode_20rocsparse_diag_type_b.kd
    .uniform_work_group_size: 1
    .uses_dynamic_stack: false
    .vgpr_count:     34
    .vgpr_spill_count: 0
    .wavefront_size: 32
    .workgroup_processor_mode: 1
  - .args:
      - .offset:         0
        .size:           4
        .value_kind:     by_value
      - .offset:         8
        .size:           8
        .value_kind:     by_value
      - .offset:         16
        .size:           8
        .value_kind:     by_value
      - .offset:         24
        .size:           16
        .value_kind:     by_value
      - .actual_access:  read_only
        .address_space:  global
        .offset:         40
        .size:           8
        .value_kind:     global_buffer
      - .actual_access:  read_only
        .address_space:  global
        .offset:         48
        .size:           8
        .value_kind:     global_buffer
      - .actual_access:  read_only
        .address_space:  global
        .offset:         56
        .size:           8
        .value_kind:     global_buffer
      - .address_space:  global
        .offset:         64
        .size:           8
        .value_kind:     global_buffer
      - .offset:         72
        .size:           8
        .value_kind:     by_value
      - .address_space:  global
        .offset:         80
        .size:           8
        .value_kind:     global_buffer
      - .actual_access:  read_only
        .address_space:  global
        .offset:         88
        .size:           8
        .value_kind:     global_buffer
      - .address_space:  global
        .offset:         96
        .size:           8
        .value_kind:     global_buffer
      - .offset:         104
        .size:           4
        .value_kind:     by_value
      - .offset:         108
        .size:           4
        .value_kind:     by_value
      - .offset:         112
        .size:           4
        .value_kind:     by_value
      - .offset:         116
        .size:           1
        .value_kind:     by_value
    .group_segment_fixed_size: 2048
    .kernarg_segment_align: 8
    .kernarg_segment_size: 120
    .language:       OpenCL C
    .language_version:
      - 2
      - 0
    .max_flat_workgroup_size: 64
    .name:           _ZN9rocsparseL5csrsmILj64ELj64ELb0Ell21rocsparse_complex_numIdEEEv20rocsparse_operation_T3_S4_NS_24const_host_device_scalarIT4_EEPKT2_PKS4_PKS6_PS6_lPiSC_PS4_21rocsparse_index_base_20rocsparse_fill_mode_20rocsparse_diag_type_b
    .private_segment_fixed_size: 0
    .sgpr_count:     34
    .sgpr_spill_count: 0
    .symbol:         _ZN9rocsparseL5csrsmILj64ELj64ELb0Ell21rocsparse_complex_numIdEEEv20rocsparse_operation_T3_S4_NS_24const_host_device_scalarIT4_EEPKT2_PKS4_PKS6_PS6_lPiSC_PS4_21rocsparse_index_base_20rocsparse_fill_mode_20rocsparse_diag_type_b.kd
    .uniform_work_group_size: 1
    .uses_dynamic_stack: false
    .vgpr_count:     34
    .vgpr_spill_count: 0
    .wavefront_size: 32
    .workgroup_processor_mode: 1
  - .args:
      - .offset:         0
        .size:           4
        .value_kind:     by_value
      - .offset:         8
        .size:           8
        .value_kind:     by_value
      - .offset:         16
        .size:           8
        .value_kind:     by_value
      - .offset:         24
        .size:           16
        .value_kind:     by_value
      - .actual_access:  read_only
        .address_space:  global
        .offset:         40
        .size:           8
        .value_kind:     global_buffer
      - .actual_access:  read_only
        .address_space:  global
        .offset:         48
        .size:           8
        .value_kind:     global_buffer
      - .actual_access:  read_only
        .address_space:  global
        .offset:         56
        .size:           8
        .value_kind:     global_buffer
      - .address_space:  global
        .offset:         64
        .size:           8
        .value_kind:     global_buffer
      - .offset:         72
        .size:           8
        .value_kind:     by_value
      - .address_space:  global
        .offset:         80
        .size:           8
        .value_kind:     global_buffer
      - .actual_access:  read_only
        .address_space:  global
        .offset:         88
        .size:           8
        .value_kind:     global_buffer
      - .address_space:  global
        .offset:         96
        .size:           8
        .value_kind:     global_buffer
      - .offset:         104
        .size:           4
        .value_kind:     by_value
      - .offset:         108
        .size:           4
        .value_kind:     by_value
      - .offset:         112
        .size:           4
        .value_kind:     by_value
      - .offset:         116
        .size:           1
        .value_kind:     by_value
    .group_segment_fixed_size: 4096
    .kernarg_segment_align: 8
    .kernarg_segment_size: 120
    .language:       OpenCL C
    .language_version:
      - 2
      - 0
    .max_flat_workgroup_size: 128
    .name:           _ZN9rocsparseL5csrsmILj128ELj64ELb1Ell21rocsparse_complex_numIdEEEv20rocsparse_operation_T3_S4_NS_24const_host_device_scalarIT4_EEPKT2_PKS4_PKS6_PS6_lPiSC_PS4_21rocsparse_index_base_20rocsparse_fill_mode_20rocsparse_diag_type_b
    .private_segment_fixed_size: 0
    .sgpr_count:     34
    .sgpr_spill_count: 0
    .symbol:         _ZN9rocsparseL5csrsmILj128ELj64ELb1Ell21rocsparse_complex_numIdEEEv20rocsparse_operation_T3_S4_NS_24const_host_device_scalarIT4_EEPKT2_PKS4_PKS6_PS6_lPiSC_PS4_21rocsparse_index_base_20rocsparse_fill_mode_20rocsparse_diag_type_b.kd
    .uniform_work_group_size: 1
    .uses_dynamic_stack: false
    .vgpr_count:     34
    .vgpr_spill_count: 0
    .wavefront_size: 32
    .workgroup_processor_mode: 1
  - .args:
      - .offset:         0
        .size:           4
        .value_kind:     by_value
      - .offset:         8
        .size:           8
        .value_kind:     by_value
      - .offset:         16
        .size:           8
        .value_kind:     by_value
      - .offset:         24
        .size:           16
        .value_kind:     by_value
      - .actual_access:  read_only
        .address_space:  global
        .offset:         40
        .size:           8
        .value_kind:     global_buffer
      - .actual_access:  read_only
        .address_space:  global
        .offset:         48
        .size:           8
        .value_kind:     global_buffer
      - .actual_access:  read_only
        .address_space:  global
        .offset:         56
        .size:           8
        .value_kind:     global_buffer
      - .address_space:  global
        .offset:         64
        .size:           8
        .value_kind:     global_buffer
      - .offset:         72
        .size:           8
        .value_kind:     by_value
      - .address_space:  global
        .offset:         80
        .size:           8
        .value_kind:     global_buffer
      - .actual_access:  read_only
        .address_space:  global
        .offset:         88
        .size:           8
        .value_kind:     global_buffer
      - .address_space:  global
        .offset:         96
        .size:           8
        .value_kind:     global_buffer
      - .offset:         104
        .size:           4
        .value_kind:     by_value
      - .offset:         108
        .size:           4
        .value_kind:     by_value
      - .offset:         112
        .size:           4
        .value_kind:     by_value
      - .offset:         116
        .size:           1
        .value_kind:     by_value
    .group_segment_fixed_size: 4096
    .kernarg_segment_align: 8
    .kernarg_segment_size: 120
    .language:       OpenCL C
    .language_version:
      - 2
      - 0
    .max_flat_workgroup_size: 128
    .name:           _ZN9rocsparseL5csrsmILj128ELj64ELb0Ell21rocsparse_complex_numIdEEEv20rocsparse_operation_T3_S4_NS_24const_host_device_scalarIT4_EEPKT2_PKS4_PKS6_PS6_lPiSC_PS4_21rocsparse_index_base_20rocsparse_fill_mode_20rocsparse_diag_type_b
    .private_segment_fixed_size: 0
    .sgpr_count:     34
    .sgpr_spill_count: 0
    .symbol:         _ZN9rocsparseL5csrsmILj128ELj64ELb0Ell21rocsparse_complex_numIdEEEv20rocsparse_operation_T3_S4_NS_24const_host_device_scalarIT4_EEPKT2_PKS4_PKS6_PS6_lPiSC_PS4_21rocsparse_index_base_20rocsparse_fill_mode_20rocsparse_diag_type_b.kd
    .uniform_work_group_size: 1
    .uses_dynamic_stack: false
    .vgpr_count:     34
    .vgpr_spill_count: 0
    .wavefront_size: 32
    .workgroup_processor_mode: 1
  - .args:
      - .offset:         0
        .size:           4
        .value_kind:     by_value
      - .offset:         8
        .size:           8
        .value_kind:     by_value
      - .offset:         16
        .size:           8
        .value_kind:     by_value
      - .offset:         24
        .size:           16
        .value_kind:     by_value
      - .actual_access:  read_only
        .address_space:  global
        .offset:         40
        .size:           8
        .value_kind:     global_buffer
      - .actual_access:  read_only
        .address_space:  global
        .offset:         48
        .size:           8
        .value_kind:     global_buffer
      - .actual_access:  read_only
        .address_space:  global
        .offset:         56
        .size:           8
        .value_kind:     global_buffer
      - .address_space:  global
        .offset:         64
        .size:           8
        .value_kind:     global_buffer
      - .offset:         72
        .size:           8
        .value_kind:     by_value
      - .address_space:  global
        .offset:         80
        .size:           8
        .value_kind:     global_buffer
      - .actual_access:  read_only
        .address_space:  global
        .offset:         88
        .size:           8
        .value_kind:     global_buffer
      - .address_space:  global
        .offset:         96
        .size:           8
        .value_kind:     global_buffer
      - .offset:         104
        .size:           4
        .value_kind:     by_value
      - .offset:         108
        .size:           4
        .value_kind:     by_value
      - .offset:         112
        .size:           4
        .value_kind:     by_value
      - .offset:         116
        .size:           1
        .value_kind:     by_value
    .group_segment_fixed_size: 8192
    .kernarg_segment_align: 8
    .kernarg_segment_size: 120
    .language:       OpenCL C
    .language_version:
      - 2
      - 0
    .max_flat_workgroup_size: 256
    .name:           _ZN9rocsparseL5csrsmILj256ELj64ELb1Ell21rocsparse_complex_numIdEEEv20rocsparse_operation_T3_S4_NS_24const_host_device_scalarIT4_EEPKT2_PKS4_PKS6_PS6_lPiSC_PS4_21rocsparse_index_base_20rocsparse_fill_mode_20rocsparse_diag_type_b
    .private_segment_fixed_size: 0
    .sgpr_count:     34
    .sgpr_spill_count: 0
    .symbol:         _ZN9rocsparseL5csrsmILj256ELj64ELb1Ell21rocsparse_complex_numIdEEEv20rocsparse_operation_T3_S4_NS_24const_host_device_scalarIT4_EEPKT2_PKS4_PKS6_PS6_lPiSC_PS4_21rocsparse_index_base_20rocsparse_fill_mode_20rocsparse_diag_type_b.kd
    .uniform_work_group_size: 1
    .uses_dynamic_stack: false
    .vgpr_count:     34
    .vgpr_spill_count: 0
    .wavefront_size: 32
    .workgroup_processor_mode: 1
  - .args:
      - .offset:         0
        .size:           4
        .value_kind:     by_value
      - .offset:         8
        .size:           8
        .value_kind:     by_value
      - .offset:         16
        .size:           8
        .value_kind:     by_value
      - .offset:         24
        .size:           16
        .value_kind:     by_value
      - .actual_access:  read_only
        .address_space:  global
        .offset:         40
        .size:           8
        .value_kind:     global_buffer
      - .actual_access:  read_only
        .address_space:  global
        .offset:         48
        .size:           8
        .value_kind:     global_buffer
      - .actual_access:  read_only
        .address_space:  global
        .offset:         56
        .size:           8
        .value_kind:     global_buffer
      - .address_space:  global
        .offset:         64
        .size:           8
        .value_kind:     global_buffer
      - .offset:         72
        .size:           8
        .value_kind:     by_value
      - .address_space:  global
        .offset:         80
        .size:           8
        .value_kind:     global_buffer
      - .actual_access:  read_only
        .address_space:  global
        .offset:         88
        .size:           8
        .value_kind:     global_buffer
      - .address_space:  global
        .offset:         96
        .size:           8
        .value_kind:     global_buffer
      - .offset:         104
        .size:           4
        .value_kind:     by_value
      - .offset:         108
        .size:           4
        .value_kind:     by_value
      - .offset:         112
        .size:           4
        .value_kind:     by_value
      - .offset:         116
        .size:           1
        .value_kind:     by_value
    .group_segment_fixed_size: 8192
    .kernarg_segment_align: 8
    .kernarg_segment_size: 120
    .language:       OpenCL C
    .language_version:
      - 2
      - 0
    .max_flat_workgroup_size: 256
    .name:           _ZN9rocsparseL5csrsmILj256ELj64ELb0Ell21rocsparse_complex_numIdEEEv20rocsparse_operation_T3_S4_NS_24const_host_device_scalarIT4_EEPKT2_PKS4_PKS6_PS6_lPiSC_PS4_21rocsparse_index_base_20rocsparse_fill_mode_20rocsparse_diag_type_b
    .private_segment_fixed_size: 0
    .sgpr_count:     34
    .sgpr_spill_count: 0
    .symbol:         _ZN9rocsparseL5csrsmILj256ELj64ELb0Ell21rocsparse_complex_numIdEEEv20rocsparse_operation_T3_S4_NS_24const_host_device_scalarIT4_EEPKT2_PKS4_PKS6_PS6_lPiSC_PS4_21rocsparse_index_base_20rocsparse_fill_mode_20rocsparse_diag_type_b.kd
    .uniform_work_group_size: 1
    .uses_dynamic_stack: false
    .vgpr_count:     34
    .vgpr_spill_count: 0
    .wavefront_size: 32
    .workgroup_processor_mode: 1
  - .args:
      - .offset:         0
        .size:           4
        .value_kind:     by_value
      - .offset:         8
        .size:           8
        .value_kind:     by_value
      - .offset:         16
        .size:           8
        .value_kind:     by_value
      - .offset:         24
        .size:           16
        .value_kind:     by_value
      - .actual_access:  read_only
        .address_space:  global
        .offset:         40
        .size:           8
        .value_kind:     global_buffer
      - .actual_access:  read_only
        .address_space:  global
        .offset:         48
        .size:           8
        .value_kind:     global_buffer
      - .actual_access:  read_only
        .address_space:  global
        .offset:         56
        .size:           8
        .value_kind:     global_buffer
      - .address_space:  global
        .offset:         64
        .size:           8
        .value_kind:     global_buffer
      - .offset:         72
        .size:           8
        .value_kind:     by_value
      - .address_space:  global
        .offset:         80
        .size:           8
        .value_kind:     global_buffer
      - .actual_access:  read_only
        .address_space:  global
        .offset:         88
        .size:           8
        .value_kind:     global_buffer
      - .address_space:  global
        .offset:         96
        .size:           8
        .value_kind:     global_buffer
      - .offset:         104
        .size:           4
        .value_kind:     by_value
      - .offset:         108
        .size:           4
        .value_kind:     by_value
      - .offset:         112
        .size:           4
        .value_kind:     by_value
      - .offset:         116
        .size:           1
        .value_kind:     by_value
    .group_segment_fixed_size: 16384
    .kernarg_segment_align: 8
    .kernarg_segment_size: 120
    .language:       OpenCL C
    .language_version:
      - 2
      - 0
    .max_flat_workgroup_size: 512
    .name:           _ZN9rocsparseL5csrsmILj512ELj64ELb1Ell21rocsparse_complex_numIdEEEv20rocsparse_operation_T3_S4_NS_24const_host_device_scalarIT4_EEPKT2_PKS4_PKS6_PS6_lPiSC_PS4_21rocsparse_index_base_20rocsparse_fill_mode_20rocsparse_diag_type_b
    .private_segment_fixed_size: 0
    .sgpr_count:     34
    .sgpr_spill_count: 0
    .symbol:         _ZN9rocsparseL5csrsmILj512ELj64ELb1Ell21rocsparse_complex_numIdEEEv20rocsparse_operation_T3_S4_NS_24const_host_device_scalarIT4_EEPKT2_PKS4_PKS6_PS6_lPiSC_PS4_21rocsparse_index_base_20rocsparse_fill_mode_20rocsparse_diag_type_b.kd
    .uniform_work_group_size: 1
    .uses_dynamic_stack: false
    .vgpr_count:     34
    .vgpr_spill_count: 0
    .wavefront_size: 32
    .workgroup_processor_mode: 1
  - .args:
      - .offset:         0
        .size:           4
        .value_kind:     by_value
      - .offset:         8
        .size:           8
        .value_kind:     by_value
      - .offset:         16
        .size:           8
        .value_kind:     by_value
      - .offset:         24
        .size:           16
        .value_kind:     by_value
      - .actual_access:  read_only
        .address_space:  global
        .offset:         40
        .size:           8
        .value_kind:     global_buffer
      - .actual_access:  read_only
        .address_space:  global
        .offset:         48
        .size:           8
        .value_kind:     global_buffer
      - .actual_access:  read_only
        .address_space:  global
        .offset:         56
        .size:           8
        .value_kind:     global_buffer
      - .address_space:  global
        .offset:         64
        .size:           8
        .value_kind:     global_buffer
      - .offset:         72
        .size:           8
        .value_kind:     by_value
      - .address_space:  global
        .offset:         80
        .size:           8
        .value_kind:     global_buffer
      - .actual_access:  read_only
        .address_space:  global
        .offset:         88
        .size:           8
        .value_kind:     global_buffer
      - .address_space:  global
        .offset:         96
        .size:           8
        .value_kind:     global_buffer
      - .offset:         104
        .size:           4
        .value_kind:     by_value
      - .offset:         108
        .size:           4
        .value_kind:     by_value
      - .offset:         112
        .size:           4
        .value_kind:     by_value
      - .offset:         116
        .size:           1
        .value_kind:     by_value
    .group_segment_fixed_size: 16384
    .kernarg_segment_align: 8
    .kernarg_segment_size: 120
    .language:       OpenCL C
    .language_version:
      - 2
      - 0
    .max_flat_workgroup_size: 512
    .name:           _ZN9rocsparseL5csrsmILj512ELj64ELb0Ell21rocsparse_complex_numIdEEEv20rocsparse_operation_T3_S4_NS_24const_host_device_scalarIT4_EEPKT2_PKS4_PKS6_PS6_lPiSC_PS4_21rocsparse_index_base_20rocsparse_fill_mode_20rocsparse_diag_type_b
    .private_segment_fixed_size: 0
    .sgpr_count:     34
    .sgpr_spill_count: 0
    .symbol:         _ZN9rocsparseL5csrsmILj512ELj64ELb0Ell21rocsparse_complex_numIdEEEv20rocsparse_operation_T3_S4_NS_24const_host_device_scalarIT4_EEPKT2_PKS4_PKS6_PS6_lPiSC_PS4_21rocsparse_index_base_20rocsparse_fill_mode_20rocsparse_diag_type_b.kd
    .uniform_work_group_size: 1
    .uses_dynamic_stack: false
    .vgpr_count:     34
    .vgpr_spill_count: 0
    .wavefront_size: 32
    .workgroup_processor_mode: 1
  - .args:
      - .offset:         0
        .size:           4
        .value_kind:     by_value
      - .offset:         8
        .size:           8
        .value_kind:     by_value
      - .offset:         16
        .size:           8
        .value_kind:     by_value
      - .offset:         24
        .size:           16
        .value_kind:     by_value
      - .actual_access:  read_only
        .address_space:  global
        .offset:         40
        .size:           8
        .value_kind:     global_buffer
      - .actual_access:  read_only
        .address_space:  global
        .offset:         48
        .size:           8
        .value_kind:     global_buffer
      - .actual_access:  read_only
        .address_space:  global
        .offset:         56
        .size:           8
        .value_kind:     global_buffer
      - .address_space:  global
        .offset:         64
        .size:           8
        .value_kind:     global_buffer
      - .offset:         72
        .size:           8
        .value_kind:     by_value
      - .address_space:  global
        .offset:         80
        .size:           8
        .value_kind:     global_buffer
      - .actual_access:  read_only
        .address_space:  global
        .offset:         88
        .size:           8
        .value_kind:     global_buffer
      - .address_space:  global
        .offset:         96
        .size:           8
        .value_kind:     global_buffer
      - .offset:         104
        .size:           4
        .value_kind:     by_value
      - .offset:         108
        .size:           4
        .value_kind:     by_value
      - .offset:         112
        .size:           4
        .value_kind:     by_value
      - .offset:         116
        .size:           1
        .value_kind:     by_value
    .group_segment_fixed_size: 32768
    .kernarg_segment_align: 8
    .kernarg_segment_size: 120
    .language:       OpenCL C
    .language_version:
      - 2
      - 0
    .max_flat_workgroup_size: 1024
    .name:           _ZN9rocsparseL5csrsmILj1024ELj64ELb1Ell21rocsparse_complex_numIdEEEv20rocsparse_operation_T3_S4_NS_24const_host_device_scalarIT4_EEPKT2_PKS4_PKS6_PS6_lPiSC_PS4_21rocsparse_index_base_20rocsparse_fill_mode_20rocsparse_diag_type_b
    .private_segment_fixed_size: 0
    .sgpr_count:     34
    .sgpr_spill_count: 0
    .symbol:         _ZN9rocsparseL5csrsmILj1024ELj64ELb1Ell21rocsparse_complex_numIdEEEv20rocsparse_operation_T3_S4_NS_24const_host_device_scalarIT4_EEPKT2_PKS4_PKS6_PS6_lPiSC_PS4_21rocsparse_index_base_20rocsparse_fill_mode_20rocsparse_diag_type_b.kd
    .uniform_work_group_size: 1
    .uses_dynamic_stack: false
    .vgpr_count:     36
    .vgpr_spill_count: 0
    .wavefront_size: 32
    .workgroup_processor_mode: 1
  - .args:
      - .offset:         0
        .size:           4
        .value_kind:     by_value
      - .offset:         8
        .size:           8
        .value_kind:     by_value
      - .offset:         16
        .size:           8
        .value_kind:     by_value
      - .offset:         24
        .size:           16
        .value_kind:     by_value
      - .actual_access:  read_only
        .address_space:  global
        .offset:         40
        .size:           8
        .value_kind:     global_buffer
      - .actual_access:  read_only
        .address_space:  global
        .offset:         48
        .size:           8
        .value_kind:     global_buffer
      - .actual_access:  read_only
        .address_space:  global
        .offset:         56
        .size:           8
        .value_kind:     global_buffer
      - .address_space:  global
        .offset:         64
        .size:           8
        .value_kind:     global_buffer
      - .offset:         72
        .size:           8
        .value_kind:     by_value
      - .address_space:  global
        .offset:         80
        .size:           8
        .value_kind:     global_buffer
      - .actual_access:  read_only
        .address_space:  global
        .offset:         88
        .size:           8
        .value_kind:     global_buffer
      - .address_space:  global
        .offset:         96
        .size:           8
        .value_kind:     global_buffer
      - .offset:         104
        .size:           4
        .value_kind:     by_value
      - .offset:         108
        .size:           4
        .value_kind:     by_value
      - .offset:         112
        .size:           4
        .value_kind:     by_value
      - .offset:         116
        .size:           1
        .value_kind:     by_value
    .group_segment_fixed_size: 32768
    .kernarg_segment_align: 8
    .kernarg_segment_size: 120
    .language:       OpenCL C
    .language_version:
      - 2
      - 0
    .max_flat_workgroup_size: 1024
    .name:           _ZN9rocsparseL5csrsmILj1024ELj64ELb0Ell21rocsparse_complex_numIdEEEv20rocsparse_operation_T3_S4_NS_24const_host_device_scalarIT4_EEPKT2_PKS4_PKS6_PS6_lPiSC_PS4_21rocsparse_index_base_20rocsparse_fill_mode_20rocsparse_diag_type_b
    .private_segment_fixed_size: 0
    .sgpr_count:     34
    .sgpr_spill_count: 0
    .symbol:         _ZN9rocsparseL5csrsmILj1024ELj64ELb0Ell21rocsparse_complex_numIdEEEv20rocsparse_operation_T3_S4_NS_24const_host_device_scalarIT4_EEPKT2_PKS4_PKS6_PS6_lPiSC_PS4_21rocsparse_index_base_20rocsparse_fill_mode_20rocsparse_diag_type_b.kd
    .uniform_work_group_size: 1
    .uses_dynamic_stack: false
    .vgpr_count:     36
    .vgpr_spill_count: 0
    .wavefront_size: 32
    .workgroup_processor_mode: 1
amdhsa.target:   amdgcn-amd-amdhsa--gfx1100
amdhsa.version:
  - 1
  - 2
...

	.end_amdgpu_metadata
